;; amdgpu-corpus repo=pytorch/pytorch kind=compiled arch=gfx906 opt=O3
	.amdgcn_target "amdgcn-amd-amdhsa--gfx906"
	.amdhsa_code_object_version 6
	.section	.text._ZN2at4cuda17kernelHistogram1DIfhlLi1ELi2ELin1ELNS0_23CUDAHistogramMemoryTypeE0EZNS0_21CUDA_tensor_histogramIfhLb1EEEbNS_6TensorES4_S4_lNS_14AccumulateTypeIT0_Lb1EE4typeES8_NS0_13TensorArgTypeES9_S9_EUllE_EEvNS0_6detail10TensorInfoIT_T1_EESF_NSC_IKS6_SE_EElS8_S8_SE_T6_,"axG",@progbits,_ZN2at4cuda17kernelHistogram1DIfhlLi1ELi2ELin1ELNS0_23CUDAHistogramMemoryTypeE0EZNS0_21CUDA_tensor_histogramIfhLb1EEEbNS_6TensorES4_S4_lNS_14AccumulateTypeIT0_Lb1EE4typeES8_NS0_13TensorArgTypeES9_S9_EUllE_EEvNS0_6detail10TensorInfoIT_T1_EESF_NSC_IKS6_SE_EElS8_S8_SE_T6_,comdat
	.protected	_ZN2at4cuda17kernelHistogram1DIfhlLi1ELi2ELin1ELNS0_23CUDAHistogramMemoryTypeE0EZNS0_21CUDA_tensor_histogramIfhLb1EEEbNS_6TensorES4_S4_lNS_14AccumulateTypeIT0_Lb1EE4typeES8_NS0_13TensorArgTypeES9_S9_EUllE_EEvNS0_6detail10TensorInfoIT_T1_EESF_NSC_IKS6_SE_EElS8_S8_SE_T6_ ; -- Begin function _ZN2at4cuda17kernelHistogram1DIfhlLi1ELi2ELin1ELNS0_23CUDAHistogramMemoryTypeE0EZNS0_21CUDA_tensor_histogramIfhLb1EEEbNS_6TensorES4_S4_lNS_14AccumulateTypeIT0_Lb1EE4typeES8_NS0_13TensorArgTypeES9_S9_EUllE_EEvNS0_6detail10TensorInfoIT_T1_EESF_NSC_IKS6_SE_EElS8_S8_SE_T6_
	.globl	_ZN2at4cuda17kernelHistogram1DIfhlLi1ELi2ELin1ELNS0_23CUDAHistogramMemoryTypeE0EZNS0_21CUDA_tensor_histogramIfhLb1EEEbNS_6TensorES4_S4_lNS_14AccumulateTypeIT0_Lb1EE4typeES8_NS0_13TensorArgTypeES9_S9_EUllE_EEvNS0_6detail10TensorInfoIT_T1_EESF_NSC_IKS6_SE_EElS8_S8_SE_T6_
	.p2align	8
	.type	_ZN2at4cuda17kernelHistogram1DIfhlLi1ELi2ELin1ELNS0_23CUDAHistogramMemoryTypeE0EZNS0_21CUDA_tensor_histogramIfhLb1EEEbNS_6TensorES4_S4_lNS_14AccumulateTypeIT0_Lb1EE4typeES8_NS0_13TensorArgTypeES9_S9_EUllE_EEvNS0_6detail10TensorInfoIT_T1_EESF_NSC_IKS6_SE_EElS8_S8_SE_T6_,@function
_ZN2at4cuda17kernelHistogram1DIfhlLi1ELi2ELin1ELNS0_23CUDAHistogramMemoryTypeE0EZNS0_21CUDA_tensor_histogramIfhLb1EEEbNS_6TensorES4_S4_lNS_14AccumulateTypeIT0_Lb1EE4typeES8_NS0_13TensorArgTypeES9_S9_EUllE_EEvNS0_6detail10TensorInfoIT_T1_EESF_NSC_IKS6_SE_EElS8_S8_SE_T6_: ; @_ZN2at4cuda17kernelHistogram1DIfhlLi1ELi2ELin1ELNS0_23CUDAHistogramMemoryTypeE0EZNS0_21CUDA_tensor_histogramIfhLb1EEEbNS_6TensorES4_S4_lNS_14AccumulateTypeIT0_Lb1EE4typeES8_NS0_13TensorArgTypeES9_S9_EUllE_EEvNS0_6detail10TensorInfoIT_T1_EESF_NSC_IKS6_SE_EElS8_S8_SE_T6_
; %bb.0:
	s_load_dwordx4 s[16:19], s[4:5], 0x0
	s_load_dwordx2 s[22:23], s[4:5], 0x500
	s_load_dwordx8 s[8:15], s[4:5], 0x4e0
	v_mov_b32_e32 v1, 0
	s_add_u32 s2, s4, 0x6a0
	s_waitcnt lgkmcnt(0)
	v_cmp_gt_i64_e64 s[0:1], s[18:19], v[0:1]
	v_cmp_le_i64_e32 vcc, s[18:19], v[0:1]
	s_addc_u32 s3, s5, 0
                                        ; implicit-def: $sgpr28
                                        ; implicit-def: $sgpr7
	s_and_saveexec_b64 s[20:21], vcc
	s_xor_b64 s[20:21], exec, s[20:21]
	s_cbranch_execz .LBB0_2
; %bb.1:
	s_load_dword s28, s[2:3], 0xc
	s_waitcnt lgkmcnt(0)
	s_and_b32 s7, s28, 0xffff
.LBB0_2:
	s_or_saveexec_b64 s[26:27], s[20:21]
	s_load_dwordx2 s[20:21], s[4:5], 0xd0
	s_load_dwordx2 s[24:25], s[4:5], 0x5d0
	v_mov_b32_e32 v12, s28
	v_mov_b32_e32 v5, s7
	s_xor_b64 exec, exec, s[26:27]
	s_cbranch_execz .LBB0_6
; %bb.3:
	s_load_dword s7, s[2:3], 0xc
	v_mov_b32_e32 v3, v1
	v_lshl_add_u32 v4, v0, 2, 0
	s_mov_b64 s[28:29], 0
	v_mov_b32_e32 v5, 0
	s_waitcnt lgkmcnt(0)
	s_and_b32 s30, s7, 0xffff
	s_lshl_b32 s31, s30, 2
	v_mov_b32_e32 v2, v0
.LBB0_4:                                ; =>This Inner Loop Header: Depth=1
	v_add_co_u32_e32 v2, vcc, s30, v2
	v_addc_co_u32_e32 v3, vcc, 0, v3, vcc
	v_cmp_le_i64_e32 vcc, s[18:19], v[2:3]
	ds_write_b32 v4, v5
	s_or_b64 s[28:29], vcc, s[28:29]
	v_add_u32_e32 v4, s31, v4
	s_andn2_b64 exec, exec, s[28:29]
	s_cbranch_execnz .LBB0_4
; %bb.5:
	s_or_b64 exec, exec, s[28:29]
	v_mov_b32_e32 v12, s7
	v_mov_b32_e32 v5, s30
.LBB0_6:
	s_or_b64 exec, exec, s[26:27]
	v_mad_u64_u32 v[2:3], s[6:7], s6, v5, v[0:1]
	v_mov_b32_e32 v4, 0
	v_mov_b32_e32 v3, v4
	v_cmp_gt_i64_e32 vcc, s[14:15], v[2:3]
	s_waitcnt lgkmcnt(0)
	s_barrier
	s_and_saveexec_b64 s[6:7], vcc
	s_cbranch_execz .LBB0_22
; %bb.7:
	s_load_dword s30, s[4:5], 0x4d8
	s_load_dwordx2 s[28:29], s[4:5], 0x340
	s_add_u32 s34, s4, 0x340
	s_load_dword s31, s[2:3], 0x0
	s_load_dwordx2 s[26:27], s[4:5], 0x410
	s_addc_u32 s35, s5, 0
	s_waitcnt lgkmcnt(0)
	s_cmp_gt_i32 s30, 1
	s_cselect_b64 s[2:3], -1, 0
	s_sub_u32 s33, s12, s10
	s_subb_u32 s48, s13, s11
	v_mul_lo_u32 v13, s31, v5
	s_mov_b32 s31, 0
	s_add_i32 s49, s30, 1
	s_add_i32 s30, s30, -1
	s_lshl_b64 s[4:5], s[30:31], 3
	s_add_u32 s4, s34, s4
	s_addc_u32 s5, s35, s5
	s_add_u32 s34, s4, 8
	v_cndmask_b32_e64 v5, 0, 1, s[2:3]
	s_addc_u32 s35, s5, 0
	s_mov_b64 s[36:37], 0
	v_cmp_ne_u32_e64 s[2:3], 1, v5
	s_branch .LBB0_10
.LBB0_8:                                ;   in Loop: Header=BB0_10 Depth=1
	s_or_b64 exec, exec, s[4:5]
	v_mul_lo_u32 v7, v3, s24
	v_mul_lo_u32 v9, v2, s25
	v_mad_u64_u32 v[5:6], s[4:5], v2, s24, 0
	v_add3_u32 v6, v6, v9, v7
	v_lshlrev_b64 v[5:6], 2, v[5:6]
	v_mov_b32_e32 v7, s23
	v_add_co_u32_e32 v5, vcc, s22, v5
	v_addc_co_u32_e32 v6, vcc, v7, v6, vcc
	global_load_dword v5, v[5:6], off
	v_ashrrev_i32_e32 v9, 31, v8
	v_cmp_eq_u64_e32 vcc, s[8:9], v[8:9]
	v_subbrev_co_u32_e32 v6, vcc, 0, v8, vcc
	v_lshl_add_u32 v6, v6, 2, 0
	s_waitcnt vmcnt(0)
	ds_add_f32 v6, v5
.LBB0_9:                                ;   in Loop: Header=BB0_10 Depth=1
	s_or_b64 exec, exec, s[38:39]
	v_add_co_u32_e32 v2, vcc, v2, v13
	v_addc_co_u32_e32 v3, vcc, 0, v3, vcc
	v_cmp_le_i64_e32 vcc, s[14:15], v[2:3]
	s_or_b64 s[36:37], vcc, s[36:37]
	s_andn2_b64 exec, exec, s[36:37]
	s_cbranch_execz .LBB0_22
.LBB0_10:                               ; =>This Loop Header: Depth=1
                                        ;     Child Loop BB0_11 Depth 2
	v_mov_b32_e32 v6, 0
	v_mov_b32_e32 v9, v3
	;; [unrolled: 1-line block ×4, first 2 shown]
	s_and_b64 vcc, exec, s[2:3]
	s_mov_b64 s[38:39], s[34:35]
	s_mov_b32 s30, s49
	v_mov_b32_e32 v8, v2
	v_mov_b32_e32 v10, v2
	s_cbranch_vccnz .LBB0_17
.LBB0_11:                               ;   Parent Loop BB0_10 Depth=1
                                        ; =>  This Inner Loop Header: Depth=2
	s_load_dwordx2 s[40:41], s[38:39], 0x0
                                        ; implicit-def: $vgpr10_vgpr11
	s_waitcnt lgkmcnt(0)
	v_or_b32_e32 v5, s41, v9
	v_cmp_ne_u64_e32 vcc, 0, v[4:5]
	s_and_saveexec_b64 s[4:5], vcc
	s_xor_b64 s[42:43], exec, s[4:5]
	s_cbranch_execz .LBB0_13
; %bb.12:                               ;   in Loop: Header=BB0_11 Depth=2
	s_ashr_i32 s44, s41, 31
	s_add_u32 s4, s40, s44
	s_mov_b32 s45, s44
	s_addc_u32 s5, s41, s44
	s_xor_b64 s[46:47], s[4:5], s[44:45]
	v_cvt_f32_u32_e32 v5, s46
	v_cvt_f32_u32_e32 v10, s47
	s_sub_u32 s45, 0, s46
	s_subb_u32 s50, 0, s47
	v_mac_f32_e32 v5, 0x4f800000, v10
	v_rcp_f32_e32 v5, v5
	v_mul_f32_e32 v5, 0x5f7ffffc, v5
	v_mul_f32_e32 v10, 0x2f800000, v5
	v_trunc_f32_e32 v10, v10
	v_mac_f32_e32 v5, 0xcf800000, v10
	v_cvt_u32_f32_e32 v10, v10
	v_cvt_u32_f32_e32 v5, v5
	v_readfirstlane_b32 s51, v10
	v_readfirstlane_b32 s4, v5
	s_mul_i32 s5, s45, s51
	s_mul_hi_u32 s53, s45, s4
	s_mul_i32 s52, s50, s4
	s_add_i32 s5, s53, s5
	s_add_i32 s5, s5, s52
	s_mul_i32 s54, s45, s4
	s_mul_i32 s53, s4, s5
	s_mul_hi_u32 s55, s4, s54
	s_mul_hi_u32 s52, s4, s5
	s_add_u32 s53, s55, s53
	s_addc_u32 s52, 0, s52
	s_mul_hi_u32 s56, s51, s54
	s_mul_i32 s54, s51, s54
	s_add_u32 s53, s53, s54
	s_mul_hi_u32 s55, s51, s5
	s_addc_u32 s52, s52, s56
	s_addc_u32 s53, s55, 0
	s_mul_i32 s5, s51, s5
	s_add_u32 s5, s52, s5
	s_addc_u32 s52, 0, s53
	s_add_u32 s53, s4, s5
	s_cselect_b64 s[4:5], -1, 0
	s_cmp_lg_u64 s[4:5], 0
	s_addc_u32 s51, s51, s52
	s_mul_i32 s4, s45, s51
	s_mul_hi_u32 s5, s45, s53
	s_add_i32 s4, s5, s4
	s_mul_i32 s50, s50, s53
	s_add_i32 s4, s4, s50
	s_mul_i32 s45, s45, s53
	s_mul_hi_u32 s50, s51, s45
	s_mul_i32 s52, s51, s45
	s_mul_i32 s55, s53, s4
	s_mul_hi_u32 s45, s53, s45
	s_mul_hi_u32 s54, s53, s4
	s_add_u32 s45, s45, s55
	s_addc_u32 s54, 0, s54
	s_add_u32 s45, s45, s52
	s_mul_hi_u32 s5, s51, s4
	s_addc_u32 s45, s54, s50
	s_addc_u32 s5, s5, 0
	s_mul_i32 s4, s51, s4
	s_add_u32 s4, s45, s4
	s_addc_u32 s45, 0, s5
	s_add_u32 s50, s53, s4
	s_cselect_b64 s[4:5], -1, 0
	v_ashrrev_i32_e32 v5, 31, v9
	s_cmp_lg_u64 s[4:5], 0
	v_add_co_u32_e32 v10, vcc, v8, v5
	s_addc_u32 s45, s51, s45
	v_xor_b32_e32 v16, v10, v5
	v_mad_u64_u32 v[10:11], s[4:5], v16, s45, 0
	v_mul_hi_u32 v15, v16, s50
	v_addc_co_u32_e32 v14, vcc, v9, v5, vcc
	v_xor_b32_e32 v17, v14, v5
	v_add_co_u32_e32 v18, vcc, v15, v10
	v_addc_co_u32_e32 v19, vcc, 0, v11, vcc
	v_mad_u64_u32 v[10:11], s[4:5], v17, s50, 0
	v_mad_u64_u32 v[14:15], s[4:5], v17, s45, 0
	v_add_co_u32_e32 v10, vcc, v18, v10
	v_addc_co_u32_e32 v10, vcc, v19, v11, vcc
	v_addc_co_u32_e32 v11, vcc, 0, v15, vcc
	v_add_co_u32_e32 v14, vcc, v10, v14
	v_addc_co_u32_e32 v15, vcc, 0, v11, vcc
	v_mul_lo_u32 v18, s47, v14
	v_mul_lo_u32 v19, s46, v15
	v_mad_u64_u32 v[10:11], s[4:5], s46, v14, 0
	v_xor_b32_e32 v5, s44, v5
	v_add3_u32 v11, v11, v19, v18
	v_sub_u32_e32 v18, v17, v11
	v_mov_b32_e32 v19, s47
	v_sub_co_u32_e32 v10, vcc, v16, v10
	v_subb_co_u32_e64 v16, s[4:5], v18, v19, vcc
	v_subrev_co_u32_e64 v18, s[4:5], s46, v10
	v_subbrev_co_u32_e64 v16, s[4:5], 0, v16, s[4:5]
	v_cmp_le_u32_e64 s[4:5], s47, v16
	v_cndmask_b32_e64 v19, 0, -1, s[4:5]
	v_cmp_le_u32_e64 s[4:5], s46, v18
	v_cndmask_b32_e64 v18, 0, -1, s[4:5]
	v_cmp_eq_u32_e64 s[4:5], s47, v16
	v_cndmask_b32_e64 v16, v19, v18, s[4:5]
	v_add_co_u32_e64 v18, s[4:5], 2, v14
	v_subb_co_u32_e32 v11, vcc, v17, v11, vcc
	v_addc_co_u32_e64 v19, s[4:5], 0, v15, s[4:5]
	v_cmp_le_u32_e32 vcc, s47, v11
	v_add_co_u32_e64 v20, s[4:5], 1, v14
	v_cndmask_b32_e64 v17, 0, -1, vcc
	v_cmp_le_u32_e32 vcc, s46, v10
	v_addc_co_u32_e64 v21, s[4:5], 0, v15, s[4:5]
	v_cndmask_b32_e64 v10, 0, -1, vcc
	v_cmp_eq_u32_e32 vcc, s47, v11
	v_cmp_ne_u32_e64 s[4:5], 0, v16
	v_cndmask_b32_e32 v10, v17, v10, vcc
	v_cndmask_b32_e64 v16, v21, v19, s[4:5]
	v_cmp_ne_u32_e32 vcc, 0, v10
	v_cndmask_b32_e64 v11, v20, v18, s[4:5]
	v_cndmask_b32_e32 v10, v15, v16, vcc
	v_cndmask_b32_e32 v11, v14, v11, vcc
	v_xor_b32_e32 v14, v10, v5
	v_xor_b32_e32 v10, v11, v5
	v_sub_co_u32_e32 v10, vcc, v10, v5
	v_subb_co_u32_e32 v11, vcc, v14, v5, vcc
.LBB0_13:                               ;   in Loop: Header=BB0_11 Depth=2
	s_andn2_saveexec_b64 s[4:5], s[42:43]
	s_cbranch_execz .LBB0_15
; %bb.14:                               ;   in Loop: Header=BB0_11 Depth=2
	v_cvt_f32_u32_e32 v5, s40
	s_sub_i32 s42, 0, s40
	v_rcp_iflag_f32_e32 v5, v5
	v_mul_f32_e32 v5, 0x4f7ffffe, v5
	v_cvt_u32_f32_e32 v5, v5
	v_mul_lo_u32 v10, s42, v5
	v_mul_hi_u32 v10, v5, v10
	v_add_u32_e32 v5, v5, v10
	v_mul_hi_u32 v5, v8, v5
	v_mul_lo_u32 v10, v5, s40
	v_add_u32_e32 v11, 1, v5
	v_sub_u32_e32 v10, v8, v10
	v_subrev_u32_e32 v14, s40, v10
	v_cmp_le_u32_e32 vcc, s40, v10
	v_cndmask_b32_e32 v10, v10, v14, vcc
	v_cndmask_b32_e32 v5, v5, v11, vcc
	v_add_u32_e32 v11, 1, v5
	v_cmp_le_u32_e32 vcc, s40, v10
	v_cndmask_b32_e32 v10, v5, v11, vcc
	v_mov_b32_e32 v11, v4
.LBB0_15:                               ;   in Loop: Header=BB0_11 Depth=2
	s_or_b64 exec, exec, s[4:5]
	v_mul_lo_u32 v5, v11, s40
	v_mul_lo_u32 v16, v10, s41
	v_mad_u64_u32 v[14:15], s[4:5], v10, s40, 0
	s_load_dwordx2 s[4:5], s[38:39], 0xc8
	s_add_i32 s30, s30, -1
	v_add3_u32 v5, v15, v16, v5
	v_sub_co_u32_e32 v8, vcc, v8, v14
	v_subb_co_u32_e32 v5, vcc, v9, v5, vcc
	s_waitcnt lgkmcnt(0)
	v_mul_lo_u32 v5, s4, v5
	v_mul_lo_u32 v9, s5, v8
	v_mad_u64_u32 v[6:7], s[4:5], s4, v8, v[6:7]
	s_add_u32 s38, s38, -8
	s_addc_u32 s39, s39, -1
	s_cmp_gt_u32 s30, 2
	v_add3_u32 v7, v9, v7, v5
	s_cbranch_scc0 .LBB0_17
; %bb.16:                               ;   in Loop: Header=BB0_11 Depth=2
	v_mov_b32_e32 v8, v10
	v_mov_b32_e32 v9, v11
	s_branch .LBB0_11
.LBB0_17:                               ;   in Loop: Header=BB0_10 Depth=1
	v_mov_b32_e32 v8, s28
	v_mov_b32_e32 v9, s29
	v_mul_lo_u32 v5, s26, v11
	v_mul_lo_u32 v11, s27, v10
	v_mad_u64_u32 v[8:9], s[4:5], s26, v10, v[8:9]
	v_add3_u32 v9, v11, v9, v5
	v_add_co_u32_e32 v5, vcc, v8, v6
	v_addc_co_u32_e32 v6, vcc, v9, v7, vcc
	global_load_ubyte v5, v[5:6], off
	v_mov_b32_e32 v6, s31
	s_waitcnt vmcnt(0)
	v_and_b32_e32 v5, 0xffff, v5
	v_cmp_le_i64_e32 vcc, s[10:11], v[5:6]
	v_cmp_ge_i64_e64 s[4:5], s[12:13], v[5:6]
	s_and_b64 s[4:5], vcc, s[4:5]
	s_and_saveexec_b64 s[38:39], s[4:5]
	s_cbranch_execz .LBB0_9
; %bb.18:                               ;   in Loop: Header=BB0_10 Depth=1
	v_mov_b32_e32 v6, s11
	v_subrev_co_u32_e32 v5, vcc, s10, v5
	v_subb_co_u32_e32 v6, vcc, 0, v6, vcc
	v_mul_lo_u32 v8, v6, s8
	v_mul_lo_u32 v9, v5, s9
	v_mad_u64_u32 v[6:7], s[4:5], v5, s8, 0
	v_add3_u32 v7, v7, v9, v8
	v_or_b32_e32 v5, s48, v7
	v_cmp_ne_u64_e32 vcc, 0, v[4:5]
                                        ; implicit-def: $vgpr8_vgpr9
	s_and_saveexec_b64 s[4:5], vcc
	s_xor_b64 s[40:41], exec, s[4:5]
	s_cbranch_execz .LBB0_20
; %bb.19:                               ;   in Loop: Header=BB0_10 Depth=1
	s_ashr_i32 s42, s48, 31
	s_add_u32 s4, s33, s42
	s_mov_b32 s43, s42
	s_addc_u32 s5, s48, s42
	s_xor_b64 s[44:45], s[4:5], s[42:43]
	v_cvt_f32_u32_e32 v5, s44
	v_cvt_f32_u32_e32 v8, s45
	s_sub_u32 s30, 0, s44
	s_subb_u32 s43, 0, s45
	v_ashrrev_i32_e32 v9, 31, v7
	v_mac_f32_e32 v5, 0x4f800000, v8
	v_rcp_f32_e32 v5, v5
	v_mul_f32_e32 v5, 0x5f7ffffc, v5
	v_mul_f32_e32 v8, 0x2f800000, v5
	v_trunc_f32_e32 v8, v8
	v_mac_f32_e32 v5, 0xcf800000, v8
	v_cvt_u32_f32_e32 v8, v8
	v_cvt_u32_f32_e32 v5, v5
	v_readfirstlane_b32 s46, v8
	v_readfirstlane_b32 s4, v5
	s_mul_i32 s5, s30, s46
	s_mul_hi_u32 s50, s30, s4
	s_mul_i32 s47, s43, s4
	s_add_i32 s5, s50, s5
	s_add_i32 s5, s5, s47
	s_mul_i32 s51, s30, s4
	s_mul_i32 s50, s4, s5
	s_mul_hi_u32 s52, s4, s51
	s_mul_hi_u32 s47, s4, s5
	s_add_u32 s50, s52, s50
	s_addc_u32 s47, 0, s47
	s_mul_hi_u32 s53, s46, s51
	s_mul_i32 s51, s46, s51
	s_add_u32 s50, s50, s51
	s_mul_hi_u32 s52, s46, s5
	s_addc_u32 s47, s47, s53
	s_addc_u32 s50, s52, 0
	s_mul_i32 s5, s46, s5
	s_add_u32 s5, s47, s5
	s_addc_u32 s47, 0, s50
	s_add_u32 s50, s4, s5
	s_cselect_b64 s[4:5], -1, 0
	s_cmp_lg_u64 s[4:5], 0
	s_addc_u32 s46, s46, s47
	s_mul_i32 s4, s30, s46
	s_mul_hi_u32 s5, s30, s50
	s_add_i32 s4, s5, s4
	s_mul_i32 s43, s43, s50
	s_add_i32 s4, s4, s43
	s_mul_i32 s30, s30, s50
	s_mul_hi_u32 s43, s46, s30
	s_mul_i32 s47, s46, s30
	s_mul_i32 s52, s50, s4
	s_mul_hi_u32 s30, s50, s30
	s_mul_hi_u32 s51, s50, s4
	s_add_u32 s30, s30, s52
	s_addc_u32 s51, 0, s51
	s_add_u32 s30, s30, s47
	s_mul_hi_u32 s5, s46, s4
	s_addc_u32 s30, s51, s43
	s_addc_u32 s5, s5, 0
	s_mul_i32 s4, s46, s4
	s_add_u32 s4, s30, s4
	s_addc_u32 s30, 0, s5
	s_add_u32 s43, s50, s4
	s_cselect_b64 s[4:5], -1, 0
	s_cmp_lg_u64 s[4:5], 0
	v_add_co_u32_e32 v5, vcc, v6, v9
	s_addc_u32 s30, s46, s30
	v_xor_b32_e32 v10, v5, v9
	v_mad_u64_u32 v[5:6], s[4:5], v10, s30, 0
	v_mul_hi_u32 v8, v10, s43
	v_addc_co_u32_e32 v7, vcc, v7, v9, vcc
	v_xor_b32_e32 v11, v7, v9
	v_add_co_u32_e32 v14, vcc, v8, v5
	v_addc_co_u32_e32 v15, vcc, 0, v6, vcc
	v_mad_u64_u32 v[5:6], s[4:5], v11, s43, 0
	v_mad_u64_u32 v[7:8], s[4:5], v11, s30, 0
	v_add_co_u32_e32 v5, vcc, v14, v5
	v_addc_co_u32_e32 v5, vcc, v15, v6, vcc
	v_addc_co_u32_e32 v6, vcc, 0, v8, vcc
	v_add_co_u32_e32 v7, vcc, v5, v7
	v_addc_co_u32_e32 v5, vcc, 0, v6, vcc
	v_mul_lo_u32 v8, s45, v7
	v_mul_lo_u32 v14, s44, v5
	v_mad_u64_u32 v[5:6], s[4:5], s44, v7, 0
	v_add3_u32 v6, v6, v14, v8
	v_sub_u32_e32 v8, v11, v6
	v_mov_b32_e32 v14, s45
	v_sub_co_u32_e32 v5, vcc, v10, v5
	v_subb_co_u32_e64 v8, s[4:5], v8, v14, vcc
	v_subrev_co_u32_e64 v10, s[4:5], s44, v5
	v_subbrev_co_u32_e64 v8, s[4:5], 0, v8, s[4:5]
	v_cmp_le_u32_e64 s[4:5], s45, v8
	v_subb_co_u32_e32 v6, vcc, v11, v6, vcc
	v_cndmask_b32_e64 v14, 0, -1, s[4:5]
	v_cmp_le_u32_e64 s[4:5], s44, v10
	v_cmp_le_u32_e32 vcc, s45, v6
	v_cndmask_b32_e64 v10, 0, -1, s[4:5]
	v_cmp_eq_u32_e64 s[4:5], s45, v8
	v_cndmask_b32_e64 v11, 0, -1, vcc
	v_cmp_le_u32_e32 vcc, s44, v5
	v_cndmask_b32_e64 v8, v14, v10, s[4:5]
	v_cndmask_b32_e64 v5, 0, -1, vcc
	v_cmp_eq_u32_e32 vcc, s45, v6
	v_add_co_u32_e64 v10, s[4:5], 2, v7
	v_add_co_u32_e64 v14, s[4:5], 1, v7
	v_cndmask_b32_e32 v5, v11, v5, vcc
	v_cmp_ne_u32_e32 vcc, 0, v8
	v_cndmask_b32_e32 v6, v14, v10, vcc
	v_cmp_ne_u32_e32 vcc, 0, v5
	v_cndmask_b32_e32 v5, v7, v6, vcc
	v_xor_b32_e32 v6, s42, v9
	v_xor_b32_e32 v5, v5, v6
	v_sub_co_u32_e32 v8, vcc, v5, v6
                                        ; implicit-def: $vgpr6_vgpr7
.LBB0_20:                               ;   in Loop: Header=BB0_10 Depth=1
	s_andn2_saveexec_b64 s[4:5], s[40:41]
	s_cbranch_execz .LBB0_8
; %bb.21:                               ;   in Loop: Header=BB0_10 Depth=1
	v_cvt_f32_u32_e32 v5, s33
	s_sub_i32 s30, 0, s33
	v_rcp_iflag_f32_e32 v5, v5
	v_mul_f32_e32 v5, 0x4f7ffffe, v5
	v_cvt_u32_f32_e32 v5, v5
	v_mul_lo_u32 v7, s30, v5
	v_mul_hi_u32 v7, v5, v7
	v_add_u32_e32 v5, v5, v7
	v_mul_hi_u32 v5, v6, v5
	v_mul_lo_u32 v7, v5, s33
	v_add_u32_e32 v8, 1, v5
	v_sub_u32_e32 v6, v6, v7
	v_subrev_u32_e32 v7, s33, v6
	v_cmp_le_u32_e32 vcc, s33, v6
	v_cndmask_b32_e32 v6, v6, v7, vcc
	v_cndmask_b32_e32 v5, v5, v8, vcc
	v_add_u32_e32 v7, 1, v5
	v_cmp_le_u32_e32 vcc, s33, v6
	v_cndmask_b32_e32 v8, v5, v7, vcc
	s_branch .LBB0_8
.LBB0_22:
	s_or_b64 exec, exec, s[6:7]
; %bb.23:
	s_waitcnt lgkmcnt(0)
	s_barrier
	s_and_saveexec_b64 s[2:3], s[0:1]
	s_cbranch_execz .LBB0_28
; %bb.24:
	v_and_b32_e32 v6, 0xffff, v12
	s_mov_b64 s[0:1], 0
	v_mov_b32_e32 v7, s17
.LBB0_25:                               ; =>This Loop Header: Depth=1
                                        ;     Child Loop BB0_26 Depth 2
	v_mul_lo_u32 v4, v1, s20
	v_mul_lo_u32 v5, v0, s21
	v_mad_u64_u32 v[2:3], s[2:3], v0, s20, 0
	s_mov_b64 s[2:3], 0
	v_add3_u32 v3, v3, v5, v4
	v_lshlrev_b64 v[2:3], 2, v[2:3]
	v_lshl_add_u32 v4, v0, 2, 0
	v_add_co_u32_e32 v2, vcc, s16, v2
	v_addc_co_u32_e32 v3, vcc, v7, v3, vcc
	global_load_dword v5, v[2:3], off
	ds_read_b32 v8, v4
.LBB0_26:                               ;   Parent Loop BB0_25 Depth=1
                                        ; =>  This Inner Loop Header: Depth=2
	s_waitcnt vmcnt(0) lgkmcnt(0)
	v_add_f32_e32 v4, v5, v8
	global_atomic_cmpswap v4, v[2:3], v[4:5], off glc
	s_waitcnt vmcnt(0)
	v_cmp_eq_u32_e32 vcc, v4, v5
	s_or_b64 s[2:3], vcc, s[2:3]
	v_mov_b32_e32 v5, v4
	s_andn2_b64 exec, exec, s[2:3]
	s_cbranch_execnz .LBB0_26
; %bb.27:                               ;   in Loop: Header=BB0_25 Depth=1
	s_or_b64 exec, exec, s[2:3]
	v_add_co_u32_e32 v0, vcc, v0, v6
	v_addc_co_u32_e32 v1, vcc, 0, v1, vcc
	v_cmp_le_i64_e32 vcc, s[18:19], v[0:1]
	s_or_b64 s[0:1], vcc, s[0:1]
	s_andn2_b64 exec, exec, s[0:1]
	s_cbranch_execnz .LBB0_25
.LBB0_28:
	s_endpgm
	.section	.rodata,"a",@progbits
	.p2align	6, 0x0
	.amdhsa_kernel _ZN2at4cuda17kernelHistogram1DIfhlLi1ELi2ELin1ELNS0_23CUDAHistogramMemoryTypeE0EZNS0_21CUDA_tensor_histogramIfhLb1EEEbNS_6TensorES4_S4_lNS_14AccumulateTypeIT0_Lb1EE4typeES8_NS0_13TensorArgTypeES9_S9_EUllE_EEvNS0_6detail10TensorInfoIT_T1_EESF_NSC_IKS6_SE_EElS8_S8_SE_T6_
		.amdhsa_group_segment_fixed_size 0
		.amdhsa_private_segment_fixed_size 0
		.amdhsa_kernarg_size 1952
		.amdhsa_user_sgpr_count 6
		.amdhsa_user_sgpr_private_segment_buffer 1
		.amdhsa_user_sgpr_dispatch_ptr 0
		.amdhsa_user_sgpr_queue_ptr 0
		.amdhsa_user_sgpr_kernarg_segment_ptr 1
		.amdhsa_user_sgpr_dispatch_id 0
		.amdhsa_user_sgpr_flat_scratch_init 0
		.amdhsa_user_sgpr_private_segment_size 0
		.amdhsa_uses_dynamic_stack 0
		.amdhsa_system_sgpr_private_segment_wavefront_offset 0
		.amdhsa_system_sgpr_workgroup_id_x 1
		.amdhsa_system_sgpr_workgroup_id_y 0
		.amdhsa_system_sgpr_workgroup_id_z 0
		.amdhsa_system_sgpr_workgroup_info 0
		.amdhsa_system_vgpr_workitem_id 0
		.amdhsa_next_free_vgpr 22
		.amdhsa_next_free_sgpr 57
		.amdhsa_reserve_vcc 1
		.amdhsa_reserve_flat_scratch 0
		.amdhsa_float_round_mode_32 0
		.amdhsa_float_round_mode_16_64 0
		.amdhsa_float_denorm_mode_32 3
		.amdhsa_float_denorm_mode_16_64 3
		.amdhsa_dx10_clamp 1
		.amdhsa_ieee_mode 1
		.amdhsa_fp16_overflow 0
		.amdhsa_exception_fp_ieee_invalid_op 0
		.amdhsa_exception_fp_denorm_src 0
		.amdhsa_exception_fp_ieee_div_zero 0
		.amdhsa_exception_fp_ieee_overflow 0
		.amdhsa_exception_fp_ieee_underflow 0
		.amdhsa_exception_fp_ieee_inexact 0
		.amdhsa_exception_int_div_zero 0
	.end_amdhsa_kernel
	.section	.text._ZN2at4cuda17kernelHistogram1DIfhlLi1ELi2ELin1ELNS0_23CUDAHistogramMemoryTypeE0EZNS0_21CUDA_tensor_histogramIfhLb1EEEbNS_6TensorES4_S4_lNS_14AccumulateTypeIT0_Lb1EE4typeES8_NS0_13TensorArgTypeES9_S9_EUllE_EEvNS0_6detail10TensorInfoIT_T1_EESF_NSC_IKS6_SE_EElS8_S8_SE_T6_,"axG",@progbits,_ZN2at4cuda17kernelHistogram1DIfhlLi1ELi2ELin1ELNS0_23CUDAHistogramMemoryTypeE0EZNS0_21CUDA_tensor_histogramIfhLb1EEEbNS_6TensorES4_S4_lNS_14AccumulateTypeIT0_Lb1EE4typeES8_NS0_13TensorArgTypeES9_S9_EUllE_EEvNS0_6detail10TensorInfoIT_T1_EESF_NSC_IKS6_SE_EElS8_S8_SE_T6_,comdat
.Lfunc_end0:
	.size	_ZN2at4cuda17kernelHistogram1DIfhlLi1ELi2ELin1ELNS0_23CUDAHistogramMemoryTypeE0EZNS0_21CUDA_tensor_histogramIfhLb1EEEbNS_6TensorES4_S4_lNS_14AccumulateTypeIT0_Lb1EE4typeES8_NS0_13TensorArgTypeES9_S9_EUllE_EEvNS0_6detail10TensorInfoIT_T1_EESF_NSC_IKS6_SE_EElS8_S8_SE_T6_, .Lfunc_end0-_ZN2at4cuda17kernelHistogram1DIfhlLi1ELi2ELin1ELNS0_23CUDAHistogramMemoryTypeE0EZNS0_21CUDA_tensor_histogramIfhLb1EEEbNS_6TensorES4_S4_lNS_14AccumulateTypeIT0_Lb1EE4typeES8_NS0_13TensorArgTypeES9_S9_EUllE_EEvNS0_6detail10TensorInfoIT_T1_EESF_NSC_IKS6_SE_EElS8_S8_SE_T6_
                                        ; -- End function
	.set _ZN2at4cuda17kernelHistogram1DIfhlLi1ELi2ELin1ELNS0_23CUDAHistogramMemoryTypeE0EZNS0_21CUDA_tensor_histogramIfhLb1EEEbNS_6TensorES4_S4_lNS_14AccumulateTypeIT0_Lb1EE4typeES8_NS0_13TensorArgTypeES9_S9_EUllE_EEvNS0_6detail10TensorInfoIT_T1_EESF_NSC_IKS6_SE_EElS8_S8_SE_T6_.num_vgpr, 22
	.set _ZN2at4cuda17kernelHistogram1DIfhlLi1ELi2ELin1ELNS0_23CUDAHistogramMemoryTypeE0EZNS0_21CUDA_tensor_histogramIfhLb1EEEbNS_6TensorES4_S4_lNS_14AccumulateTypeIT0_Lb1EE4typeES8_NS0_13TensorArgTypeES9_S9_EUllE_EEvNS0_6detail10TensorInfoIT_T1_EESF_NSC_IKS6_SE_EElS8_S8_SE_T6_.num_agpr, 0
	.set _ZN2at4cuda17kernelHistogram1DIfhlLi1ELi2ELin1ELNS0_23CUDAHistogramMemoryTypeE0EZNS0_21CUDA_tensor_histogramIfhLb1EEEbNS_6TensorES4_S4_lNS_14AccumulateTypeIT0_Lb1EE4typeES8_NS0_13TensorArgTypeES9_S9_EUllE_EEvNS0_6detail10TensorInfoIT_T1_EESF_NSC_IKS6_SE_EElS8_S8_SE_T6_.numbered_sgpr, 57
	.set _ZN2at4cuda17kernelHistogram1DIfhlLi1ELi2ELin1ELNS0_23CUDAHistogramMemoryTypeE0EZNS0_21CUDA_tensor_histogramIfhLb1EEEbNS_6TensorES4_S4_lNS_14AccumulateTypeIT0_Lb1EE4typeES8_NS0_13TensorArgTypeES9_S9_EUllE_EEvNS0_6detail10TensorInfoIT_T1_EESF_NSC_IKS6_SE_EElS8_S8_SE_T6_.num_named_barrier, 0
	.set _ZN2at4cuda17kernelHistogram1DIfhlLi1ELi2ELin1ELNS0_23CUDAHistogramMemoryTypeE0EZNS0_21CUDA_tensor_histogramIfhLb1EEEbNS_6TensorES4_S4_lNS_14AccumulateTypeIT0_Lb1EE4typeES8_NS0_13TensorArgTypeES9_S9_EUllE_EEvNS0_6detail10TensorInfoIT_T1_EESF_NSC_IKS6_SE_EElS8_S8_SE_T6_.private_seg_size, 0
	.set _ZN2at4cuda17kernelHistogram1DIfhlLi1ELi2ELin1ELNS0_23CUDAHistogramMemoryTypeE0EZNS0_21CUDA_tensor_histogramIfhLb1EEEbNS_6TensorES4_S4_lNS_14AccumulateTypeIT0_Lb1EE4typeES8_NS0_13TensorArgTypeES9_S9_EUllE_EEvNS0_6detail10TensorInfoIT_T1_EESF_NSC_IKS6_SE_EElS8_S8_SE_T6_.uses_vcc, 1
	.set _ZN2at4cuda17kernelHistogram1DIfhlLi1ELi2ELin1ELNS0_23CUDAHistogramMemoryTypeE0EZNS0_21CUDA_tensor_histogramIfhLb1EEEbNS_6TensorES4_S4_lNS_14AccumulateTypeIT0_Lb1EE4typeES8_NS0_13TensorArgTypeES9_S9_EUllE_EEvNS0_6detail10TensorInfoIT_T1_EESF_NSC_IKS6_SE_EElS8_S8_SE_T6_.uses_flat_scratch, 0
	.set _ZN2at4cuda17kernelHistogram1DIfhlLi1ELi2ELin1ELNS0_23CUDAHistogramMemoryTypeE0EZNS0_21CUDA_tensor_histogramIfhLb1EEEbNS_6TensorES4_S4_lNS_14AccumulateTypeIT0_Lb1EE4typeES8_NS0_13TensorArgTypeES9_S9_EUllE_EEvNS0_6detail10TensorInfoIT_T1_EESF_NSC_IKS6_SE_EElS8_S8_SE_T6_.has_dyn_sized_stack, 0
	.set _ZN2at4cuda17kernelHistogram1DIfhlLi1ELi2ELin1ELNS0_23CUDAHistogramMemoryTypeE0EZNS0_21CUDA_tensor_histogramIfhLb1EEEbNS_6TensorES4_S4_lNS_14AccumulateTypeIT0_Lb1EE4typeES8_NS0_13TensorArgTypeES9_S9_EUllE_EEvNS0_6detail10TensorInfoIT_T1_EESF_NSC_IKS6_SE_EElS8_S8_SE_T6_.has_recursion, 0
	.set _ZN2at4cuda17kernelHistogram1DIfhlLi1ELi2ELin1ELNS0_23CUDAHistogramMemoryTypeE0EZNS0_21CUDA_tensor_histogramIfhLb1EEEbNS_6TensorES4_S4_lNS_14AccumulateTypeIT0_Lb1EE4typeES8_NS0_13TensorArgTypeES9_S9_EUllE_EEvNS0_6detail10TensorInfoIT_T1_EESF_NSC_IKS6_SE_EElS8_S8_SE_T6_.has_indirect_call, 0
	.section	.AMDGPU.csdata,"",@progbits
; Kernel info:
; codeLenInByte = 2428
; TotalNumSgprs: 61
; NumVgprs: 22
; ScratchSize: 0
; MemoryBound: 0
; FloatMode: 240
; IeeeMode: 1
; LDSByteSize: 0 bytes/workgroup (compile time only)
; SGPRBlocks: 7
; VGPRBlocks: 5
; NumSGPRsForWavesPerEU: 61
; NumVGPRsForWavesPerEU: 22
; Occupancy: 10
; WaveLimiterHint : 1
; COMPUTE_PGM_RSRC2:SCRATCH_EN: 0
; COMPUTE_PGM_RSRC2:USER_SGPR: 6
; COMPUTE_PGM_RSRC2:TRAP_HANDLER: 0
; COMPUTE_PGM_RSRC2:TGID_X_EN: 1
; COMPUTE_PGM_RSRC2:TGID_Y_EN: 0
; COMPUTE_PGM_RSRC2:TGID_Z_EN: 0
; COMPUTE_PGM_RSRC2:TIDIG_COMP_CNT: 0
	.section	.text._ZN2at4cuda17kernelHistogram1DIfhlLi1ELi2ELin1ELNS0_23CUDAHistogramMemoryTypeE1EZNS0_21CUDA_tensor_histogramIfhLb1EEEbNS_6TensorES4_S4_lNS_14AccumulateTypeIT0_Lb1EE4typeES8_NS0_13TensorArgTypeES9_S9_EUllE_EEvNS0_6detail10TensorInfoIT_T1_EESF_NSC_IKS6_SE_EElS8_S8_SE_T6_,"axG",@progbits,_ZN2at4cuda17kernelHistogram1DIfhlLi1ELi2ELin1ELNS0_23CUDAHistogramMemoryTypeE1EZNS0_21CUDA_tensor_histogramIfhLb1EEEbNS_6TensorES4_S4_lNS_14AccumulateTypeIT0_Lb1EE4typeES8_NS0_13TensorArgTypeES9_S9_EUllE_EEvNS0_6detail10TensorInfoIT_T1_EESF_NSC_IKS6_SE_EElS8_S8_SE_T6_,comdat
	.protected	_ZN2at4cuda17kernelHistogram1DIfhlLi1ELi2ELin1ELNS0_23CUDAHistogramMemoryTypeE1EZNS0_21CUDA_tensor_histogramIfhLb1EEEbNS_6TensorES4_S4_lNS_14AccumulateTypeIT0_Lb1EE4typeES8_NS0_13TensorArgTypeES9_S9_EUllE_EEvNS0_6detail10TensorInfoIT_T1_EESF_NSC_IKS6_SE_EElS8_S8_SE_T6_ ; -- Begin function _ZN2at4cuda17kernelHistogram1DIfhlLi1ELi2ELin1ELNS0_23CUDAHistogramMemoryTypeE1EZNS0_21CUDA_tensor_histogramIfhLb1EEEbNS_6TensorES4_S4_lNS_14AccumulateTypeIT0_Lb1EE4typeES8_NS0_13TensorArgTypeES9_S9_EUllE_EEvNS0_6detail10TensorInfoIT_T1_EESF_NSC_IKS6_SE_EElS8_S8_SE_T6_
	.globl	_ZN2at4cuda17kernelHistogram1DIfhlLi1ELi2ELin1ELNS0_23CUDAHistogramMemoryTypeE1EZNS0_21CUDA_tensor_histogramIfhLb1EEEbNS_6TensorES4_S4_lNS_14AccumulateTypeIT0_Lb1EE4typeES8_NS0_13TensorArgTypeES9_S9_EUllE_EEvNS0_6detail10TensorInfoIT_T1_EESF_NSC_IKS6_SE_EElS8_S8_SE_T6_
	.p2align	8
	.type	_ZN2at4cuda17kernelHistogram1DIfhlLi1ELi2ELin1ELNS0_23CUDAHistogramMemoryTypeE1EZNS0_21CUDA_tensor_histogramIfhLb1EEEbNS_6TensorES4_S4_lNS_14AccumulateTypeIT0_Lb1EE4typeES8_NS0_13TensorArgTypeES9_S9_EUllE_EEvNS0_6detail10TensorInfoIT_T1_EESF_NSC_IKS6_SE_EElS8_S8_SE_T6_,@function
_ZN2at4cuda17kernelHistogram1DIfhlLi1ELi2ELin1ELNS0_23CUDAHistogramMemoryTypeE1EZNS0_21CUDA_tensor_histogramIfhLb1EEEbNS_6TensorES4_S4_lNS_14AccumulateTypeIT0_Lb1EE4typeES8_NS0_13TensorArgTypeES9_S9_EUllE_EEvNS0_6detail10TensorInfoIT_T1_EESF_NSC_IKS6_SE_EElS8_S8_SE_T6_: ; @_ZN2at4cuda17kernelHistogram1DIfhlLi1ELi2ELin1ELNS0_23CUDAHistogramMemoryTypeE1EZNS0_21CUDA_tensor_histogramIfhLb1EEEbNS_6TensorES4_S4_lNS_14AccumulateTypeIT0_Lb1EE4typeES8_NS0_13TensorArgTypeES9_S9_EUllE_EEvNS0_6detail10TensorInfoIT_T1_EESF_NSC_IKS6_SE_EElS8_S8_SE_T6_
; %bb.0:
	s_load_dword s2, s[4:5], 0x6ac
	s_load_dwordx8 s[8:15], s[4:5], 0x4e0
	s_add_u32 s0, s4, 0x6a0
	s_addc_u32 s1, s5, 0
	v_mov_b32_e32 v2, 0
	s_waitcnt lgkmcnt(0)
	s_and_b32 s2, s2, 0xffff
	s_mul_i32 s6, s6, s2
	v_add_u32_e32 v0, s6, v0
	v_mov_b32_e32 v1, v2
	v_cmp_gt_i64_e32 vcc, s[14:15], v[0:1]
	s_and_saveexec_b64 s[6:7], vcc
	s_cbranch_execz .LBB1_17
; %bb.1:
	s_load_dwordx2 s[6:7], s[4:5], 0x5d0
	s_load_dword s3, s[4:5], 0x4d8
	s_load_dwordx2 s[16:17], s[4:5], 0x500
	s_add_u32 s26, s4, 0x340
	s_load_dword s28, s[0:1], 0x0
	s_addc_u32 s27, s5, 0
	s_waitcnt lgkmcnt(0)
	s_cmp_gt_i32 s3, 1
	s_cselect_b64 s[0:1], -1, 0
	s_load_dwordx2 s[18:19], s[4:5], 0x0
	s_load_dwordx2 s[20:21], s[4:5], 0xd0
	;; [unrolled: 1-line block ×4, first 2 shown]
	s_sub_u32 s33, s12, s10
	s_subb_u32 s42, s13, s11
	s_mov_b32 s5, 0
	s_add_i32 s4, s3, -1
	s_mul_i32 s43, s28, s2
	s_add_i32 s44, s3, 1
	s_lshl_b64 s[2:3], s[4:5], 3
	s_add_u32 s2, s26, s2
	s_addc_u32 s3, s27, s3
	s_add_u32 s26, s2, 8
	v_cndmask_b32_e64 v3, 0, 1, s[0:1]
	s_addc_u32 s27, s3, 0
	s_mov_b64 s[28:29], 0
	v_cmp_ne_u32_e64 s[0:1], 1, v3
	s_branch .LBB1_3
.LBB1_2:                                ;   in Loop: Header=BB1_3 Depth=1
	s_or_b64 exec, exec, s[30:31]
	v_add_co_u32_e32 v0, vcc, s43, v0
	v_addc_co_u32_e32 v1, vcc, 0, v1, vcc
	v_cmp_le_i64_e32 vcc, s[14:15], v[0:1]
	s_or_b64 s[28:29], vcc, s[28:29]
	s_andn2_b64 exec, exec, s[28:29]
	s_cbranch_execz .LBB1_17
.LBB1_3:                                ; =>This Loop Header: Depth=1
                                        ;     Child Loop BB1_4 Depth 2
                                        ;     Child Loop BB1_16 Depth 2
	v_mov_b32_e32 v4, 0
	v_mov_b32_e32 v7, v1
	;; [unrolled: 1-line block ×4, first 2 shown]
	s_and_b64 vcc, exec, s[0:1]
	s_mov_b64 s[30:31], s[26:27]
	s_mov_b32 s4, s44
	v_mov_b32_e32 v6, v0
	v_mov_b32_e32 v8, v0
	s_cbranch_vccnz .LBB1_10
.LBB1_4:                                ;   Parent Loop BB1_3 Depth=1
                                        ; =>  This Inner Loop Header: Depth=2
	s_load_dwordx2 s[34:35], s[30:31], 0x0
                                        ; implicit-def: $vgpr8_vgpr9
	s_waitcnt lgkmcnt(0)
	v_or_b32_e32 v3, s35, v7
	v_cmp_ne_u64_e32 vcc, 0, v[2:3]
	s_and_saveexec_b64 s[2:3], vcc
	s_xor_b64 s[36:37], exec, s[2:3]
	s_cbranch_execz .LBB1_6
; %bb.5:                                ;   in Loop: Header=BB1_4 Depth=2
	s_ashr_i32 s38, s35, 31
	s_add_u32 s2, s34, s38
	s_mov_b32 s39, s38
	s_addc_u32 s3, s35, s38
	s_xor_b64 s[40:41], s[2:3], s[38:39]
	v_cvt_f32_u32_e32 v3, s40
	v_cvt_f32_u32_e32 v8, s41
	s_sub_u32 s39, 0, s40
	s_subb_u32 s45, 0, s41
	v_mac_f32_e32 v3, 0x4f800000, v8
	v_rcp_f32_e32 v3, v3
	v_mul_f32_e32 v3, 0x5f7ffffc, v3
	v_mul_f32_e32 v8, 0x2f800000, v3
	v_trunc_f32_e32 v8, v8
	v_mac_f32_e32 v3, 0xcf800000, v8
	v_cvt_u32_f32_e32 v8, v8
	v_cvt_u32_f32_e32 v3, v3
	v_readfirstlane_b32 s46, v8
	v_readfirstlane_b32 s2, v3
	s_mul_i32 s3, s39, s46
	s_mul_hi_u32 s48, s39, s2
	s_mul_i32 s47, s45, s2
	s_add_i32 s3, s48, s3
	s_add_i32 s3, s3, s47
	s_mul_i32 s49, s39, s2
	s_mul_i32 s48, s2, s3
	s_mul_hi_u32 s50, s2, s49
	s_mul_hi_u32 s47, s2, s3
	s_add_u32 s48, s50, s48
	s_addc_u32 s47, 0, s47
	s_mul_hi_u32 s51, s46, s49
	s_mul_i32 s49, s46, s49
	s_add_u32 s48, s48, s49
	s_mul_hi_u32 s50, s46, s3
	s_addc_u32 s47, s47, s51
	s_addc_u32 s48, s50, 0
	s_mul_i32 s3, s46, s3
	s_add_u32 s3, s47, s3
	s_addc_u32 s47, 0, s48
	s_add_u32 s48, s2, s3
	s_cselect_b64 s[2:3], -1, 0
	s_cmp_lg_u64 s[2:3], 0
	s_addc_u32 s46, s46, s47
	s_mul_i32 s2, s39, s46
	s_mul_hi_u32 s3, s39, s48
	s_add_i32 s2, s3, s2
	s_mul_i32 s45, s45, s48
	s_add_i32 s2, s2, s45
	s_mul_i32 s39, s39, s48
	s_mul_hi_u32 s45, s46, s39
	s_mul_i32 s47, s46, s39
	s_mul_i32 s50, s48, s2
	s_mul_hi_u32 s39, s48, s39
	s_mul_hi_u32 s49, s48, s2
	s_add_u32 s39, s39, s50
	s_addc_u32 s49, 0, s49
	s_add_u32 s39, s39, s47
	s_mul_hi_u32 s3, s46, s2
	s_addc_u32 s39, s49, s45
	s_addc_u32 s3, s3, 0
	s_mul_i32 s2, s46, s2
	s_add_u32 s2, s39, s2
	s_addc_u32 s39, 0, s3
	s_add_u32 s45, s48, s2
	s_cselect_b64 s[2:3], -1, 0
	v_ashrrev_i32_e32 v3, 31, v7
	s_cmp_lg_u64 s[2:3], 0
	v_add_co_u32_e32 v8, vcc, v6, v3
	s_addc_u32 s39, s46, s39
	v_xor_b32_e32 v12, v8, v3
	v_mad_u64_u32 v[8:9], s[2:3], v12, s39, 0
	v_mul_hi_u32 v11, v12, s45
	v_addc_co_u32_e32 v10, vcc, v7, v3, vcc
	v_xor_b32_e32 v13, v10, v3
	v_add_co_u32_e32 v14, vcc, v11, v8
	v_addc_co_u32_e32 v15, vcc, 0, v9, vcc
	v_mad_u64_u32 v[8:9], s[2:3], v13, s45, 0
	v_mad_u64_u32 v[10:11], s[2:3], v13, s39, 0
	v_add_co_u32_e32 v8, vcc, v14, v8
	v_addc_co_u32_e32 v8, vcc, v15, v9, vcc
	v_addc_co_u32_e32 v9, vcc, 0, v11, vcc
	v_add_co_u32_e32 v10, vcc, v8, v10
	v_addc_co_u32_e32 v11, vcc, 0, v9, vcc
	v_mul_lo_u32 v14, s41, v10
	v_mul_lo_u32 v15, s40, v11
	v_mad_u64_u32 v[8:9], s[2:3], s40, v10, 0
	v_xor_b32_e32 v3, s38, v3
	v_add3_u32 v9, v9, v15, v14
	v_sub_u32_e32 v14, v13, v9
	v_mov_b32_e32 v15, s41
	v_sub_co_u32_e32 v8, vcc, v12, v8
	v_subb_co_u32_e64 v12, s[2:3], v14, v15, vcc
	v_subrev_co_u32_e64 v14, s[2:3], s40, v8
	v_subbrev_co_u32_e64 v12, s[2:3], 0, v12, s[2:3]
	v_cmp_le_u32_e64 s[2:3], s41, v12
	v_cndmask_b32_e64 v15, 0, -1, s[2:3]
	v_cmp_le_u32_e64 s[2:3], s40, v14
	v_cndmask_b32_e64 v14, 0, -1, s[2:3]
	v_cmp_eq_u32_e64 s[2:3], s41, v12
	v_cndmask_b32_e64 v12, v15, v14, s[2:3]
	v_add_co_u32_e64 v14, s[2:3], 2, v10
	v_subb_co_u32_e32 v9, vcc, v13, v9, vcc
	v_addc_co_u32_e64 v15, s[2:3], 0, v11, s[2:3]
	v_cmp_le_u32_e32 vcc, s41, v9
	v_add_co_u32_e64 v16, s[2:3], 1, v10
	v_cndmask_b32_e64 v13, 0, -1, vcc
	v_cmp_le_u32_e32 vcc, s40, v8
	v_addc_co_u32_e64 v17, s[2:3], 0, v11, s[2:3]
	v_cndmask_b32_e64 v8, 0, -1, vcc
	v_cmp_eq_u32_e32 vcc, s41, v9
	v_cmp_ne_u32_e64 s[2:3], 0, v12
	v_cndmask_b32_e32 v8, v13, v8, vcc
	v_cndmask_b32_e64 v12, v17, v15, s[2:3]
	v_cmp_ne_u32_e32 vcc, 0, v8
	v_cndmask_b32_e64 v9, v16, v14, s[2:3]
	v_cndmask_b32_e32 v8, v11, v12, vcc
	v_cndmask_b32_e32 v9, v10, v9, vcc
	v_xor_b32_e32 v10, v8, v3
	v_xor_b32_e32 v8, v9, v3
	v_sub_co_u32_e32 v8, vcc, v8, v3
	v_subb_co_u32_e32 v9, vcc, v10, v3, vcc
.LBB1_6:                                ;   in Loop: Header=BB1_4 Depth=2
	s_andn2_saveexec_b64 s[2:3], s[36:37]
	s_cbranch_execz .LBB1_8
; %bb.7:                                ;   in Loop: Header=BB1_4 Depth=2
	v_cvt_f32_u32_e32 v3, s34
	s_sub_i32 s36, 0, s34
	v_rcp_iflag_f32_e32 v3, v3
	v_mul_f32_e32 v3, 0x4f7ffffe, v3
	v_cvt_u32_f32_e32 v3, v3
	v_mul_lo_u32 v8, s36, v3
	v_mul_hi_u32 v8, v3, v8
	v_add_u32_e32 v3, v3, v8
	v_mul_hi_u32 v3, v6, v3
	v_mul_lo_u32 v8, v3, s34
	v_add_u32_e32 v9, 1, v3
	v_sub_u32_e32 v8, v6, v8
	v_subrev_u32_e32 v10, s34, v8
	v_cmp_le_u32_e32 vcc, s34, v8
	v_cndmask_b32_e32 v8, v8, v10, vcc
	v_cndmask_b32_e32 v3, v3, v9, vcc
	v_add_u32_e32 v9, 1, v3
	v_cmp_le_u32_e32 vcc, s34, v8
	v_cndmask_b32_e32 v8, v3, v9, vcc
	v_mov_b32_e32 v9, v2
.LBB1_8:                                ;   in Loop: Header=BB1_4 Depth=2
	s_or_b64 exec, exec, s[2:3]
	v_mul_lo_u32 v3, v9, s34
	v_mul_lo_u32 v12, v8, s35
	v_mad_u64_u32 v[10:11], s[2:3], v8, s34, 0
	s_load_dwordx2 s[2:3], s[30:31], 0xc8
	s_add_i32 s4, s4, -1
	v_add3_u32 v3, v11, v12, v3
	v_sub_co_u32_e32 v6, vcc, v6, v10
	v_subb_co_u32_e32 v3, vcc, v7, v3, vcc
	s_waitcnt lgkmcnt(0)
	v_mul_lo_u32 v3, s2, v3
	v_mul_lo_u32 v7, s3, v6
	v_mad_u64_u32 v[4:5], s[2:3], s2, v6, v[4:5]
	s_add_u32 s30, s30, -8
	s_addc_u32 s31, s31, -1
	s_cmp_gt_u32 s4, 2
	v_add3_u32 v5, v7, v5, v3
	s_cbranch_scc0 .LBB1_10
; %bb.9:                                ;   in Loop: Header=BB1_4 Depth=2
	v_mov_b32_e32 v6, v8
	v_mov_b32_e32 v7, v9
	s_branch .LBB1_4
.LBB1_10:                               ;   in Loop: Header=BB1_3 Depth=1
	s_waitcnt lgkmcnt(0)
	v_mov_b32_e32 v6, s24
	v_mov_b32_e32 v7, s25
	v_mul_lo_u32 v3, s22, v9
	v_mul_lo_u32 v9, s23, v8
	v_mad_u64_u32 v[6:7], s[2:3], s22, v8, v[6:7]
	v_add3_u32 v7, v9, v7, v3
	v_add_co_u32_e32 v3, vcc, v6, v4
	v_addc_co_u32_e32 v4, vcc, v7, v5, vcc
	global_load_ubyte v3, v[3:4], off
	v_mov_b32_e32 v4, s5
	s_waitcnt vmcnt(0)
	v_and_b32_e32 v3, 0xffff, v3
	v_cmp_le_i64_e32 vcc, s[10:11], v[3:4]
	v_cmp_ge_i64_e64 s[2:3], s[12:13], v[3:4]
	s_and_b64 s[2:3], vcc, s[2:3]
	s_and_saveexec_b64 s[30:31], s[2:3]
	s_cbranch_execz .LBB1_2
; %bb.11:                               ;   in Loop: Header=BB1_3 Depth=1
	v_mov_b32_e32 v4, s11
	v_subrev_co_u32_e32 v3, vcc, s10, v3
	v_subb_co_u32_e32 v4, vcc, 0, v4, vcc
	v_mul_lo_u32 v6, v4, s8
	v_mul_lo_u32 v7, v3, s9
	v_mad_u64_u32 v[4:5], s[2:3], v3, s8, 0
	v_add3_u32 v5, v5, v7, v6
	v_or_b32_e32 v3, s42, v5
	v_cmp_ne_u64_e32 vcc, 0, v[2:3]
                                        ; implicit-def: $vgpr6_vgpr7
	s_and_saveexec_b64 s[2:3], vcc
	s_xor_b64 s[34:35], exec, s[2:3]
	s_cbranch_execz .LBB1_13
; %bb.12:                               ;   in Loop: Header=BB1_3 Depth=1
	s_ashr_i32 s36, s42, 31
	s_add_u32 s2, s33, s36
	s_mov_b32 s37, s36
	s_addc_u32 s3, s42, s36
	s_xor_b64 s[38:39], s[2:3], s[36:37]
	v_cvt_f32_u32_e32 v3, s38
	v_cvt_f32_u32_e32 v6, s39
	s_sub_u32 s4, 0, s38
	s_subb_u32 s37, 0, s39
	v_ashrrev_i32_e32 v7, 31, v5
	v_mac_f32_e32 v3, 0x4f800000, v6
	v_rcp_f32_e32 v3, v3
	v_mul_f32_e32 v3, 0x5f7ffffc, v3
	v_mul_f32_e32 v6, 0x2f800000, v3
	v_trunc_f32_e32 v6, v6
	v_mac_f32_e32 v3, 0xcf800000, v6
	v_cvt_u32_f32_e32 v6, v6
	v_cvt_u32_f32_e32 v3, v3
	v_readfirstlane_b32 s40, v6
	v_readfirstlane_b32 s2, v3
	s_mul_i32 s3, s4, s40
	s_mul_hi_u32 s45, s4, s2
	s_mul_i32 s41, s37, s2
	s_add_i32 s3, s45, s3
	s_add_i32 s3, s3, s41
	s_mul_i32 s46, s4, s2
	s_mul_i32 s45, s2, s3
	s_mul_hi_u32 s47, s2, s46
	s_mul_hi_u32 s41, s2, s3
	s_add_u32 s45, s47, s45
	s_addc_u32 s41, 0, s41
	s_mul_hi_u32 s48, s40, s46
	s_mul_i32 s46, s40, s46
	s_add_u32 s45, s45, s46
	s_mul_hi_u32 s47, s40, s3
	s_addc_u32 s41, s41, s48
	s_addc_u32 s45, s47, 0
	s_mul_i32 s3, s40, s3
	s_add_u32 s3, s41, s3
	s_addc_u32 s41, 0, s45
	s_add_u32 s45, s2, s3
	s_cselect_b64 s[2:3], -1, 0
	s_cmp_lg_u64 s[2:3], 0
	s_addc_u32 s40, s40, s41
	s_mul_i32 s2, s4, s40
	s_mul_hi_u32 s3, s4, s45
	s_add_i32 s2, s3, s2
	s_mul_i32 s37, s37, s45
	s_add_i32 s2, s2, s37
	s_mul_i32 s4, s4, s45
	s_mul_hi_u32 s37, s40, s4
	s_mul_i32 s41, s40, s4
	s_mul_i32 s47, s45, s2
	s_mul_hi_u32 s4, s45, s4
	s_mul_hi_u32 s46, s45, s2
	s_add_u32 s4, s4, s47
	s_addc_u32 s46, 0, s46
	s_add_u32 s4, s4, s41
	s_mul_hi_u32 s3, s40, s2
	s_addc_u32 s4, s46, s37
	s_addc_u32 s3, s3, 0
	s_mul_i32 s2, s40, s2
	s_add_u32 s2, s4, s2
	s_addc_u32 s4, 0, s3
	s_add_u32 s37, s45, s2
	s_cselect_b64 s[2:3], -1, 0
	s_cmp_lg_u64 s[2:3], 0
	v_add_co_u32_e32 v3, vcc, v4, v7
	s_addc_u32 s4, s40, s4
	v_xor_b32_e32 v8, v3, v7
	v_mad_u64_u32 v[3:4], s[2:3], v8, s4, 0
	v_mul_hi_u32 v6, v8, s37
	v_addc_co_u32_e32 v5, vcc, v5, v7, vcc
	v_xor_b32_e32 v9, v5, v7
	v_add_co_u32_e32 v10, vcc, v6, v3
	v_addc_co_u32_e32 v11, vcc, 0, v4, vcc
	v_mad_u64_u32 v[3:4], s[2:3], v9, s37, 0
	v_mad_u64_u32 v[5:6], s[2:3], v9, s4, 0
	v_add_co_u32_e32 v3, vcc, v10, v3
	v_addc_co_u32_e32 v3, vcc, v11, v4, vcc
	v_addc_co_u32_e32 v4, vcc, 0, v6, vcc
	v_add_co_u32_e32 v5, vcc, v3, v5
	v_addc_co_u32_e32 v3, vcc, 0, v4, vcc
	v_mul_lo_u32 v6, s39, v5
	v_mul_lo_u32 v10, s38, v3
	v_mad_u64_u32 v[3:4], s[2:3], s38, v5, 0
	v_add3_u32 v4, v4, v10, v6
	v_sub_u32_e32 v6, v9, v4
	v_mov_b32_e32 v10, s39
	v_sub_co_u32_e32 v3, vcc, v8, v3
	v_subb_co_u32_e64 v6, s[2:3], v6, v10, vcc
	v_subrev_co_u32_e64 v8, s[2:3], s38, v3
	v_subbrev_co_u32_e64 v6, s[2:3], 0, v6, s[2:3]
	v_cmp_le_u32_e64 s[2:3], s39, v6
	v_subb_co_u32_e32 v4, vcc, v9, v4, vcc
	v_cndmask_b32_e64 v10, 0, -1, s[2:3]
	v_cmp_le_u32_e64 s[2:3], s38, v8
	v_cmp_le_u32_e32 vcc, s39, v4
	v_cndmask_b32_e64 v8, 0, -1, s[2:3]
	v_cmp_eq_u32_e64 s[2:3], s39, v6
	v_cndmask_b32_e64 v9, 0, -1, vcc
	v_cmp_le_u32_e32 vcc, s38, v3
	v_cndmask_b32_e64 v6, v10, v8, s[2:3]
	v_cndmask_b32_e64 v3, 0, -1, vcc
	v_cmp_eq_u32_e32 vcc, s39, v4
	v_add_co_u32_e64 v8, s[2:3], 2, v5
	v_add_co_u32_e64 v10, s[2:3], 1, v5
	v_cndmask_b32_e32 v3, v9, v3, vcc
	v_cmp_ne_u32_e32 vcc, 0, v6
	v_cndmask_b32_e32 v4, v10, v8, vcc
	v_cmp_ne_u32_e32 vcc, 0, v3
	v_cndmask_b32_e32 v3, v5, v4, vcc
	v_xor_b32_e32 v4, s36, v7
	v_xor_b32_e32 v3, v3, v4
	v_sub_co_u32_e32 v6, vcc, v3, v4
                                        ; implicit-def: $vgpr4_vgpr5
.LBB1_13:                               ;   in Loop: Header=BB1_3 Depth=1
	s_andn2_saveexec_b64 s[2:3], s[34:35]
	s_cbranch_execz .LBB1_15
; %bb.14:                               ;   in Loop: Header=BB1_3 Depth=1
	v_cvt_f32_u32_e32 v3, s33
	s_sub_i32 s4, 0, s33
	v_rcp_iflag_f32_e32 v3, v3
	v_mul_f32_e32 v3, 0x4f7ffffe, v3
	v_cvt_u32_f32_e32 v3, v3
	v_mul_lo_u32 v5, s4, v3
	v_mul_hi_u32 v5, v3, v5
	v_add_u32_e32 v3, v3, v5
	v_mul_hi_u32 v3, v4, v3
	v_mul_lo_u32 v5, v3, s33
	v_add_u32_e32 v6, 1, v3
	v_sub_u32_e32 v4, v4, v5
	v_subrev_u32_e32 v5, s33, v4
	v_cmp_le_u32_e32 vcc, s33, v4
	v_cndmask_b32_e32 v4, v4, v5, vcc
	v_cndmask_b32_e32 v3, v3, v6, vcc
	v_add_u32_e32 v5, 1, v3
	v_cmp_le_u32_e32 vcc, s33, v4
	v_cndmask_b32_e32 v6, v3, v5, vcc
.LBB1_15:                               ;   in Loop: Header=BB1_3 Depth=1
	s_or_b64 exec, exec, s[2:3]
	v_ashrrev_i32_e32 v7, 31, v6
	v_cmp_eq_u64_e32 vcc, s[8:9], v[6:7]
	v_mul_lo_u32 v8, v1, s6
	v_cndmask_b32_e64 v3, 0, 1, vcc
	v_sub_co_u32_e32 v3, vcc, v6, v3
	v_subbrev_co_u32_e32 v4, vcc, 0, v7, vcc
	v_mul_lo_u32 v5, v4, s20
	v_mul_lo_u32 v6, v3, s21
	v_mad_u64_u32 v[3:4], s[2:3], v3, s20, 0
	v_mul_lo_u32 v9, v0, s7
	v_mov_b32_e32 v7, s19
	v_add3_u32 v4, v4, v6, v5
	v_mad_u64_u32 v[5:6], s[2:3], v0, s6, 0
	v_lshlrev_b64 v[3:4], 2, v[3:4]
	s_mov_b64 s[2:3], 0
	v_add3_u32 v6, v6, v9, v8
	v_add_co_u32_e32 v3, vcc, s18, v3
	v_lshlrev_b64 v[5:6], 2, v[5:6]
	v_addc_co_u32_e32 v4, vcc, v7, v4, vcc
	v_mov_b32_e32 v7, s17
	v_add_co_u32_e32 v8, vcc, s16, v5
	v_addc_co_u32_e32 v9, vcc, v7, v6, vcc
	global_load_dword v7, v[8:9], off
	global_load_dword v6, v[3:4], off
.LBB1_16:                               ;   Parent Loop BB1_3 Depth=1
                                        ; =>  This Inner Loop Header: Depth=2
	s_waitcnt vmcnt(0)
	v_add_f32_e32 v5, v6, v7
	global_atomic_cmpswap v5, v[3:4], v[5:6], off glc
	s_waitcnt vmcnt(0)
	v_cmp_eq_u32_e32 vcc, v5, v6
	s_or_b64 s[2:3], vcc, s[2:3]
	v_mov_b32_e32 v6, v5
	s_andn2_b64 exec, exec, s[2:3]
	s_cbranch_execnz .LBB1_16
	s_branch .LBB1_2
.LBB1_17:
	s_endpgm
	.section	.rodata,"a",@progbits
	.p2align	6, 0x0
	.amdhsa_kernel _ZN2at4cuda17kernelHistogram1DIfhlLi1ELi2ELin1ELNS0_23CUDAHistogramMemoryTypeE1EZNS0_21CUDA_tensor_histogramIfhLb1EEEbNS_6TensorES4_S4_lNS_14AccumulateTypeIT0_Lb1EE4typeES8_NS0_13TensorArgTypeES9_S9_EUllE_EEvNS0_6detail10TensorInfoIT_T1_EESF_NSC_IKS6_SE_EElS8_S8_SE_T6_
		.amdhsa_group_segment_fixed_size 0
		.amdhsa_private_segment_fixed_size 0
		.amdhsa_kernarg_size 1952
		.amdhsa_user_sgpr_count 6
		.amdhsa_user_sgpr_private_segment_buffer 1
		.amdhsa_user_sgpr_dispatch_ptr 0
		.amdhsa_user_sgpr_queue_ptr 0
		.amdhsa_user_sgpr_kernarg_segment_ptr 1
		.amdhsa_user_sgpr_dispatch_id 0
		.amdhsa_user_sgpr_flat_scratch_init 0
		.amdhsa_user_sgpr_private_segment_size 0
		.amdhsa_uses_dynamic_stack 0
		.amdhsa_system_sgpr_private_segment_wavefront_offset 0
		.amdhsa_system_sgpr_workgroup_id_x 1
		.amdhsa_system_sgpr_workgroup_id_y 0
		.amdhsa_system_sgpr_workgroup_id_z 0
		.amdhsa_system_sgpr_workgroup_info 0
		.amdhsa_system_vgpr_workitem_id 0
		.amdhsa_next_free_vgpr 18
		.amdhsa_next_free_sgpr 52
		.amdhsa_reserve_vcc 1
		.amdhsa_reserve_flat_scratch 0
		.amdhsa_float_round_mode_32 0
		.amdhsa_float_round_mode_16_64 0
		.amdhsa_float_denorm_mode_32 3
		.amdhsa_float_denorm_mode_16_64 3
		.amdhsa_dx10_clamp 1
		.amdhsa_ieee_mode 1
		.amdhsa_fp16_overflow 0
		.amdhsa_exception_fp_ieee_invalid_op 0
		.amdhsa_exception_fp_denorm_src 0
		.amdhsa_exception_fp_ieee_div_zero 0
		.amdhsa_exception_fp_ieee_overflow 0
		.amdhsa_exception_fp_ieee_underflow 0
		.amdhsa_exception_fp_ieee_inexact 0
		.amdhsa_exception_int_div_zero 0
	.end_amdhsa_kernel
	.section	.text._ZN2at4cuda17kernelHistogram1DIfhlLi1ELi2ELin1ELNS0_23CUDAHistogramMemoryTypeE1EZNS0_21CUDA_tensor_histogramIfhLb1EEEbNS_6TensorES4_S4_lNS_14AccumulateTypeIT0_Lb1EE4typeES8_NS0_13TensorArgTypeES9_S9_EUllE_EEvNS0_6detail10TensorInfoIT_T1_EESF_NSC_IKS6_SE_EElS8_S8_SE_T6_,"axG",@progbits,_ZN2at4cuda17kernelHistogram1DIfhlLi1ELi2ELin1ELNS0_23CUDAHistogramMemoryTypeE1EZNS0_21CUDA_tensor_histogramIfhLb1EEEbNS_6TensorES4_S4_lNS_14AccumulateTypeIT0_Lb1EE4typeES8_NS0_13TensorArgTypeES9_S9_EUllE_EEvNS0_6detail10TensorInfoIT_T1_EESF_NSC_IKS6_SE_EElS8_S8_SE_T6_,comdat
.Lfunc_end1:
	.size	_ZN2at4cuda17kernelHistogram1DIfhlLi1ELi2ELin1ELNS0_23CUDAHistogramMemoryTypeE1EZNS0_21CUDA_tensor_histogramIfhLb1EEEbNS_6TensorES4_S4_lNS_14AccumulateTypeIT0_Lb1EE4typeES8_NS0_13TensorArgTypeES9_S9_EUllE_EEvNS0_6detail10TensorInfoIT_T1_EESF_NSC_IKS6_SE_EElS8_S8_SE_T6_, .Lfunc_end1-_ZN2at4cuda17kernelHistogram1DIfhlLi1ELi2ELin1ELNS0_23CUDAHistogramMemoryTypeE1EZNS0_21CUDA_tensor_histogramIfhLb1EEEbNS_6TensorES4_S4_lNS_14AccumulateTypeIT0_Lb1EE4typeES8_NS0_13TensorArgTypeES9_S9_EUllE_EEvNS0_6detail10TensorInfoIT_T1_EESF_NSC_IKS6_SE_EElS8_S8_SE_T6_
                                        ; -- End function
	.set _ZN2at4cuda17kernelHistogram1DIfhlLi1ELi2ELin1ELNS0_23CUDAHistogramMemoryTypeE1EZNS0_21CUDA_tensor_histogramIfhLb1EEEbNS_6TensorES4_S4_lNS_14AccumulateTypeIT0_Lb1EE4typeES8_NS0_13TensorArgTypeES9_S9_EUllE_EEvNS0_6detail10TensorInfoIT_T1_EESF_NSC_IKS6_SE_EElS8_S8_SE_T6_.num_vgpr, 18
	.set _ZN2at4cuda17kernelHistogram1DIfhlLi1ELi2ELin1ELNS0_23CUDAHistogramMemoryTypeE1EZNS0_21CUDA_tensor_histogramIfhLb1EEEbNS_6TensorES4_S4_lNS_14AccumulateTypeIT0_Lb1EE4typeES8_NS0_13TensorArgTypeES9_S9_EUllE_EEvNS0_6detail10TensorInfoIT_T1_EESF_NSC_IKS6_SE_EElS8_S8_SE_T6_.num_agpr, 0
	.set _ZN2at4cuda17kernelHistogram1DIfhlLi1ELi2ELin1ELNS0_23CUDAHistogramMemoryTypeE1EZNS0_21CUDA_tensor_histogramIfhLb1EEEbNS_6TensorES4_S4_lNS_14AccumulateTypeIT0_Lb1EE4typeES8_NS0_13TensorArgTypeES9_S9_EUllE_EEvNS0_6detail10TensorInfoIT_T1_EESF_NSC_IKS6_SE_EElS8_S8_SE_T6_.numbered_sgpr, 52
	.set _ZN2at4cuda17kernelHistogram1DIfhlLi1ELi2ELin1ELNS0_23CUDAHistogramMemoryTypeE1EZNS0_21CUDA_tensor_histogramIfhLb1EEEbNS_6TensorES4_S4_lNS_14AccumulateTypeIT0_Lb1EE4typeES8_NS0_13TensorArgTypeES9_S9_EUllE_EEvNS0_6detail10TensorInfoIT_T1_EESF_NSC_IKS6_SE_EElS8_S8_SE_T6_.num_named_barrier, 0
	.set _ZN2at4cuda17kernelHistogram1DIfhlLi1ELi2ELin1ELNS0_23CUDAHistogramMemoryTypeE1EZNS0_21CUDA_tensor_histogramIfhLb1EEEbNS_6TensorES4_S4_lNS_14AccumulateTypeIT0_Lb1EE4typeES8_NS0_13TensorArgTypeES9_S9_EUllE_EEvNS0_6detail10TensorInfoIT_T1_EESF_NSC_IKS6_SE_EElS8_S8_SE_T6_.private_seg_size, 0
	.set _ZN2at4cuda17kernelHistogram1DIfhlLi1ELi2ELin1ELNS0_23CUDAHistogramMemoryTypeE1EZNS0_21CUDA_tensor_histogramIfhLb1EEEbNS_6TensorES4_S4_lNS_14AccumulateTypeIT0_Lb1EE4typeES8_NS0_13TensorArgTypeES9_S9_EUllE_EEvNS0_6detail10TensorInfoIT_T1_EESF_NSC_IKS6_SE_EElS8_S8_SE_T6_.uses_vcc, 1
	.set _ZN2at4cuda17kernelHistogram1DIfhlLi1ELi2ELin1ELNS0_23CUDAHistogramMemoryTypeE1EZNS0_21CUDA_tensor_histogramIfhLb1EEEbNS_6TensorES4_S4_lNS_14AccumulateTypeIT0_Lb1EE4typeES8_NS0_13TensorArgTypeES9_S9_EUllE_EEvNS0_6detail10TensorInfoIT_T1_EESF_NSC_IKS6_SE_EElS8_S8_SE_T6_.uses_flat_scratch, 0
	.set _ZN2at4cuda17kernelHistogram1DIfhlLi1ELi2ELin1ELNS0_23CUDAHistogramMemoryTypeE1EZNS0_21CUDA_tensor_histogramIfhLb1EEEbNS_6TensorES4_S4_lNS_14AccumulateTypeIT0_Lb1EE4typeES8_NS0_13TensorArgTypeES9_S9_EUllE_EEvNS0_6detail10TensorInfoIT_T1_EESF_NSC_IKS6_SE_EElS8_S8_SE_T6_.has_dyn_sized_stack, 0
	.set _ZN2at4cuda17kernelHistogram1DIfhlLi1ELi2ELin1ELNS0_23CUDAHistogramMemoryTypeE1EZNS0_21CUDA_tensor_histogramIfhLb1EEEbNS_6TensorES4_S4_lNS_14AccumulateTypeIT0_Lb1EE4typeES8_NS0_13TensorArgTypeES9_S9_EUllE_EEvNS0_6detail10TensorInfoIT_T1_EESF_NSC_IKS6_SE_EElS8_S8_SE_T6_.has_recursion, 0
	.set _ZN2at4cuda17kernelHistogram1DIfhlLi1ELi2ELin1ELNS0_23CUDAHistogramMemoryTypeE1EZNS0_21CUDA_tensor_histogramIfhLb1EEEbNS_6TensorES4_S4_lNS_14AccumulateTypeIT0_Lb1EE4typeES8_NS0_13TensorArgTypeES9_S9_EUllE_EEvNS0_6detail10TensorInfoIT_T1_EESF_NSC_IKS6_SE_EElS8_S8_SE_T6_.has_indirect_call, 0
	.section	.AMDGPU.csdata,"",@progbits
; Kernel info:
; codeLenInByte = 2184
; TotalNumSgprs: 56
; NumVgprs: 18
; ScratchSize: 0
; MemoryBound: 0
; FloatMode: 240
; IeeeMode: 1
; LDSByteSize: 0 bytes/workgroup (compile time only)
; SGPRBlocks: 6
; VGPRBlocks: 4
; NumSGPRsForWavesPerEU: 56
; NumVGPRsForWavesPerEU: 18
; Occupancy: 10
; WaveLimiterHint : 1
; COMPUTE_PGM_RSRC2:SCRATCH_EN: 0
; COMPUTE_PGM_RSRC2:USER_SGPR: 6
; COMPUTE_PGM_RSRC2:TRAP_HANDLER: 0
; COMPUTE_PGM_RSRC2:TGID_X_EN: 1
; COMPUTE_PGM_RSRC2:TGID_Y_EN: 0
; COMPUTE_PGM_RSRC2:TGID_Z_EN: 0
; COMPUTE_PGM_RSRC2:TIDIG_COMP_CNT: 0
	.section	.text._ZN2at4cuda17kernelHistogram1DIfhlLi1ELi2ELin1ELNS0_23CUDAHistogramMemoryTypeE0EZNS0_21CUDA_tensor_histogramIfhLb1EEEbNS_6TensorES4_S4_lNS_14AccumulateTypeIT0_Lb1EE4typeES8_NS0_13TensorArgTypeES9_S9_EUllE0_EEvNS0_6detail10TensorInfoIT_T1_EESF_NSC_IKS6_SE_EElS8_S8_SE_T6_,"axG",@progbits,_ZN2at4cuda17kernelHistogram1DIfhlLi1ELi2ELin1ELNS0_23CUDAHistogramMemoryTypeE0EZNS0_21CUDA_tensor_histogramIfhLb1EEEbNS_6TensorES4_S4_lNS_14AccumulateTypeIT0_Lb1EE4typeES8_NS0_13TensorArgTypeES9_S9_EUllE0_EEvNS0_6detail10TensorInfoIT_T1_EESF_NSC_IKS6_SE_EElS8_S8_SE_T6_,comdat
	.protected	_ZN2at4cuda17kernelHistogram1DIfhlLi1ELi2ELin1ELNS0_23CUDAHistogramMemoryTypeE0EZNS0_21CUDA_tensor_histogramIfhLb1EEEbNS_6TensorES4_S4_lNS_14AccumulateTypeIT0_Lb1EE4typeES8_NS0_13TensorArgTypeES9_S9_EUllE0_EEvNS0_6detail10TensorInfoIT_T1_EESF_NSC_IKS6_SE_EElS8_S8_SE_T6_ ; -- Begin function _ZN2at4cuda17kernelHistogram1DIfhlLi1ELi2ELin1ELNS0_23CUDAHistogramMemoryTypeE0EZNS0_21CUDA_tensor_histogramIfhLb1EEEbNS_6TensorES4_S4_lNS_14AccumulateTypeIT0_Lb1EE4typeES8_NS0_13TensorArgTypeES9_S9_EUllE0_EEvNS0_6detail10TensorInfoIT_T1_EESF_NSC_IKS6_SE_EElS8_S8_SE_T6_
	.globl	_ZN2at4cuda17kernelHistogram1DIfhlLi1ELi2ELin1ELNS0_23CUDAHistogramMemoryTypeE0EZNS0_21CUDA_tensor_histogramIfhLb1EEEbNS_6TensorES4_S4_lNS_14AccumulateTypeIT0_Lb1EE4typeES8_NS0_13TensorArgTypeES9_S9_EUllE0_EEvNS0_6detail10TensorInfoIT_T1_EESF_NSC_IKS6_SE_EElS8_S8_SE_T6_
	.p2align	8
	.type	_ZN2at4cuda17kernelHistogram1DIfhlLi1ELi2ELin1ELNS0_23CUDAHistogramMemoryTypeE0EZNS0_21CUDA_tensor_histogramIfhLb1EEEbNS_6TensorES4_S4_lNS_14AccumulateTypeIT0_Lb1EE4typeES8_NS0_13TensorArgTypeES9_S9_EUllE0_EEvNS0_6detail10TensorInfoIT_T1_EESF_NSC_IKS6_SE_EElS8_S8_SE_T6_,@function
_ZN2at4cuda17kernelHistogram1DIfhlLi1ELi2ELin1ELNS0_23CUDAHistogramMemoryTypeE0EZNS0_21CUDA_tensor_histogramIfhLb1EEEbNS_6TensorES4_S4_lNS_14AccumulateTypeIT0_Lb1EE4typeES8_NS0_13TensorArgTypeES9_S9_EUllE0_EEvNS0_6detail10TensorInfoIT_T1_EESF_NSC_IKS6_SE_EElS8_S8_SE_T6_: ; @_ZN2at4cuda17kernelHistogram1DIfhlLi1ELi2ELin1ELNS0_23CUDAHistogramMemoryTypeE0EZNS0_21CUDA_tensor_histogramIfhLb1EEEbNS_6TensorES4_S4_lNS_14AccumulateTypeIT0_Lb1EE4typeES8_NS0_13TensorArgTypeES9_S9_EUllE0_EEvNS0_6detail10TensorInfoIT_T1_EESF_NSC_IKS6_SE_EElS8_S8_SE_T6_
; %bb.0:
	s_load_dwordx4 s[16:19], s[4:5], 0x0
	v_mov_b32_e32 v1, 0
	s_add_u32 s2, s4, 0x508
	s_addc_u32 s3, s5, 0
                                        ; implicit-def: $sgpr10
                                        ; implicit-def: $sgpr7
	s_waitcnt lgkmcnt(0)
	v_cmp_gt_i64_e64 s[0:1], s[18:19], v[0:1]
	v_cmp_le_i64_e32 vcc, s[18:19], v[0:1]
	s_and_saveexec_b64 s[8:9], vcc
	s_xor_b64 s[8:9], exec, s[8:9]
	s_cbranch_execz .LBB2_2
; %bb.1:
	s_load_dword s10, s[2:3], 0xc
	s_waitcnt lgkmcnt(0)
	s_and_b32 s7, s10, 0xffff
.LBB2_2:
	s_or_saveexec_b64 s[8:9], s[8:9]
	s_load_dwordx2 s[20:21], s[4:5], 0xd0
	v_mov_b32_e32 v12, s10
	v_mov_b32_e32 v5, s7
	s_xor_b64 exec, exec, s[8:9]
	s_cbranch_execz .LBB2_6
; %bb.3:
	s_load_dword s7, s[2:3], 0xc
	v_mov_b32_e32 v3, v1
	v_lshl_add_u32 v4, v0, 2, 0
	s_mov_b64 s[10:11], 0
	v_mov_b32_e32 v5, 0
	s_waitcnt lgkmcnt(0)
	s_and_b32 s12, s7, 0xffff
	s_lshl_b32 s13, s12, 2
	v_mov_b32_e32 v2, v0
.LBB2_4:                                ; =>This Inner Loop Header: Depth=1
	v_add_co_u32_e32 v2, vcc, s12, v2
	v_addc_co_u32_e32 v3, vcc, 0, v3, vcc
	v_cmp_le_i64_e32 vcc, s[18:19], v[2:3]
	ds_write_b32 v4, v5
	s_or_b64 s[10:11], vcc, s[10:11]
	v_add_u32_e32 v4, s13, v4
	s_andn2_b64 exec, exec, s[10:11]
	s_cbranch_execnz .LBB2_4
; %bb.5:
	s_or_b64 exec, exec, s[10:11]
	v_mov_b32_e32 v12, s7
	v_mov_b32_e32 v5, s12
.LBB2_6:
	s_or_b64 exec, exec, s[8:9]
	s_load_dwordx8 s[8:15], s[4:5], 0x4e0
	v_mad_u64_u32 v[2:3], s[6:7], s6, v5, v[0:1]
	v_mov_b32_e32 v4, 0
	v_mov_b32_e32 v3, v4
	s_waitcnt lgkmcnt(0)
	v_cmp_gt_i64_e32 vcc, s[14:15], v[2:3]
	s_barrier
	s_and_saveexec_b64 s[6:7], vcc
	s_cbranch_execz .LBB2_22
; %bb.7:
	s_load_dword s26, s[4:5], 0x4d8
	s_load_dwordx2 s[24:25], s[4:5], 0x340
	s_add_u32 s28, s4, 0x340
	s_load_dword s27, s[2:3], 0x0
	s_load_dwordx2 s[22:23], s[4:5], 0x410
	s_addc_u32 s29, s5, 0
	s_waitcnt lgkmcnt(0)
	s_cmp_gt_i32 s26, 1
	s_cselect_b64 s[2:3], -1, 0
	s_sub_u32 s33, s12, s10
	s_subb_u32 s44, s13, s11
	v_mul_lo_u32 v13, s27, v5
	s_mov_b32 s27, 0
	s_add_i32 s45, s26, 1
	s_add_i32 s26, s26, -1
	s_lshl_b64 s[4:5], s[26:27], 3
	s_add_u32 s4, s28, s4
	s_addc_u32 s5, s29, s5
	s_add_u32 s28, s4, 8
	v_cndmask_b32_e64 v5, 0, 1, s[2:3]
	s_addc_u32 s29, s5, 0
	s_mov_b64 s[30:31], 0
	v_mov_b32_e32 v14, 1.0
	v_cmp_ne_u32_e64 s[2:3], 1, v5
	s_branch .LBB2_10
.LBB2_8:                                ;   in Loop: Header=BB2_10 Depth=1
	s_or_b64 exec, exec, s[4:5]
	v_ashrrev_i32_e32 v9, 31, v8
	v_cmp_eq_u64_e32 vcc, s[8:9], v[8:9]
	v_subbrev_co_u32_e32 v5, vcc, 0, v8, vcc
	v_lshl_add_u32 v5, v5, 2, 0
	ds_add_f32 v5, v14
.LBB2_9:                                ;   in Loop: Header=BB2_10 Depth=1
	s_or_b64 exec, exec, s[34:35]
	v_add_co_u32_e32 v2, vcc, v2, v13
	v_addc_co_u32_e32 v3, vcc, 0, v3, vcc
	v_cmp_le_i64_e32 vcc, s[14:15], v[2:3]
	s_or_b64 s[30:31], vcc, s[30:31]
	s_andn2_b64 exec, exec, s[30:31]
	s_cbranch_execz .LBB2_22
.LBB2_10:                               ; =>This Loop Header: Depth=1
                                        ;     Child Loop BB2_11 Depth 2
	v_mov_b32_e32 v6, 0
	v_mov_b32_e32 v9, v3
	;; [unrolled: 1-line block ×4, first 2 shown]
	s_and_b64 vcc, exec, s[2:3]
	s_mov_b64 s[34:35], s[28:29]
	s_mov_b32 s26, s45
	v_mov_b32_e32 v8, v2
	v_mov_b32_e32 v10, v2
	s_cbranch_vccnz .LBB2_17
.LBB2_11:                               ;   Parent Loop BB2_10 Depth=1
                                        ; =>  This Inner Loop Header: Depth=2
	s_load_dwordx2 s[36:37], s[34:35], 0x0
                                        ; implicit-def: $vgpr10_vgpr11
	s_waitcnt lgkmcnt(0)
	v_or_b32_e32 v5, s37, v9
	v_cmp_ne_u64_e32 vcc, 0, v[4:5]
	s_and_saveexec_b64 s[4:5], vcc
	s_xor_b64 s[38:39], exec, s[4:5]
	s_cbranch_execz .LBB2_13
; %bb.12:                               ;   in Loop: Header=BB2_11 Depth=2
	s_ashr_i32 s40, s37, 31
	s_add_u32 s4, s36, s40
	s_mov_b32 s41, s40
	s_addc_u32 s5, s37, s40
	s_xor_b64 s[42:43], s[4:5], s[40:41]
	v_cvt_f32_u32_e32 v5, s42
	v_cvt_f32_u32_e32 v10, s43
	s_sub_u32 s41, 0, s42
	s_subb_u32 s46, 0, s43
	v_mac_f32_e32 v5, 0x4f800000, v10
	v_rcp_f32_e32 v5, v5
	v_mul_f32_e32 v5, 0x5f7ffffc, v5
	v_mul_f32_e32 v10, 0x2f800000, v5
	v_trunc_f32_e32 v10, v10
	v_mac_f32_e32 v5, 0xcf800000, v10
	v_cvt_u32_f32_e32 v10, v10
	v_cvt_u32_f32_e32 v5, v5
	v_readfirstlane_b32 s47, v10
	v_readfirstlane_b32 s4, v5
	s_mul_i32 s5, s41, s47
	s_mul_hi_u32 s49, s41, s4
	s_mul_i32 s48, s46, s4
	s_add_i32 s5, s49, s5
	s_add_i32 s5, s5, s48
	s_mul_i32 s50, s41, s4
	s_mul_i32 s49, s4, s5
	s_mul_hi_u32 s51, s4, s50
	s_mul_hi_u32 s48, s4, s5
	s_add_u32 s49, s51, s49
	s_addc_u32 s48, 0, s48
	s_mul_hi_u32 s52, s47, s50
	s_mul_i32 s50, s47, s50
	s_add_u32 s49, s49, s50
	s_mul_hi_u32 s51, s47, s5
	s_addc_u32 s48, s48, s52
	s_addc_u32 s49, s51, 0
	s_mul_i32 s5, s47, s5
	s_add_u32 s5, s48, s5
	s_addc_u32 s48, 0, s49
	s_add_u32 s49, s4, s5
	s_cselect_b64 s[4:5], -1, 0
	s_cmp_lg_u64 s[4:5], 0
	s_addc_u32 s47, s47, s48
	s_mul_i32 s4, s41, s47
	s_mul_hi_u32 s5, s41, s49
	s_add_i32 s4, s5, s4
	s_mul_i32 s46, s46, s49
	s_add_i32 s4, s4, s46
	s_mul_i32 s41, s41, s49
	s_mul_hi_u32 s46, s47, s41
	s_mul_i32 s48, s47, s41
	s_mul_i32 s51, s49, s4
	s_mul_hi_u32 s41, s49, s41
	s_mul_hi_u32 s50, s49, s4
	s_add_u32 s41, s41, s51
	s_addc_u32 s50, 0, s50
	s_add_u32 s41, s41, s48
	s_mul_hi_u32 s5, s47, s4
	s_addc_u32 s41, s50, s46
	s_addc_u32 s5, s5, 0
	s_mul_i32 s4, s47, s4
	s_add_u32 s4, s41, s4
	s_addc_u32 s41, 0, s5
	s_add_u32 s46, s49, s4
	s_cselect_b64 s[4:5], -1, 0
	v_ashrrev_i32_e32 v5, 31, v9
	s_cmp_lg_u64 s[4:5], 0
	v_add_co_u32_e32 v10, vcc, v8, v5
	s_addc_u32 s41, s47, s41
	v_xor_b32_e32 v17, v10, v5
	v_mad_u64_u32 v[10:11], s[4:5], v17, s41, 0
	v_mul_hi_u32 v16, v17, s46
	v_addc_co_u32_e32 v15, vcc, v9, v5, vcc
	v_xor_b32_e32 v18, v15, v5
	v_add_co_u32_e32 v19, vcc, v16, v10
	v_addc_co_u32_e32 v20, vcc, 0, v11, vcc
	v_mad_u64_u32 v[10:11], s[4:5], v18, s46, 0
	v_mad_u64_u32 v[15:16], s[4:5], v18, s41, 0
	v_add_co_u32_e32 v10, vcc, v19, v10
	v_addc_co_u32_e32 v10, vcc, v20, v11, vcc
	v_addc_co_u32_e32 v11, vcc, 0, v16, vcc
	v_add_co_u32_e32 v15, vcc, v10, v15
	v_addc_co_u32_e32 v16, vcc, 0, v11, vcc
	v_mul_lo_u32 v19, s43, v15
	v_mul_lo_u32 v20, s42, v16
	v_mad_u64_u32 v[10:11], s[4:5], s42, v15, 0
	v_xor_b32_e32 v5, s40, v5
	v_add3_u32 v11, v11, v20, v19
	v_sub_u32_e32 v19, v18, v11
	v_mov_b32_e32 v20, s43
	v_sub_co_u32_e32 v10, vcc, v17, v10
	v_subb_co_u32_e64 v17, s[4:5], v19, v20, vcc
	v_subrev_co_u32_e64 v19, s[4:5], s42, v10
	v_subbrev_co_u32_e64 v17, s[4:5], 0, v17, s[4:5]
	v_cmp_le_u32_e64 s[4:5], s43, v17
	v_cndmask_b32_e64 v20, 0, -1, s[4:5]
	v_cmp_le_u32_e64 s[4:5], s42, v19
	v_cndmask_b32_e64 v19, 0, -1, s[4:5]
	v_cmp_eq_u32_e64 s[4:5], s43, v17
	v_cndmask_b32_e64 v17, v20, v19, s[4:5]
	v_add_co_u32_e64 v19, s[4:5], 2, v15
	v_subb_co_u32_e32 v11, vcc, v18, v11, vcc
	v_addc_co_u32_e64 v20, s[4:5], 0, v16, s[4:5]
	v_cmp_le_u32_e32 vcc, s43, v11
	v_add_co_u32_e64 v21, s[4:5], 1, v15
	v_cndmask_b32_e64 v18, 0, -1, vcc
	v_cmp_le_u32_e32 vcc, s42, v10
	v_addc_co_u32_e64 v22, s[4:5], 0, v16, s[4:5]
	v_cndmask_b32_e64 v10, 0, -1, vcc
	v_cmp_eq_u32_e32 vcc, s43, v11
	v_cmp_ne_u32_e64 s[4:5], 0, v17
	v_cndmask_b32_e32 v10, v18, v10, vcc
	v_cndmask_b32_e64 v17, v22, v20, s[4:5]
	v_cmp_ne_u32_e32 vcc, 0, v10
	v_cndmask_b32_e64 v11, v21, v19, s[4:5]
	v_cndmask_b32_e32 v10, v16, v17, vcc
	v_cndmask_b32_e32 v11, v15, v11, vcc
	v_xor_b32_e32 v15, v10, v5
	v_xor_b32_e32 v10, v11, v5
	v_sub_co_u32_e32 v10, vcc, v10, v5
	v_subb_co_u32_e32 v11, vcc, v15, v5, vcc
.LBB2_13:                               ;   in Loop: Header=BB2_11 Depth=2
	s_andn2_saveexec_b64 s[4:5], s[38:39]
	s_cbranch_execz .LBB2_15
; %bb.14:                               ;   in Loop: Header=BB2_11 Depth=2
	v_cvt_f32_u32_e32 v5, s36
	s_sub_i32 s38, 0, s36
	v_rcp_iflag_f32_e32 v5, v5
	v_mul_f32_e32 v5, 0x4f7ffffe, v5
	v_cvt_u32_f32_e32 v5, v5
	v_mul_lo_u32 v10, s38, v5
	v_mul_hi_u32 v10, v5, v10
	v_add_u32_e32 v5, v5, v10
	v_mul_hi_u32 v5, v8, v5
	v_mul_lo_u32 v10, v5, s36
	v_add_u32_e32 v11, 1, v5
	v_sub_u32_e32 v10, v8, v10
	v_subrev_u32_e32 v15, s36, v10
	v_cmp_le_u32_e32 vcc, s36, v10
	v_cndmask_b32_e32 v10, v10, v15, vcc
	v_cndmask_b32_e32 v5, v5, v11, vcc
	v_add_u32_e32 v11, 1, v5
	v_cmp_le_u32_e32 vcc, s36, v10
	v_cndmask_b32_e32 v10, v5, v11, vcc
	v_mov_b32_e32 v11, v4
.LBB2_15:                               ;   in Loop: Header=BB2_11 Depth=2
	s_or_b64 exec, exec, s[4:5]
	v_mul_lo_u32 v5, v11, s36
	v_mul_lo_u32 v17, v10, s37
	v_mad_u64_u32 v[15:16], s[4:5], v10, s36, 0
	s_load_dwordx2 s[4:5], s[34:35], 0xc8
	s_add_i32 s26, s26, -1
	v_add3_u32 v5, v16, v17, v5
	v_sub_co_u32_e32 v8, vcc, v8, v15
	v_subb_co_u32_e32 v5, vcc, v9, v5, vcc
	s_waitcnt lgkmcnt(0)
	v_mul_lo_u32 v5, s4, v5
	v_mul_lo_u32 v9, s5, v8
	v_mad_u64_u32 v[6:7], s[4:5], s4, v8, v[6:7]
	s_add_u32 s34, s34, -8
	s_addc_u32 s35, s35, -1
	s_cmp_gt_u32 s26, 2
	v_add3_u32 v7, v9, v7, v5
	s_cbranch_scc0 .LBB2_17
; %bb.16:                               ;   in Loop: Header=BB2_11 Depth=2
	v_mov_b32_e32 v8, v10
	v_mov_b32_e32 v9, v11
	s_branch .LBB2_11
.LBB2_17:                               ;   in Loop: Header=BB2_10 Depth=1
	v_mov_b32_e32 v8, s24
	v_mov_b32_e32 v9, s25
	v_mul_lo_u32 v5, s22, v11
	v_mul_lo_u32 v11, s23, v10
	v_mad_u64_u32 v[8:9], s[4:5], s22, v10, v[8:9]
	v_add3_u32 v9, v11, v9, v5
	v_add_co_u32_e32 v5, vcc, v8, v6
	v_addc_co_u32_e32 v6, vcc, v9, v7, vcc
	global_load_ubyte v5, v[5:6], off
	v_mov_b32_e32 v6, s27
	s_waitcnt vmcnt(0)
	v_and_b32_e32 v5, 0xffff, v5
	v_cmp_le_i64_e32 vcc, s[10:11], v[5:6]
	v_cmp_ge_i64_e64 s[4:5], s[12:13], v[5:6]
	s_and_b64 s[4:5], vcc, s[4:5]
	s_and_saveexec_b64 s[34:35], s[4:5]
	s_cbranch_execz .LBB2_9
; %bb.18:                               ;   in Loop: Header=BB2_10 Depth=1
	v_mov_b32_e32 v6, s11
	v_subrev_co_u32_e32 v5, vcc, s10, v5
	v_subb_co_u32_e32 v6, vcc, 0, v6, vcc
	v_mul_lo_u32 v8, v6, s8
	v_mul_lo_u32 v9, v5, s9
	v_mad_u64_u32 v[6:7], s[4:5], v5, s8, 0
	v_add3_u32 v7, v7, v9, v8
	v_or_b32_e32 v5, s44, v7
	v_cmp_ne_u64_e32 vcc, 0, v[4:5]
                                        ; implicit-def: $vgpr8_vgpr9
	s_and_saveexec_b64 s[4:5], vcc
	s_xor_b64 s[36:37], exec, s[4:5]
	s_cbranch_execz .LBB2_20
; %bb.19:                               ;   in Loop: Header=BB2_10 Depth=1
	s_ashr_i32 s38, s44, 31
	s_add_u32 s4, s33, s38
	s_mov_b32 s39, s38
	s_addc_u32 s5, s44, s38
	s_xor_b64 s[40:41], s[4:5], s[38:39]
	v_cvt_f32_u32_e32 v5, s40
	v_cvt_f32_u32_e32 v8, s41
	s_sub_u32 s26, 0, s40
	s_subb_u32 s39, 0, s41
	v_ashrrev_i32_e32 v9, 31, v7
	v_mac_f32_e32 v5, 0x4f800000, v8
	v_rcp_f32_e32 v5, v5
	v_mul_f32_e32 v5, 0x5f7ffffc, v5
	v_mul_f32_e32 v8, 0x2f800000, v5
	v_trunc_f32_e32 v8, v8
	v_mac_f32_e32 v5, 0xcf800000, v8
	v_cvt_u32_f32_e32 v8, v8
	v_cvt_u32_f32_e32 v5, v5
	v_readfirstlane_b32 s42, v8
	v_readfirstlane_b32 s4, v5
	s_mul_i32 s5, s26, s42
	s_mul_hi_u32 s46, s26, s4
	s_mul_i32 s43, s39, s4
	s_add_i32 s5, s46, s5
	s_add_i32 s5, s5, s43
	s_mul_i32 s47, s26, s4
	s_mul_i32 s46, s4, s5
	s_mul_hi_u32 s48, s4, s47
	s_mul_hi_u32 s43, s4, s5
	s_add_u32 s46, s48, s46
	s_addc_u32 s43, 0, s43
	s_mul_hi_u32 s49, s42, s47
	s_mul_i32 s47, s42, s47
	s_add_u32 s46, s46, s47
	s_mul_hi_u32 s48, s42, s5
	s_addc_u32 s43, s43, s49
	s_addc_u32 s46, s48, 0
	s_mul_i32 s5, s42, s5
	s_add_u32 s5, s43, s5
	s_addc_u32 s43, 0, s46
	s_add_u32 s46, s4, s5
	s_cselect_b64 s[4:5], -1, 0
	s_cmp_lg_u64 s[4:5], 0
	s_addc_u32 s42, s42, s43
	s_mul_i32 s4, s26, s42
	s_mul_hi_u32 s5, s26, s46
	s_add_i32 s4, s5, s4
	s_mul_i32 s39, s39, s46
	s_add_i32 s4, s4, s39
	s_mul_i32 s26, s26, s46
	s_mul_hi_u32 s39, s42, s26
	s_mul_i32 s43, s42, s26
	s_mul_i32 s48, s46, s4
	s_mul_hi_u32 s26, s46, s26
	s_mul_hi_u32 s47, s46, s4
	s_add_u32 s26, s26, s48
	s_addc_u32 s47, 0, s47
	s_add_u32 s26, s26, s43
	s_mul_hi_u32 s5, s42, s4
	s_addc_u32 s26, s47, s39
	s_addc_u32 s5, s5, 0
	s_mul_i32 s4, s42, s4
	s_add_u32 s4, s26, s4
	s_addc_u32 s26, 0, s5
	s_add_u32 s39, s46, s4
	s_cselect_b64 s[4:5], -1, 0
	s_cmp_lg_u64 s[4:5], 0
	v_add_co_u32_e32 v5, vcc, v6, v9
	s_addc_u32 s26, s42, s26
	v_xor_b32_e32 v10, v5, v9
	v_mad_u64_u32 v[5:6], s[4:5], v10, s26, 0
	v_mul_hi_u32 v8, v10, s39
	v_addc_co_u32_e32 v7, vcc, v7, v9, vcc
	v_xor_b32_e32 v11, v7, v9
	v_add_co_u32_e32 v15, vcc, v8, v5
	v_addc_co_u32_e32 v16, vcc, 0, v6, vcc
	v_mad_u64_u32 v[5:6], s[4:5], v11, s39, 0
	v_mad_u64_u32 v[7:8], s[4:5], v11, s26, 0
	v_add_co_u32_e32 v5, vcc, v15, v5
	v_addc_co_u32_e32 v5, vcc, v16, v6, vcc
	v_addc_co_u32_e32 v6, vcc, 0, v8, vcc
	v_add_co_u32_e32 v7, vcc, v5, v7
	v_addc_co_u32_e32 v5, vcc, 0, v6, vcc
	v_mul_lo_u32 v8, s41, v7
	v_mul_lo_u32 v15, s40, v5
	v_mad_u64_u32 v[5:6], s[4:5], s40, v7, 0
	v_add3_u32 v6, v6, v15, v8
	v_sub_u32_e32 v8, v11, v6
	v_mov_b32_e32 v15, s41
	v_sub_co_u32_e32 v5, vcc, v10, v5
	v_subb_co_u32_e64 v8, s[4:5], v8, v15, vcc
	v_subrev_co_u32_e64 v10, s[4:5], s40, v5
	v_subbrev_co_u32_e64 v8, s[4:5], 0, v8, s[4:5]
	v_cmp_le_u32_e64 s[4:5], s41, v8
	v_subb_co_u32_e32 v6, vcc, v11, v6, vcc
	v_cndmask_b32_e64 v15, 0, -1, s[4:5]
	v_cmp_le_u32_e64 s[4:5], s40, v10
	v_cmp_le_u32_e32 vcc, s41, v6
	v_cndmask_b32_e64 v10, 0, -1, s[4:5]
	v_cmp_eq_u32_e64 s[4:5], s41, v8
	v_cndmask_b32_e64 v11, 0, -1, vcc
	v_cmp_le_u32_e32 vcc, s40, v5
	v_cndmask_b32_e64 v8, v15, v10, s[4:5]
	v_cndmask_b32_e64 v5, 0, -1, vcc
	v_cmp_eq_u32_e32 vcc, s41, v6
	v_add_co_u32_e64 v10, s[4:5], 2, v7
	v_add_co_u32_e64 v15, s[4:5], 1, v7
	v_cndmask_b32_e32 v5, v11, v5, vcc
	v_cmp_ne_u32_e32 vcc, 0, v8
	v_cndmask_b32_e32 v6, v15, v10, vcc
	v_cmp_ne_u32_e32 vcc, 0, v5
	v_cndmask_b32_e32 v5, v7, v6, vcc
	v_xor_b32_e32 v6, s38, v9
	v_xor_b32_e32 v5, v5, v6
	v_sub_co_u32_e32 v8, vcc, v5, v6
                                        ; implicit-def: $vgpr6_vgpr7
.LBB2_20:                               ;   in Loop: Header=BB2_10 Depth=1
	s_andn2_saveexec_b64 s[4:5], s[36:37]
	s_cbranch_execz .LBB2_8
; %bb.21:                               ;   in Loop: Header=BB2_10 Depth=1
	v_cvt_f32_u32_e32 v5, s33
	s_sub_i32 s26, 0, s33
	v_rcp_iflag_f32_e32 v5, v5
	v_mul_f32_e32 v5, 0x4f7ffffe, v5
	v_cvt_u32_f32_e32 v5, v5
	v_mul_lo_u32 v7, s26, v5
	v_mul_hi_u32 v7, v5, v7
	v_add_u32_e32 v5, v5, v7
	v_mul_hi_u32 v5, v6, v5
	v_mul_lo_u32 v7, v5, s33
	v_add_u32_e32 v8, 1, v5
	v_sub_u32_e32 v6, v6, v7
	v_subrev_u32_e32 v7, s33, v6
	v_cmp_le_u32_e32 vcc, s33, v6
	v_cndmask_b32_e32 v6, v6, v7, vcc
	v_cndmask_b32_e32 v5, v5, v8, vcc
	v_add_u32_e32 v7, 1, v5
	v_cmp_le_u32_e32 vcc, s33, v6
	v_cndmask_b32_e32 v8, v5, v7, vcc
	s_branch .LBB2_8
.LBB2_22:
	s_or_b64 exec, exec, s[6:7]
; %bb.23:
	s_waitcnt lgkmcnt(0)
	s_barrier
	s_and_saveexec_b64 s[2:3], s[0:1]
	s_cbranch_execz .LBB2_28
; %bb.24:
	v_and_b32_e32 v6, 0xffff, v12
	s_mov_b64 s[0:1], 0
	v_mov_b32_e32 v7, s17
.LBB2_25:                               ; =>This Loop Header: Depth=1
                                        ;     Child Loop BB2_26 Depth 2
	v_mul_lo_u32 v4, v1, s20
	v_mul_lo_u32 v5, v0, s21
	v_mad_u64_u32 v[2:3], s[2:3], v0, s20, 0
	s_mov_b64 s[2:3], 0
	v_add3_u32 v3, v3, v5, v4
	v_lshlrev_b64 v[2:3], 2, v[2:3]
	v_lshl_add_u32 v4, v0, 2, 0
	v_add_co_u32_e32 v2, vcc, s16, v2
	v_addc_co_u32_e32 v3, vcc, v7, v3, vcc
	global_load_dword v5, v[2:3], off
	ds_read_b32 v8, v4
.LBB2_26:                               ;   Parent Loop BB2_25 Depth=1
                                        ; =>  This Inner Loop Header: Depth=2
	s_waitcnt vmcnt(0) lgkmcnt(0)
	v_add_f32_e32 v4, v5, v8
	global_atomic_cmpswap v4, v[2:3], v[4:5], off glc
	s_waitcnt vmcnt(0)
	v_cmp_eq_u32_e32 vcc, v4, v5
	s_or_b64 s[2:3], vcc, s[2:3]
	v_mov_b32_e32 v5, v4
	s_andn2_b64 exec, exec, s[2:3]
	s_cbranch_execnz .LBB2_26
; %bb.27:                               ;   in Loop: Header=BB2_25 Depth=1
	s_or_b64 exec, exec, s[2:3]
	v_add_co_u32_e32 v0, vcc, v0, v6
	v_addc_co_u32_e32 v1, vcc, 0, v1, vcc
	v_cmp_le_i64_e32 vcc, s[18:19], v[0:1]
	s_or_b64 s[0:1], vcc, s[0:1]
	s_andn2_b64 exec, exec, s[0:1]
	s_cbranch_execnz .LBB2_25
.LBB2_28:
	s_endpgm
	.section	.rodata,"a",@progbits
	.p2align	6, 0x0
	.amdhsa_kernel _ZN2at4cuda17kernelHistogram1DIfhlLi1ELi2ELin1ELNS0_23CUDAHistogramMemoryTypeE0EZNS0_21CUDA_tensor_histogramIfhLb1EEEbNS_6TensorES4_S4_lNS_14AccumulateTypeIT0_Lb1EE4typeES8_NS0_13TensorArgTypeES9_S9_EUllE0_EEvNS0_6detail10TensorInfoIT_T1_EESF_NSC_IKS6_SE_EElS8_S8_SE_T6_
		.amdhsa_group_segment_fixed_size 0
		.amdhsa_private_segment_fixed_size 0
		.amdhsa_kernarg_size 1544
		.amdhsa_user_sgpr_count 6
		.amdhsa_user_sgpr_private_segment_buffer 1
		.amdhsa_user_sgpr_dispatch_ptr 0
		.amdhsa_user_sgpr_queue_ptr 0
		.amdhsa_user_sgpr_kernarg_segment_ptr 1
		.amdhsa_user_sgpr_dispatch_id 0
		.amdhsa_user_sgpr_flat_scratch_init 0
		.amdhsa_user_sgpr_private_segment_size 0
		.amdhsa_uses_dynamic_stack 0
		.amdhsa_system_sgpr_private_segment_wavefront_offset 0
		.amdhsa_system_sgpr_workgroup_id_x 1
		.amdhsa_system_sgpr_workgroup_id_y 0
		.amdhsa_system_sgpr_workgroup_id_z 0
		.amdhsa_system_sgpr_workgroup_info 0
		.amdhsa_system_vgpr_workitem_id 0
		.amdhsa_next_free_vgpr 23
		.amdhsa_next_free_sgpr 53
		.amdhsa_reserve_vcc 1
		.amdhsa_reserve_flat_scratch 0
		.amdhsa_float_round_mode_32 0
		.amdhsa_float_round_mode_16_64 0
		.amdhsa_float_denorm_mode_32 3
		.amdhsa_float_denorm_mode_16_64 3
		.amdhsa_dx10_clamp 1
		.amdhsa_ieee_mode 1
		.amdhsa_fp16_overflow 0
		.amdhsa_exception_fp_ieee_invalid_op 0
		.amdhsa_exception_fp_denorm_src 0
		.amdhsa_exception_fp_ieee_div_zero 0
		.amdhsa_exception_fp_ieee_overflow 0
		.amdhsa_exception_fp_ieee_underflow 0
		.amdhsa_exception_fp_ieee_inexact 0
		.amdhsa_exception_int_div_zero 0
	.end_amdhsa_kernel
	.section	.text._ZN2at4cuda17kernelHistogram1DIfhlLi1ELi2ELin1ELNS0_23CUDAHistogramMemoryTypeE0EZNS0_21CUDA_tensor_histogramIfhLb1EEEbNS_6TensorES4_S4_lNS_14AccumulateTypeIT0_Lb1EE4typeES8_NS0_13TensorArgTypeES9_S9_EUllE0_EEvNS0_6detail10TensorInfoIT_T1_EESF_NSC_IKS6_SE_EElS8_S8_SE_T6_,"axG",@progbits,_ZN2at4cuda17kernelHistogram1DIfhlLi1ELi2ELin1ELNS0_23CUDAHistogramMemoryTypeE0EZNS0_21CUDA_tensor_histogramIfhLb1EEEbNS_6TensorES4_S4_lNS_14AccumulateTypeIT0_Lb1EE4typeES8_NS0_13TensorArgTypeES9_S9_EUllE0_EEvNS0_6detail10TensorInfoIT_T1_EESF_NSC_IKS6_SE_EElS8_S8_SE_T6_,comdat
.Lfunc_end2:
	.size	_ZN2at4cuda17kernelHistogram1DIfhlLi1ELi2ELin1ELNS0_23CUDAHistogramMemoryTypeE0EZNS0_21CUDA_tensor_histogramIfhLb1EEEbNS_6TensorES4_S4_lNS_14AccumulateTypeIT0_Lb1EE4typeES8_NS0_13TensorArgTypeES9_S9_EUllE0_EEvNS0_6detail10TensorInfoIT_T1_EESF_NSC_IKS6_SE_EElS8_S8_SE_T6_, .Lfunc_end2-_ZN2at4cuda17kernelHistogram1DIfhlLi1ELi2ELin1ELNS0_23CUDAHistogramMemoryTypeE0EZNS0_21CUDA_tensor_histogramIfhLb1EEEbNS_6TensorES4_S4_lNS_14AccumulateTypeIT0_Lb1EE4typeES8_NS0_13TensorArgTypeES9_S9_EUllE0_EEvNS0_6detail10TensorInfoIT_T1_EESF_NSC_IKS6_SE_EElS8_S8_SE_T6_
                                        ; -- End function
	.set _ZN2at4cuda17kernelHistogram1DIfhlLi1ELi2ELin1ELNS0_23CUDAHistogramMemoryTypeE0EZNS0_21CUDA_tensor_histogramIfhLb1EEEbNS_6TensorES4_S4_lNS_14AccumulateTypeIT0_Lb1EE4typeES8_NS0_13TensorArgTypeES9_S9_EUllE0_EEvNS0_6detail10TensorInfoIT_T1_EESF_NSC_IKS6_SE_EElS8_S8_SE_T6_.num_vgpr, 23
	.set _ZN2at4cuda17kernelHistogram1DIfhlLi1ELi2ELin1ELNS0_23CUDAHistogramMemoryTypeE0EZNS0_21CUDA_tensor_histogramIfhLb1EEEbNS_6TensorES4_S4_lNS_14AccumulateTypeIT0_Lb1EE4typeES8_NS0_13TensorArgTypeES9_S9_EUllE0_EEvNS0_6detail10TensorInfoIT_T1_EESF_NSC_IKS6_SE_EElS8_S8_SE_T6_.num_agpr, 0
	.set _ZN2at4cuda17kernelHistogram1DIfhlLi1ELi2ELin1ELNS0_23CUDAHistogramMemoryTypeE0EZNS0_21CUDA_tensor_histogramIfhLb1EEEbNS_6TensorES4_S4_lNS_14AccumulateTypeIT0_Lb1EE4typeES8_NS0_13TensorArgTypeES9_S9_EUllE0_EEvNS0_6detail10TensorInfoIT_T1_EESF_NSC_IKS6_SE_EElS8_S8_SE_T6_.numbered_sgpr, 53
	.set _ZN2at4cuda17kernelHistogram1DIfhlLi1ELi2ELin1ELNS0_23CUDAHistogramMemoryTypeE0EZNS0_21CUDA_tensor_histogramIfhLb1EEEbNS_6TensorES4_S4_lNS_14AccumulateTypeIT0_Lb1EE4typeES8_NS0_13TensorArgTypeES9_S9_EUllE0_EEvNS0_6detail10TensorInfoIT_T1_EESF_NSC_IKS6_SE_EElS8_S8_SE_T6_.num_named_barrier, 0
	.set _ZN2at4cuda17kernelHistogram1DIfhlLi1ELi2ELin1ELNS0_23CUDAHistogramMemoryTypeE0EZNS0_21CUDA_tensor_histogramIfhLb1EEEbNS_6TensorES4_S4_lNS_14AccumulateTypeIT0_Lb1EE4typeES8_NS0_13TensorArgTypeES9_S9_EUllE0_EEvNS0_6detail10TensorInfoIT_T1_EESF_NSC_IKS6_SE_EElS8_S8_SE_T6_.private_seg_size, 0
	.set _ZN2at4cuda17kernelHistogram1DIfhlLi1ELi2ELin1ELNS0_23CUDAHistogramMemoryTypeE0EZNS0_21CUDA_tensor_histogramIfhLb1EEEbNS_6TensorES4_S4_lNS_14AccumulateTypeIT0_Lb1EE4typeES8_NS0_13TensorArgTypeES9_S9_EUllE0_EEvNS0_6detail10TensorInfoIT_T1_EESF_NSC_IKS6_SE_EElS8_S8_SE_T6_.uses_vcc, 1
	.set _ZN2at4cuda17kernelHistogram1DIfhlLi1ELi2ELin1ELNS0_23CUDAHistogramMemoryTypeE0EZNS0_21CUDA_tensor_histogramIfhLb1EEEbNS_6TensorES4_S4_lNS_14AccumulateTypeIT0_Lb1EE4typeES8_NS0_13TensorArgTypeES9_S9_EUllE0_EEvNS0_6detail10TensorInfoIT_T1_EESF_NSC_IKS6_SE_EElS8_S8_SE_T6_.uses_flat_scratch, 0
	.set _ZN2at4cuda17kernelHistogram1DIfhlLi1ELi2ELin1ELNS0_23CUDAHistogramMemoryTypeE0EZNS0_21CUDA_tensor_histogramIfhLb1EEEbNS_6TensorES4_S4_lNS_14AccumulateTypeIT0_Lb1EE4typeES8_NS0_13TensorArgTypeES9_S9_EUllE0_EEvNS0_6detail10TensorInfoIT_T1_EESF_NSC_IKS6_SE_EElS8_S8_SE_T6_.has_dyn_sized_stack, 0
	.set _ZN2at4cuda17kernelHistogram1DIfhlLi1ELi2ELin1ELNS0_23CUDAHistogramMemoryTypeE0EZNS0_21CUDA_tensor_histogramIfhLb1EEEbNS_6TensorES4_S4_lNS_14AccumulateTypeIT0_Lb1EE4typeES8_NS0_13TensorArgTypeES9_S9_EUllE0_EEvNS0_6detail10TensorInfoIT_T1_EESF_NSC_IKS6_SE_EElS8_S8_SE_T6_.has_recursion, 0
	.set _ZN2at4cuda17kernelHistogram1DIfhlLi1ELi2ELin1ELNS0_23CUDAHistogramMemoryTypeE0EZNS0_21CUDA_tensor_histogramIfhLb1EEEbNS_6TensorES4_S4_lNS_14AccumulateTypeIT0_Lb1EE4typeES8_NS0_13TensorArgTypeES9_S9_EUllE0_EEvNS0_6detail10TensorInfoIT_T1_EESF_NSC_IKS6_SE_EElS8_S8_SE_T6_.has_indirect_call, 0
	.section	.AMDGPU.csdata,"",@progbits
; Kernel info:
; codeLenInByte = 2352
; TotalNumSgprs: 57
; NumVgprs: 23
; ScratchSize: 0
; MemoryBound: 0
; FloatMode: 240
; IeeeMode: 1
; LDSByteSize: 0 bytes/workgroup (compile time only)
; SGPRBlocks: 7
; VGPRBlocks: 5
; NumSGPRsForWavesPerEU: 57
; NumVGPRsForWavesPerEU: 23
; Occupancy: 10
; WaveLimiterHint : 1
; COMPUTE_PGM_RSRC2:SCRATCH_EN: 0
; COMPUTE_PGM_RSRC2:USER_SGPR: 6
; COMPUTE_PGM_RSRC2:TRAP_HANDLER: 0
; COMPUTE_PGM_RSRC2:TGID_X_EN: 1
; COMPUTE_PGM_RSRC2:TGID_Y_EN: 0
; COMPUTE_PGM_RSRC2:TGID_Z_EN: 0
; COMPUTE_PGM_RSRC2:TIDIG_COMP_CNT: 0
	.section	.text._ZN2at4cuda17kernelHistogram1DIfhlLi1ELi2ELin1ELNS0_23CUDAHistogramMemoryTypeE1EZNS0_21CUDA_tensor_histogramIfhLb1EEEbNS_6TensorES4_S4_lNS_14AccumulateTypeIT0_Lb1EE4typeES8_NS0_13TensorArgTypeES9_S9_EUllE0_EEvNS0_6detail10TensorInfoIT_T1_EESF_NSC_IKS6_SE_EElS8_S8_SE_T6_,"axG",@progbits,_ZN2at4cuda17kernelHistogram1DIfhlLi1ELi2ELin1ELNS0_23CUDAHistogramMemoryTypeE1EZNS0_21CUDA_tensor_histogramIfhLb1EEEbNS_6TensorES4_S4_lNS_14AccumulateTypeIT0_Lb1EE4typeES8_NS0_13TensorArgTypeES9_S9_EUllE0_EEvNS0_6detail10TensorInfoIT_T1_EESF_NSC_IKS6_SE_EElS8_S8_SE_T6_,comdat
	.protected	_ZN2at4cuda17kernelHistogram1DIfhlLi1ELi2ELin1ELNS0_23CUDAHistogramMemoryTypeE1EZNS0_21CUDA_tensor_histogramIfhLb1EEEbNS_6TensorES4_S4_lNS_14AccumulateTypeIT0_Lb1EE4typeES8_NS0_13TensorArgTypeES9_S9_EUllE0_EEvNS0_6detail10TensorInfoIT_T1_EESF_NSC_IKS6_SE_EElS8_S8_SE_T6_ ; -- Begin function _ZN2at4cuda17kernelHistogram1DIfhlLi1ELi2ELin1ELNS0_23CUDAHistogramMemoryTypeE1EZNS0_21CUDA_tensor_histogramIfhLb1EEEbNS_6TensorES4_S4_lNS_14AccumulateTypeIT0_Lb1EE4typeES8_NS0_13TensorArgTypeES9_S9_EUllE0_EEvNS0_6detail10TensorInfoIT_T1_EESF_NSC_IKS6_SE_EElS8_S8_SE_T6_
	.globl	_ZN2at4cuda17kernelHistogram1DIfhlLi1ELi2ELin1ELNS0_23CUDAHistogramMemoryTypeE1EZNS0_21CUDA_tensor_histogramIfhLb1EEEbNS_6TensorES4_S4_lNS_14AccumulateTypeIT0_Lb1EE4typeES8_NS0_13TensorArgTypeES9_S9_EUllE0_EEvNS0_6detail10TensorInfoIT_T1_EESF_NSC_IKS6_SE_EElS8_S8_SE_T6_
	.p2align	8
	.type	_ZN2at4cuda17kernelHistogram1DIfhlLi1ELi2ELin1ELNS0_23CUDAHistogramMemoryTypeE1EZNS0_21CUDA_tensor_histogramIfhLb1EEEbNS_6TensorES4_S4_lNS_14AccumulateTypeIT0_Lb1EE4typeES8_NS0_13TensorArgTypeES9_S9_EUllE0_EEvNS0_6detail10TensorInfoIT_T1_EESF_NSC_IKS6_SE_EElS8_S8_SE_T6_,@function
_ZN2at4cuda17kernelHistogram1DIfhlLi1ELi2ELin1ELNS0_23CUDAHistogramMemoryTypeE1EZNS0_21CUDA_tensor_histogramIfhLb1EEEbNS_6TensorES4_S4_lNS_14AccumulateTypeIT0_Lb1EE4typeES8_NS0_13TensorArgTypeES9_S9_EUllE0_EEvNS0_6detail10TensorInfoIT_T1_EESF_NSC_IKS6_SE_EElS8_S8_SE_T6_: ; @_ZN2at4cuda17kernelHistogram1DIfhlLi1ELi2ELin1ELNS0_23CUDAHistogramMemoryTypeE1EZNS0_21CUDA_tensor_histogramIfhLb1EEEbNS_6TensorES4_S4_lNS_14AccumulateTypeIT0_Lb1EE4typeES8_NS0_13TensorArgTypeES9_S9_EUllE0_EEvNS0_6detail10TensorInfoIT_T1_EESF_NSC_IKS6_SE_EElS8_S8_SE_T6_
; %bb.0:
	s_load_dword s2, s[4:5], 0x514
	s_load_dwordx8 s[8:15], s[4:5], 0x4e0
	s_add_u32 s0, s4, 0x508
	s_addc_u32 s1, s5, 0
	v_mov_b32_e32 v2, 0
	s_waitcnt lgkmcnt(0)
	s_and_b32 s2, s2, 0xffff
	s_mul_i32 s6, s6, s2
	v_add_u32_e32 v0, s6, v0
	v_mov_b32_e32 v1, v2
	v_cmp_gt_i64_e32 vcc, s[14:15], v[0:1]
	s_and_saveexec_b64 s[6:7], vcc
	s_cbranch_execz .LBB3_17
; %bb.1:
	s_load_dword s3, s[4:5], 0x4d8
	s_add_u32 s22, s4, 0x340
	s_load_dword s23, s[0:1], 0x0
	s_addc_u32 s24, s5, 0
	s_load_dwordx2 s[6:7], s[4:5], 0x0
	s_load_dwordx2 s[16:17], s[4:5], 0xd0
	;; [unrolled: 1-line block ×4, first 2 shown]
	s_waitcnt lgkmcnt(0)
	s_cmp_gt_i32 s3, 1
	s_cselect_b64 s[0:1], -1, 0
	s_sub_u32 s33, s12, s10
	s_subb_u32 s38, s13, s11
	s_mov_b32 s5, 0
	s_add_i32 s4, s3, -1
	s_mul_i32 s39, s23, s2
	s_add_i32 s40, s3, 1
	s_lshl_b64 s[2:3], s[4:5], 3
	s_add_u32 s2, s22, s2
	s_addc_u32 s3, s24, s3
	s_add_u32 s22, s2, 8
	v_cndmask_b32_e64 v3, 0, 1, s[0:1]
	s_addc_u32 s23, s3, 0
	s_mov_b64 s[24:25], 0
	v_cmp_ne_u32_e64 s[0:1], 1, v3
	s_branch .LBB3_3
.LBB3_2:                                ;   in Loop: Header=BB3_3 Depth=1
	s_or_b64 exec, exec, s[26:27]
	v_add_co_u32_e32 v0, vcc, s39, v0
	v_addc_co_u32_e32 v1, vcc, 0, v1, vcc
	v_cmp_le_i64_e32 vcc, s[14:15], v[0:1]
	s_or_b64 s[24:25], vcc, s[24:25]
	s_andn2_b64 exec, exec, s[24:25]
	s_cbranch_execz .LBB3_17
.LBB3_3:                                ; =>This Loop Header: Depth=1
                                        ;     Child Loop BB3_4 Depth 2
                                        ;     Child Loop BB3_16 Depth 2
	v_mov_b32_e32 v4, 0
	v_mov_b32_e32 v7, v1
	;; [unrolled: 1-line block ×4, first 2 shown]
	s_and_b64 vcc, exec, s[0:1]
	s_mov_b64 s[26:27], s[22:23]
	s_mov_b32 s4, s40
	v_mov_b32_e32 v6, v0
	v_mov_b32_e32 v8, v0
	s_cbranch_vccnz .LBB3_10
.LBB3_4:                                ;   Parent Loop BB3_3 Depth=1
                                        ; =>  This Inner Loop Header: Depth=2
	s_load_dwordx2 s[28:29], s[26:27], 0x0
                                        ; implicit-def: $vgpr8_vgpr9
	s_waitcnt lgkmcnt(0)
	v_or_b32_e32 v3, s29, v7
	v_cmp_ne_u64_e32 vcc, 0, v[2:3]
	s_and_saveexec_b64 s[2:3], vcc
	s_xor_b64 s[30:31], exec, s[2:3]
	s_cbranch_execz .LBB3_6
; %bb.5:                                ;   in Loop: Header=BB3_4 Depth=2
	s_ashr_i32 s34, s29, 31
	s_add_u32 s2, s28, s34
	s_mov_b32 s35, s34
	s_addc_u32 s3, s29, s34
	s_xor_b64 s[36:37], s[2:3], s[34:35]
	v_cvt_f32_u32_e32 v3, s36
	v_cvt_f32_u32_e32 v8, s37
	s_sub_u32 s35, 0, s36
	s_subb_u32 s41, 0, s37
	v_mac_f32_e32 v3, 0x4f800000, v8
	v_rcp_f32_e32 v3, v3
	v_mul_f32_e32 v3, 0x5f7ffffc, v3
	v_mul_f32_e32 v8, 0x2f800000, v3
	v_trunc_f32_e32 v8, v8
	v_mac_f32_e32 v3, 0xcf800000, v8
	v_cvt_u32_f32_e32 v8, v8
	v_cvt_u32_f32_e32 v3, v3
	v_readfirstlane_b32 s42, v8
	v_readfirstlane_b32 s2, v3
	s_mul_i32 s3, s35, s42
	s_mul_hi_u32 s44, s35, s2
	s_mul_i32 s43, s41, s2
	s_add_i32 s3, s44, s3
	s_add_i32 s3, s3, s43
	s_mul_i32 s45, s35, s2
	s_mul_i32 s44, s2, s3
	s_mul_hi_u32 s46, s2, s45
	s_mul_hi_u32 s43, s2, s3
	s_add_u32 s44, s46, s44
	s_addc_u32 s43, 0, s43
	s_mul_hi_u32 s47, s42, s45
	s_mul_i32 s45, s42, s45
	s_add_u32 s44, s44, s45
	s_mul_hi_u32 s46, s42, s3
	s_addc_u32 s43, s43, s47
	s_addc_u32 s44, s46, 0
	s_mul_i32 s3, s42, s3
	s_add_u32 s3, s43, s3
	s_addc_u32 s43, 0, s44
	s_add_u32 s44, s2, s3
	s_cselect_b64 s[2:3], -1, 0
	s_cmp_lg_u64 s[2:3], 0
	s_addc_u32 s42, s42, s43
	s_mul_i32 s2, s35, s42
	s_mul_hi_u32 s3, s35, s44
	s_add_i32 s2, s3, s2
	s_mul_i32 s41, s41, s44
	s_add_i32 s2, s2, s41
	s_mul_i32 s35, s35, s44
	s_mul_hi_u32 s41, s42, s35
	s_mul_i32 s43, s42, s35
	s_mul_i32 s46, s44, s2
	s_mul_hi_u32 s35, s44, s35
	s_mul_hi_u32 s45, s44, s2
	s_add_u32 s35, s35, s46
	s_addc_u32 s45, 0, s45
	s_add_u32 s35, s35, s43
	s_mul_hi_u32 s3, s42, s2
	s_addc_u32 s35, s45, s41
	s_addc_u32 s3, s3, 0
	s_mul_i32 s2, s42, s2
	s_add_u32 s2, s35, s2
	s_addc_u32 s35, 0, s3
	s_add_u32 s41, s44, s2
	s_cselect_b64 s[2:3], -1, 0
	v_ashrrev_i32_e32 v3, 31, v7
	s_cmp_lg_u64 s[2:3], 0
	v_add_co_u32_e32 v8, vcc, v6, v3
	s_addc_u32 s35, s42, s35
	v_xor_b32_e32 v12, v8, v3
	v_mad_u64_u32 v[8:9], s[2:3], v12, s35, 0
	v_mul_hi_u32 v11, v12, s41
	v_addc_co_u32_e32 v10, vcc, v7, v3, vcc
	v_xor_b32_e32 v13, v10, v3
	v_add_co_u32_e32 v14, vcc, v11, v8
	v_addc_co_u32_e32 v15, vcc, 0, v9, vcc
	v_mad_u64_u32 v[8:9], s[2:3], v13, s41, 0
	v_mad_u64_u32 v[10:11], s[2:3], v13, s35, 0
	v_add_co_u32_e32 v8, vcc, v14, v8
	v_addc_co_u32_e32 v8, vcc, v15, v9, vcc
	v_addc_co_u32_e32 v9, vcc, 0, v11, vcc
	v_add_co_u32_e32 v10, vcc, v8, v10
	v_addc_co_u32_e32 v11, vcc, 0, v9, vcc
	v_mul_lo_u32 v14, s37, v10
	v_mul_lo_u32 v15, s36, v11
	v_mad_u64_u32 v[8:9], s[2:3], s36, v10, 0
	v_xor_b32_e32 v3, s34, v3
	v_add3_u32 v9, v9, v15, v14
	v_sub_u32_e32 v14, v13, v9
	v_mov_b32_e32 v15, s37
	v_sub_co_u32_e32 v8, vcc, v12, v8
	v_subb_co_u32_e64 v12, s[2:3], v14, v15, vcc
	v_subrev_co_u32_e64 v14, s[2:3], s36, v8
	v_subbrev_co_u32_e64 v12, s[2:3], 0, v12, s[2:3]
	v_cmp_le_u32_e64 s[2:3], s37, v12
	v_cndmask_b32_e64 v15, 0, -1, s[2:3]
	v_cmp_le_u32_e64 s[2:3], s36, v14
	v_cndmask_b32_e64 v14, 0, -1, s[2:3]
	v_cmp_eq_u32_e64 s[2:3], s37, v12
	v_cndmask_b32_e64 v12, v15, v14, s[2:3]
	v_add_co_u32_e64 v14, s[2:3], 2, v10
	v_subb_co_u32_e32 v9, vcc, v13, v9, vcc
	v_addc_co_u32_e64 v15, s[2:3], 0, v11, s[2:3]
	v_cmp_le_u32_e32 vcc, s37, v9
	v_add_co_u32_e64 v16, s[2:3], 1, v10
	v_cndmask_b32_e64 v13, 0, -1, vcc
	v_cmp_le_u32_e32 vcc, s36, v8
	v_addc_co_u32_e64 v17, s[2:3], 0, v11, s[2:3]
	v_cndmask_b32_e64 v8, 0, -1, vcc
	v_cmp_eq_u32_e32 vcc, s37, v9
	v_cmp_ne_u32_e64 s[2:3], 0, v12
	v_cndmask_b32_e32 v8, v13, v8, vcc
	v_cndmask_b32_e64 v12, v17, v15, s[2:3]
	v_cmp_ne_u32_e32 vcc, 0, v8
	v_cndmask_b32_e64 v9, v16, v14, s[2:3]
	v_cndmask_b32_e32 v8, v11, v12, vcc
	v_cndmask_b32_e32 v9, v10, v9, vcc
	v_xor_b32_e32 v10, v8, v3
	v_xor_b32_e32 v8, v9, v3
	v_sub_co_u32_e32 v8, vcc, v8, v3
	v_subb_co_u32_e32 v9, vcc, v10, v3, vcc
.LBB3_6:                                ;   in Loop: Header=BB3_4 Depth=2
	s_andn2_saveexec_b64 s[2:3], s[30:31]
	s_cbranch_execz .LBB3_8
; %bb.7:                                ;   in Loop: Header=BB3_4 Depth=2
	v_cvt_f32_u32_e32 v3, s28
	s_sub_i32 s30, 0, s28
	v_rcp_iflag_f32_e32 v3, v3
	v_mul_f32_e32 v3, 0x4f7ffffe, v3
	v_cvt_u32_f32_e32 v3, v3
	v_mul_lo_u32 v8, s30, v3
	v_mul_hi_u32 v8, v3, v8
	v_add_u32_e32 v3, v3, v8
	v_mul_hi_u32 v3, v6, v3
	v_mul_lo_u32 v8, v3, s28
	v_add_u32_e32 v9, 1, v3
	v_sub_u32_e32 v8, v6, v8
	v_subrev_u32_e32 v10, s28, v8
	v_cmp_le_u32_e32 vcc, s28, v8
	v_cndmask_b32_e32 v8, v8, v10, vcc
	v_cndmask_b32_e32 v3, v3, v9, vcc
	v_add_u32_e32 v9, 1, v3
	v_cmp_le_u32_e32 vcc, s28, v8
	v_cndmask_b32_e32 v8, v3, v9, vcc
	v_mov_b32_e32 v9, v2
.LBB3_8:                                ;   in Loop: Header=BB3_4 Depth=2
	s_or_b64 exec, exec, s[2:3]
	v_mul_lo_u32 v3, v9, s28
	v_mul_lo_u32 v12, v8, s29
	v_mad_u64_u32 v[10:11], s[2:3], v8, s28, 0
	s_load_dwordx2 s[2:3], s[26:27], 0xc8
	s_add_i32 s4, s4, -1
	v_add3_u32 v3, v11, v12, v3
	v_sub_co_u32_e32 v6, vcc, v6, v10
	v_subb_co_u32_e32 v3, vcc, v7, v3, vcc
	s_waitcnt lgkmcnt(0)
	v_mul_lo_u32 v3, s2, v3
	v_mul_lo_u32 v7, s3, v6
	v_mad_u64_u32 v[4:5], s[2:3], s2, v6, v[4:5]
	s_add_u32 s26, s26, -8
	s_addc_u32 s27, s27, -1
	s_cmp_gt_u32 s4, 2
	v_add3_u32 v5, v7, v5, v3
	s_cbranch_scc0 .LBB3_10
; %bb.9:                                ;   in Loop: Header=BB3_4 Depth=2
	v_mov_b32_e32 v6, v8
	v_mov_b32_e32 v7, v9
	s_branch .LBB3_4
.LBB3_10:                               ;   in Loop: Header=BB3_3 Depth=1
	v_mov_b32_e32 v6, s20
	v_mov_b32_e32 v7, s21
	v_mul_lo_u32 v3, s18, v9
	v_mul_lo_u32 v9, s19, v8
	v_mad_u64_u32 v[6:7], s[2:3], s18, v8, v[6:7]
	v_add3_u32 v7, v9, v7, v3
	v_add_co_u32_e32 v3, vcc, v6, v4
	v_addc_co_u32_e32 v4, vcc, v7, v5, vcc
	global_load_ubyte v3, v[3:4], off
	v_mov_b32_e32 v4, s5
	s_waitcnt vmcnt(0)
	v_and_b32_e32 v3, 0xffff, v3
	v_cmp_le_i64_e32 vcc, s[10:11], v[3:4]
	v_cmp_ge_i64_e64 s[2:3], s[12:13], v[3:4]
	s_and_b64 s[2:3], vcc, s[2:3]
	s_and_saveexec_b64 s[26:27], s[2:3]
	s_cbranch_execz .LBB3_2
; %bb.11:                               ;   in Loop: Header=BB3_3 Depth=1
	v_mov_b32_e32 v4, s11
	v_subrev_co_u32_e32 v3, vcc, s10, v3
	v_subb_co_u32_e32 v4, vcc, 0, v4, vcc
	v_mul_lo_u32 v6, v4, s8
	v_mul_lo_u32 v7, v3, s9
	v_mad_u64_u32 v[4:5], s[2:3], v3, s8, 0
	v_add3_u32 v5, v5, v7, v6
	v_or_b32_e32 v3, s38, v5
	v_cmp_ne_u64_e32 vcc, 0, v[2:3]
                                        ; implicit-def: $vgpr6_vgpr7
	s_and_saveexec_b64 s[2:3], vcc
	s_xor_b64 s[28:29], exec, s[2:3]
	s_cbranch_execz .LBB3_13
; %bb.12:                               ;   in Loop: Header=BB3_3 Depth=1
	s_ashr_i32 s30, s38, 31
	s_add_u32 s2, s33, s30
	s_mov_b32 s31, s30
	s_addc_u32 s3, s38, s30
	s_xor_b64 s[34:35], s[2:3], s[30:31]
	v_cvt_f32_u32_e32 v3, s34
	v_cvt_f32_u32_e32 v6, s35
	s_sub_u32 s4, 0, s34
	s_subb_u32 s31, 0, s35
	v_ashrrev_i32_e32 v7, 31, v5
	v_mac_f32_e32 v3, 0x4f800000, v6
	v_rcp_f32_e32 v3, v3
	v_mul_f32_e32 v3, 0x5f7ffffc, v3
	v_mul_f32_e32 v6, 0x2f800000, v3
	v_trunc_f32_e32 v6, v6
	v_mac_f32_e32 v3, 0xcf800000, v6
	v_cvt_u32_f32_e32 v6, v6
	v_cvt_u32_f32_e32 v3, v3
	v_readfirstlane_b32 s36, v6
	v_readfirstlane_b32 s2, v3
	s_mul_i32 s3, s4, s36
	s_mul_hi_u32 s41, s4, s2
	s_mul_i32 s37, s31, s2
	s_add_i32 s3, s41, s3
	s_add_i32 s3, s3, s37
	s_mul_i32 s42, s4, s2
	s_mul_i32 s41, s2, s3
	s_mul_hi_u32 s43, s2, s42
	s_mul_hi_u32 s37, s2, s3
	s_add_u32 s41, s43, s41
	s_addc_u32 s37, 0, s37
	s_mul_hi_u32 s44, s36, s42
	s_mul_i32 s42, s36, s42
	s_add_u32 s41, s41, s42
	s_mul_hi_u32 s43, s36, s3
	s_addc_u32 s37, s37, s44
	s_addc_u32 s41, s43, 0
	s_mul_i32 s3, s36, s3
	s_add_u32 s3, s37, s3
	s_addc_u32 s37, 0, s41
	s_add_u32 s41, s2, s3
	s_cselect_b64 s[2:3], -1, 0
	s_cmp_lg_u64 s[2:3], 0
	s_addc_u32 s36, s36, s37
	s_mul_i32 s2, s4, s36
	s_mul_hi_u32 s3, s4, s41
	s_add_i32 s2, s3, s2
	s_mul_i32 s31, s31, s41
	s_add_i32 s2, s2, s31
	s_mul_i32 s4, s4, s41
	s_mul_hi_u32 s31, s36, s4
	s_mul_i32 s37, s36, s4
	s_mul_i32 s43, s41, s2
	s_mul_hi_u32 s4, s41, s4
	s_mul_hi_u32 s42, s41, s2
	s_add_u32 s4, s4, s43
	s_addc_u32 s42, 0, s42
	s_add_u32 s4, s4, s37
	s_mul_hi_u32 s3, s36, s2
	s_addc_u32 s4, s42, s31
	s_addc_u32 s3, s3, 0
	s_mul_i32 s2, s36, s2
	s_add_u32 s2, s4, s2
	s_addc_u32 s4, 0, s3
	s_add_u32 s31, s41, s2
	s_cselect_b64 s[2:3], -1, 0
	s_cmp_lg_u64 s[2:3], 0
	v_add_co_u32_e32 v3, vcc, v4, v7
	s_addc_u32 s4, s36, s4
	v_xor_b32_e32 v8, v3, v7
	v_mad_u64_u32 v[3:4], s[2:3], v8, s4, 0
	v_mul_hi_u32 v6, v8, s31
	v_addc_co_u32_e32 v5, vcc, v5, v7, vcc
	v_xor_b32_e32 v9, v5, v7
	v_add_co_u32_e32 v10, vcc, v6, v3
	v_addc_co_u32_e32 v11, vcc, 0, v4, vcc
	v_mad_u64_u32 v[3:4], s[2:3], v9, s31, 0
	v_mad_u64_u32 v[5:6], s[2:3], v9, s4, 0
	v_add_co_u32_e32 v3, vcc, v10, v3
	v_addc_co_u32_e32 v3, vcc, v11, v4, vcc
	v_addc_co_u32_e32 v4, vcc, 0, v6, vcc
	v_add_co_u32_e32 v5, vcc, v3, v5
	v_addc_co_u32_e32 v3, vcc, 0, v4, vcc
	v_mul_lo_u32 v6, s35, v5
	v_mul_lo_u32 v10, s34, v3
	v_mad_u64_u32 v[3:4], s[2:3], s34, v5, 0
	v_add3_u32 v4, v4, v10, v6
	v_sub_u32_e32 v6, v9, v4
	v_mov_b32_e32 v10, s35
	v_sub_co_u32_e32 v3, vcc, v8, v3
	v_subb_co_u32_e64 v6, s[2:3], v6, v10, vcc
	v_subrev_co_u32_e64 v8, s[2:3], s34, v3
	v_subbrev_co_u32_e64 v6, s[2:3], 0, v6, s[2:3]
	v_cmp_le_u32_e64 s[2:3], s35, v6
	v_subb_co_u32_e32 v4, vcc, v9, v4, vcc
	v_cndmask_b32_e64 v10, 0, -1, s[2:3]
	v_cmp_le_u32_e64 s[2:3], s34, v8
	v_cmp_le_u32_e32 vcc, s35, v4
	v_cndmask_b32_e64 v8, 0, -1, s[2:3]
	v_cmp_eq_u32_e64 s[2:3], s35, v6
	v_cndmask_b32_e64 v9, 0, -1, vcc
	v_cmp_le_u32_e32 vcc, s34, v3
	v_cndmask_b32_e64 v6, v10, v8, s[2:3]
	v_cndmask_b32_e64 v3, 0, -1, vcc
	v_cmp_eq_u32_e32 vcc, s35, v4
	v_add_co_u32_e64 v8, s[2:3], 2, v5
	v_add_co_u32_e64 v10, s[2:3], 1, v5
	v_cndmask_b32_e32 v3, v9, v3, vcc
	v_cmp_ne_u32_e32 vcc, 0, v6
	v_cndmask_b32_e32 v4, v10, v8, vcc
	v_cmp_ne_u32_e32 vcc, 0, v3
	v_cndmask_b32_e32 v3, v5, v4, vcc
	v_xor_b32_e32 v4, s30, v7
	v_xor_b32_e32 v3, v3, v4
	v_sub_co_u32_e32 v6, vcc, v3, v4
                                        ; implicit-def: $vgpr4_vgpr5
.LBB3_13:                               ;   in Loop: Header=BB3_3 Depth=1
	s_andn2_saveexec_b64 s[2:3], s[28:29]
	s_cbranch_execz .LBB3_15
; %bb.14:                               ;   in Loop: Header=BB3_3 Depth=1
	v_cvt_f32_u32_e32 v3, s33
	s_sub_i32 s4, 0, s33
	v_rcp_iflag_f32_e32 v3, v3
	v_mul_f32_e32 v3, 0x4f7ffffe, v3
	v_cvt_u32_f32_e32 v3, v3
	v_mul_lo_u32 v5, s4, v3
	v_mul_hi_u32 v5, v3, v5
	v_add_u32_e32 v3, v3, v5
	v_mul_hi_u32 v3, v4, v3
	v_mul_lo_u32 v5, v3, s33
	v_add_u32_e32 v6, 1, v3
	v_sub_u32_e32 v4, v4, v5
	v_subrev_u32_e32 v5, s33, v4
	v_cmp_le_u32_e32 vcc, s33, v4
	v_cndmask_b32_e32 v4, v4, v5, vcc
	v_cndmask_b32_e32 v3, v3, v6, vcc
	v_add_u32_e32 v5, 1, v3
	v_cmp_le_u32_e32 vcc, s33, v4
	v_cndmask_b32_e32 v6, v3, v5, vcc
.LBB3_15:                               ;   in Loop: Header=BB3_3 Depth=1
	s_or_b64 exec, exec, s[2:3]
	v_ashrrev_i32_e32 v7, 31, v6
	v_cmp_eq_u64_e32 vcc, s[8:9], v[6:7]
	v_cndmask_b32_e64 v3, 0, 1, vcc
	v_sub_co_u32_e32 v3, vcc, v6, v3
	v_subbrev_co_u32_e32 v4, vcc, 0, v7, vcc
	v_mul_lo_u32 v5, v4, s16
	v_mul_lo_u32 v6, v3, s17
	v_mad_u64_u32 v[3:4], s[2:3], v3, s16, 0
	s_mov_b64 s[2:3], 0
	v_add3_u32 v4, v4, v6, v5
	v_lshlrev_b64 v[3:4], 2, v[3:4]
	v_mov_b32_e32 v5, s7
	v_add_co_u32_e32 v3, vcc, s6, v3
	v_addc_co_u32_e32 v4, vcc, v5, v4, vcc
	global_load_dword v6, v[3:4], off
.LBB3_16:                               ;   Parent Loop BB3_3 Depth=1
                                        ; =>  This Inner Loop Header: Depth=2
	s_waitcnt vmcnt(0)
	v_add_f32_e32 v5, 1.0, v6
	global_atomic_cmpswap v5, v[3:4], v[5:6], off glc
	s_waitcnt vmcnt(0)
	v_cmp_eq_u32_e32 vcc, v5, v6
	s_or_b64 s[2:3], vcc, s[2:3]
	v_mov_b32_e32 v6, v5
	s_andn2_b64 exec, exec, s[2:3]
	s_cbranch_execnz .LBB3_16
	s_branch .LBB3_2
.LBB3_17:
	s_endpgm
	.section	.rodata,"a",@progbits
	.p2align	6, 0x0
	.amdhsa_kernel _ZN2at4cuda17kernelHistogram1DIfhlLi1ELi2ELin1ELNS0_23CUDAHistogramMemoryTypeE1EZNS0_21CUDA_tensor_histogramIfhLb1EEEbNS_6TensorES4_S4_lNS_14AccumulateTypeIT0_Lb1EE4typeES8_NS0_13TensorArgTypeES9_S9_EUllE0_EEvNS0_6detail10TensorInfoIT_T1_EESF_NSC_IKS6_SE_EElS8_S8_SE_T6_
		.amdhsa_group_segment_fixed_size 0
		.amdhsa_private_segment_fixed_size 0
		.amdhsa_kernarg_size 1544
		.amdhsa_user_sgpr_count 6
		.amdhsa_user_sgpr_private_segment_buffer 1
		.amdhsa_user_sgpr_dispatch_ptr 0
		.amdhsa_user_sgpr_queue_ptr 0
		.amdhsa_user_sgpr_kernarg_segment_ptr 1
		.amdhsa_user_sgpr_dispatch_id 0
		.amdhsa_user_sgpr_flat_scratch_init 0
		.amdhsa_user_sgpr_private_segment_size 0
		.amdhsa_uses_dynamic_stack 0
		.amdhsa_system_sgpr_private_segment_wavefront_offset 0
		.amdhsa_system_sgpr_workgroup_id_x 1
		.amdhsa_system_sgpr_workgroup_id_y 0
		.amdhsa_system_sgpr_workgroup_id_z 0
		.amdhsa_system_sgpr_workgroup_info 0
		.amdhsa_system_vgpr_workitem_id 0
		.amdhsa_next_free_vgpr 18
		.amdhsa_next_free_sgpr 48
		.amdhsa_reserve_vcc 1
		.amdhsa_reserve_flat_scratch 0
		.amdhsa_float_round_mode_32 0
		.amdhsa_float_round_mode_16_64 0
		.amdhsa_float_denorm_mode_32 3
		.amdhsa_float_denorm_mode_16_64 3
		.amdhsa_dx10_clamp 1
		.amdhsa_ieee_mode 1
		.amdhsa_fp16_overflow 0
		.amdhsa_exception_fp_ieee_invalid_op 0
		.amdhsa_exception_fp_denorm_src 0
		.amdhsa_exception_fp_ieee_div_zero 0
		.amdhsa_exception_fp_ieee_overflow 0
		.amdhsa_exception_fp_ieee_underflow 0
		.amdhsa_exception_fp_ieee_inexact 0
		.amdhsa_exception_int_div_zero 0
	.end_amdhsa_kernel
	.section	.text._ZN2at4cuda17kernelHistogram1DIfhlLi1ELi2ELin1ELNS0_23CUDAHistogramMemoryTypeE1EZNS0_21CUDA_tensor_histogramIfhLb1EEEbNS_6TensorES4_S4_lNS_14AccumulateTypeIT0_Lb1EE4typeES8_NS0_13TensorArgTypeES9_S9_EUllE0_EEvNS0_6detail10TensorInfoIT_T1_EESF_NSC_IKS6_SE_EElS8_S8_SE_T6_,"axG",@progbits,_ZN2at4cuda17kernelHistogram1DIfhlLi1ELi2ELin1ELNS0_23CUDAHistogramMemoryTypeE1EZNS0_21CUDA_tensor_histogramIfhLb1EEEbNS_6TensorES4_S4_lNS_14AccumulateTypeIT0_Lb1EE4typeES8_NS0_13TensorArgTypeES9_S9_EUllE0_EEvNS0_6detail10TensorInfoIT_T1_EESF_NSC_IKS6_SE_EElS8_S8_SE_T6_,comdat
.Lfunc_end3:
	.size	_ZN2at4cuda17kernelHistogram1DIfhlLi1ELi2ELin1ELNS0_23CUDAHistogramMemoryTypeE1EZNS0_21CUDA_tensor_histogramIfhLb1EEEbNS_6TensorES4_S4_lNS_14AccumulateTypeIT0_Lb1EE4typeES8_NS0_13TensorArgTypeES9_S9_EUllE0_EEvNS0_6detail10TensorInfoIT_T1_EESF_NSC_IKS6_SE_EElS8_S8_SE_T6_, .Lfunc_end3-_ZN2at4cuda17kernelHistogram1DIfhlLi1ELi2ELin1ELNS0_23CUDAHistogramMemoryTypeE1EZNS0_21CUDA_tensor_histogramIfhLb1EEEbNS_6TensorES4_S4_lNS_14AccumulateTypeIT0_Lb1EE4typeES8_NS0_13TensorArgTypeES9_S9_EUllE0_EEvNS0_6detail10TensorInfoIT_T1_EESF_NSC_IKS6_SE_EElS8_S8_SE_T6_
                                        ; -- End function
	.set _ZN2at4cuda17kernelHistogram1DIfhlLi1ELi2ELin1ELNS0_23CUDAHistogramMemoryTypeE1EZNS0_21CUDA_tensor_histogramIfhLb1EEEbNS_6TensorES4_S4_lNS_14AccumulateTypeIT0_Lb1EE4typeES8_NS0_13TensorArgTypeES9_S9_EUllE0_EEvNS0_6detail10TensorInfoIT_T1_EESF_NSC_IKS6_SE_EElS8_S8_SE_T6_.num_vgpr, 18
	.set _ZN2at4cuda17kernelHistogram1DIfhlLi1ELi2ELin1ELNS0_23CUDAHistogramMemoryTypeE1EZNS0_21CUDA_tensor_histogramIfhLb1EEEbNS_6TensorES4_S4_lNS_14AccumulateTypeIT0_Lb1EE4typeES8_NS0_13TensorArgTypeES9_S9_EUllE0_EEvNS0_6detail10TensorInfoIT_T1_EESF_NSC_IKS6_SE_EElS8_S8_SE_T6_.num_agpr, 0
	.set _ZN2at4cuda17kernelHistogram1DIfhlLi1ELi2ELin1ELNS0_23CUDAHistogramMemoryTypeE1EZNS0_21CUDA_tensor_histogramIfhLb1EEEbNS_6TensorES4_S4_lNS_14AccumulateTypeIT0_Lb1EE4typeES8_NS0_13TensorArgTypeES9_S9_EUllE0_EEvNS0_6detail10TensorInfoIT_T1_EESF_NSC_IKS6_SE_EElS8_S8_SE_T6_.numbered_sgpr, 48
	.set _ZN2at4cuda17kernelHistogram1DIfhlLi1ELi2ELin1ELNS0_23CUDAHistogramMemoryTypeE1EZNS0_21CUDA_tensor_histogramIfhLb1EEEbNS_6TensorES4_S4_lNS_14AccumulateTypeIT0_Lb1EE4typeES8_NS0_13TensorArgTypeES9_S9_EUllE0_EEvNS0_6detail10TensorInfoIT_T1_EESF_NSC_IKS6_SE_EElS8_S8_SE_T6_.num_named_barrier, 0
	.set _ZN2at4cuda17kernelHistogram1DIfhlLi1ELi2ELin1ELNS0_23CUDAHistogramMemoryTypeE1EZNS0_21CUDA_tensor_histogramIfhLb1EEEbNS_6TensorES4_S4_lNS_14AccumulateTypeIT0_Lb1EE4typeES8_NS0_13TensorArgTypeES9_S9_EUllE0_EEvNS0_6detail10TensorInfoIT_T1_EESF_NSC_IKS6_SE_EElS8_S8_SE_T6_.private_seg_size, 0
	.set _ZN2at4cuda17kernelHistogram1DIfhlLi1ELi2ELin1ELNS0_23CUDAHistogramMemoryTypeE1EZNS0_21CUDA_tensor_histogramIfhLb1EEEbNS_6TensorES4_S4_lNS_14AccumulateTypeIT0_Lb1EE4typeES8_NS0_13TensorArgTypeES9_S9_EUllE0_EEvNS0_6detail10TensorInfoIT_T1_EESF_NSC_IKS6_SE_EElS8_S8_SE_T6_.uses_vcc, 1
	.set _ZN2at4cuda17kernelHistogram1DIfhlLi1ELi2ELin1ELNS0_23CUDAHistogramMemoryTypeE1EZNS0_21CUDA_tensor_histogramIfhLb1EEEbNS_6TensorES4_S4_lNS_14AccumulateTypeIT0_Lb1EE4typeES8_NS0_13TensorArgTypeES9_S9_EUllE0_EEvNS0_6detail10TensorInfoIT_T1_EESF_NSC_IKS6_SE_EElS8_S8_SE_T6_.uses_flat_scratch, 0
	.set _ZN2at4cuda17kernelHistogram1DIfhlLi1ELi2ELin1ELNS0_23CUDAHistogramMemoryTypeE1EZNS0_21CUDA_tensor_histogramIfhLb1EEEbNS_6TensorES4_S4_lNS_14AccumulateTypeIT0_Lb1EE4typeES8_NS0_13TensorArgTypeES9_S9_EUllE0_EEvNS0_6detail10TensorInfoIT_T1_EESF_NSC_IKS6_SE_EElS8_S8_SE_T6_.has_dyn_sized_stack, 0
	.set _ZN2at4cuda17kernelHistogram1DIfhlLi1ELi2ELin1ELNS0_23CUDAHistogramMemoryTypeE1EZNS0_21CUDA_tensor_histogramIfhLb1EEEbNS_6TensorES4_S4_lNS_14AccumulateTypeIT0_Lb1EE4typeES8_NS0_13TensorArgTypeES9_S9_EUllE0_EEvNS0_6detail10TensorInfoIT_T1_EESF_NSC_IKS6_SE_EElS8_S8_SE_T6_.has_recursion, 0
	.set _ZN2at4cuda17kernelHistogram1DIfhlLi1ELi2ELin1ELNS0_23CUDAHistogramMemoryTypeE1EZNS0_21CUDA_tensor_histogramIfhLb1EEEbNS_6TensorES4_S4_lNS_14AccumulateTypeIT0_Lb1EE4typeES8_NS0_13TensorArgTypeES9_S9_EUllE0_EEvNS0_6detail10TensorInfoIT_T1_EESF_NSC_IKS6_SE_EElS8_S8_SE_T6_.has_indirect_call, 0
	.section	.AMDGPU.csdata,"",@progbits
; Kernel info:
; codeLenInByte = 2104
; TotalNumSgprs: 52
; NumVgprs: 18
; ScratchSize: 0
; MemoryBound: 0
; FloatMode: 240
; IeeeMode: 1
; LDSByteSize: 0 bytes/workgroup (compile time only)
; SGPRBlocks: 6
; VGPRBlocks: 4
; NumSGPRsForWavesPerEU: 52
; NumVGPRsForWavesPerEU: 18
; Occupancy: 10
; WaveLimiterHint : 1
; COMPUTE_PGM_RSRC2:SCRATCH_EN: 0
; COMPUTE_PGM_RSRC2:USER_SGPR: 6
; COMPUTE_PGM_RSRC2:TRAP_HANDLER: 0
; COMPUTE_PGM_RSRC2:TGID_X_EN: 1
; COMPUTE_PGM_RSRC2:TGID_Y_EN: 0
; COMPUTE_PGM_RSRC2:TGID_Z_EN: 0
; COMPUTE_PGM_RSRC2:TIDIG_COMP_CNT: 0
	.section	.text._ZN2at4cuda17kernelHistogram1DIlhlLi1ELi2ELin1ELNS0_23CUDAHistogramMemoryTypeE0EZNS0_21CUDA_tensor_histogramIlhLb0EEEbNS_6TensorES4_S4_lNS_14AccumulateTypeIT0_Lb1EE4typeES8_NS0_13TensorArgTypeES9_S9_EUllE_EEvNS0_6detail10TensorInfoIT_T1_EESF_NSC_IKS6_SE_EElS8_S8_SE_T6_,"axG",@progbits,_ZN2at4cuda17kernelHistogram1DIlhlLi1ELi2ELin1ELNS0_23CUDAHistogramMemoryTypeE0EZNS0_21CUDA_tensor_histogramIlhLb0EEEbNS_6TensorES4_S4_lNS_14AccumulateTypeIT0_Lb1EE4typeES8_NS0_13TensorArgTypeES9_S9_EUllE_EEvNS0_6detail10TensorInfoIT_T1_EESF_NSC_IKS6_SE_EElS8_S8_SE_T6_,comdat
	.protected	_ZN2at4cuda17kernelHistogram1DIlhlLi1ELi2ELin1ELNS0_23CUDAHistogramMemoryTypeE0EZNS0_21CUDA_tensor_histogramIlhLb0EEEbNS_6TensorES4_S4_lNS_14AccumulateTypeIT0_Lb1EE4typeES8_NS0_13TensorArgTypeES9_S9_EUllE_EEvNS0_6detail10TensorInfoIT_T1_EESF_NSC_IKS6_SE_EElS8_S8_SE_T6_ ; -- Begin function _ZN2at4cuda17kernelHistogram1DIlhlLi1ELi2ELin1ELNS0_23CUDAHistogramMemoryTypeE0EZNS0_21CUDA_tensor_histogramIlhLb0EEEbNS_6TensorES4_S4_lNS_14AccumulateTypeIT0_Lb1EE4typeES8_NS0_13TensorArgTypeES9_S9_EUllE_EEvNS0_6detail10TensorInfoIT_T1_EESF_NSC_IKS6_SE_EElS8_S8_SE_T6_
	.globl	_ZN2at4cuda17kernelHistogram1DIlhlLi1ELi2ELin1ELNS0_23CUDAHistogramMemoryTypeE0EZNS0_21CUDA_tensor_histogramIlhLb0EEEbNS_6TensorES4_S4_lNS_14AccumulateTypeIT0_Lb1EE4typeES8_NS0_13TensorArgTypeES9_S9_EUllE_EEvNS0_6detail10TensorInfoIT_T1_EESF_NSC_IKS6_SE_EElS8_S8_SE_T6_
	.p2align	8
	.type	_ZN2at4cuda17kernelHistogram1DIlhlLi1ELi2ELin1ELNS0_23CUDAHistogramMemoryTypeE0EZNS0_21CUDA_tensor_histogramIlhLb0EEEbNS_6TensorES4_S4_lNS_14AccumulateTypeIT0_Lb1EE4typeES8_NS0_13TensorArgTypeES9_S9_EUllE_EEvNS0_6detail10TensorInfoIT_T1_EESF_NSC_IKS6_SE_EElS8_S8_SE_T6_,@function
_ZN2at4cuda17kernelHistogram1DIlhlLi1ELi2ELin1ELNS0_23CUDAHistogramMemoryTypeE0EZNS0_21CUDA_tensor_histogramIlhLb0EEEbNS_6TensorES4_S4_lNS_14AccumulateTypeIT0_Lb1EE4typeES8_NS0_13TensorArgTypeES9_S9_EUllE_EEvNS0_6detail10TensorInfoIT_T1_EESF_NSC_IKS6_SE_EElS8_S8_SE_T6_: ; @_ZN2at4cuda17kernelHistogram1DIlhlLi1ELi2ELin1ELNS0_23CUDAHistogramMemoryTypeE0EZNS0_21CUDA_tensor_histogramIlhLb0EEEbNS_6TensorES4_S4_lNS_14AccumulateTypeIT0_Lb1EE4typeES8_NS0_13TensorArgTypeES9_S9_EUllE_EEvNS0_6detail10TensorInfoIT_T1_EESF_NSC_IKS6_SE_EElS8_S8_SE_T6_
; %bb.0:
	s_load_dwordx4 s[16:19], s[4:5], 0x0
	s_load_dwordx2 s[20:21], s[4:5], 0x500
	s_load_dwordx8 s[8:15], s[4:5], 0x4e0
	v_mov_b32_e32 v1, 0
	s_add_u32 s2, s4, 0x6a0
	s_waitcnt lgkmcnt(0)
	v_cmp_gt_i64_e64 s[0:1], s[18:19], v[0:1]
	v_cmp_le_i64_e32 vcc, s[18:19], v[0:1]
	s_addc_u32 s3, s5, 0
                                        ; implicit-def: $sgpr7
                                        ; implicit-def: $sgpr28
	s_and_saveexec_b64 s[22:23], vcc
	s_xor_b64 s[22:23], exec, s[22:23]
	s_cbranch_execz .LBB4_2
; %bb.1:
	s_load_dword s7, s[2:3], 0xc
	s_waitcnt lgkmcnt(0)
	s_and_b32 s28, s7, 0xffff
.LBB4_2:
	s_or_saveexec_b64 s[26:27], s[22:23]
	s_load_dwordx2 s[22:23], s[4:5], 0xd0
	s_load_dwordx2 s[24:25], s[4:5], 0x5d0
	v_mov_b32_e32 v14, s7
	v_mov_b32_e32 v13, s28
	v_lshl_add_u32 v12, v0, 3, 0
	s_xor_b64 exec, exec, s[26:27]
	s_cbranch_execz .LBB4_6
; %bb.3:
	s_load_dword s7, s[2:3], 0xc
	v_mov_b32_e32 v2, 0
	v_mov_b32_e32 v5, v1
	v_lshl_add_u32 v6, v0, 3, 0
	s_mov_b64 s[28:29], 0
	s_waitcnt lgkmcnt(0)
	s_and_b32 s30, s7, 0xffff
	v_mov_b32_e32 v3, v2
	s_lshl_b32 s31, s30, 3
	v_mov_b32_e32 v4, v0
.LBB4_4:                                ; =>This Inner Loop Header: Depth=1
	v_add_co_u32_e32 v4, vcc, s30, v4
	v_addc_co_u32_e32 v5, vcc, 0, v5, vcc
	v_cmp_le_i64_e32 vcc, s[18:19], v[4:5]
	ds_write_b64 v6, v[2:3]
	s_or_b64 s[28:29], vcc, s[28:29]
	v_add_u32_e32 v6, s31, v6
	s_andn2_b64 exec, exec, s[28:29]
	s_cbranch_execnz .LBB4_4
; %bb.5:
	s_or_b64 exec, exec, s[28:29]
	v_mov_b32_e32 v14, s7
	v_mov_b32_e32 v13, s30
.LBB4_6:
	s_or_b64 exec, exec, s[26:27]
	v_mad_u64_u32 v[2:3], s[6:7], s6, v13, v[0:1]
	v_mov_b32_e32 v4, 0
	v_mov_b32_e32 v3, v4
	v_cmp_gt_i64_e32 vcc, s[14:15], v[2:3]
	s_waitcnt lgkmcnt(0)
	s_barrier
	s_and_saveexec_b64 s[6:7], vcc
	s_cbranch_execz .LBB4_22
; %bb.7:
	s_load_dword s30, s[4:5], 0x4d8
	s_load_dwordx2 s[28:29], s[4:5], 0x340
	s_add_u32 s34, s4, 0x340
	s_load_dword s31, s[2:3], 0x0
	s_load_dwordx2 s[26:27], s[4:5], 0x410
	s_addc_u32 s35, s5, 0
	s_waitcnt lgkmcnt(0)
	s_cmp_gt_i32 s30, 1
	s_cselect_b64 s[2:3], -1, 0
	s_sub_u32 s33, s12, s10
	s_subb_u32 s48, s13, s11
	v_mul_lo_u32 v15, s31, v13
	s_mov_b32 s31, 0
	s_add_i32 s49, s30, 1
	s_add_i32 s30, s30, -1
	s_lshl_b64 s[4:5], s[30:31], 3
	s_add_u32 s4, s34, s4
	s_addc_u32 s5, s35, s5
	s_add_u32 s34, s4, 8
	v_cndmask_b32_e64 v5, 0, 1, s[2:3]
	s_addc_u32 s35, s5, 0
	s_mov_b64 s[36:37], 0
	v_cmp_ne_u32_e64 s[2:3], 1, v5
	s_branch .LBB4_10
.LBB4_8:                                ;   in Loop: Header=BB4_10 Depth=1
	s_or_b64 exec, exec, s[4:5]
	v_mul_lo_u32 v7, v3, s24
	v_mul_lo_u32 v9, v2, s25
	v_mad_u64_u32 v[5:6], s[4:5], v2, s24, 0
	v_add3_u32 v6, v6, v9, v7
	v_lshlrev_b64 v[5:6], 3, v[5:6]
	v_mov_b32_e32 v7, s21
	v_add_co_u32_e32 v5, vcc, s20, v5
	v_addc_co_u32_e32 v6, vcc, v7, v6, vcc
	global_load_dwordx2 v[5:6], v[5:6], off
	v_ashrrev_i32_e32 v9, 31, v8
	v_cmp_eq_u64_e32 vcc, s[8:9], v[8:9]
	v_subbrev_co_u32_e32 v7, vcc, 0, v8, vcc
	v_lshl_add_u32 v7, v7, 3, 0
	s_waitcnt vmcnt(0)
	ds_add_u64 v7, v[5:6]
.LBB4_9:                                ;   in Loop: Header=BB4_10 Depth=1
	s_or_b64 exec, exec, s[38:39]
	v_add_co_u32_e32 v2, vcc, v2, v15
	v_addc_co_u32_e32 v3, vcc, 0, v3, vcc
	v_cmp_le_i64_e32 vcc, s[14:15], v[2:3]
	s_or_b64 s[36:37], vcc, s[36:37]
	s_andn2_b64 exec, exec, s[36:37]
	s_cbranch_execz .LBB4_22
.LBB4_10:                               ; =>This Loop Header: Depth=1
                                        ;     Child Loop BB4_11 Depth 2
	v_mov_b32_e32 v6, 0
	v_mov_b32_e32 v9, v3
	;; [unrolled: 1-line block ×4, first 2 shown]
	s_and_b64 vcc, exec, s[2:3]
	s_mov_b64 s[38:39], s[34:35]
	s_mov_b32 s30, s49
	v_mov_b32_e32 v8, v2
	v_mov_b32_e32 v10, v2
	s_cbranch_vccnz .LBB4_17
.LBB4_11:                               ;   Parent Loop BB4_10 Depth=1
                                        ; =>  This Inner Loop Header: Depth=2
	s_load_dwordx2 s[40:41], s[38:39], 0x0
                                        ; implicit-def: $vgpr10_vgpr11
	s_waitcnt lgkmcnt(0)
	v_or_b32_e32 v5, s41, v9
	v_cmp_ne_u64_e32 vcc, 0, v[4:5]
	s_and_saveexec_b64 s[4:5], vcc
	s_xor_b64 s[42:43], exec, s[4:5]
	s_cbranch_execz .LBB4_13
; %bb.12:                               ;   in Loop: Header=BB4_11 Depth=2
	s_ashr_i32 s44, s41, 31
	s_add_u32 s4, s40, s44
	s_mov_b32 s45, s44
	s_addc_u32 s5, s41, s44
	s_xor_b64 s[46:47], s[4:5], s[44:45]
	v_cvt_f32_u32_e32 v5, s46
	v_cvt_f32_u32_e32 v10, s47
	s_sub_u32 s45, 0, s46
	s_subb_u32 s50, 0, s47
	v_mac_f32_e32 v5, 0x4f800000, v10
	v_rcp_f32_e32 v5, v5
	v_mul_f32_e32 v5, 0x5f7ffffc, v5
	v_mul_f32_e32 v10, 0x2f800000, v5
	v_trunc_f32_e32 v10, v10
	v_mac_f32_e32 v5, 0xcf800000, v10
	v_cvt_u32_f32_e32 v10, v10
	v_cvt_u32_f32_e32 v5, v5
	v_readfirstlane_b32 s51, v10
	v_readfirstlane_b32 s4, v5
	s_mul_i32 s5, s45, s51
	s_mul_hi_u32 s53, s45, s4
	s_mul_i32 s52, s50, s4
	s_add_i32 s5, s53, s5
	s_add_i32 s5, s5, s52
	s_mul_i32 s54, s45, s4
	s_mul_i32 s53, s4, s5
	s_mul_hi_u32 s55, s4, s54
	s_mul_hi_u32 s52, s4, s5
	s_add_u32 s53, s55, s53
	s_addc_u32 s52, 0, s52
	s_mul_hi_u32 s56, s51, s54
	s_mul_i32 s54, s51, s54
	s_add_u32 s53, s53, s54
	s_mul_hi_u32 s55, s51, s5
	s_addc_u32 s52, s52, s56
	s_addc_u32 s53, s55, 0
	s_mul_i32 s5, s51, s5
	s_add_u32 s5, s52, s5
	s_addc_u32 s52, 0, s53
	s_add_u32 s53, s4, s5
	s_cselect_b64 s[4:5], -1, 0
	s_cmp_lg_u64 s[4:5], 0
	s_addc_u32 s51, s51, s52
	s_mul_i32 s4, s45, s51
	s_mul_hi_u32 s5, s45, s53
	s_add_i32 s4, s5, s4
	s_mul_i32 s50, s50, s53
	s_add_i32 s4, s4, s50
	s_mul_i32 s45, s45, s53
	s_mul_hi_u32 s50, s51, s45
	s_mul_i32 s52, s51, s45
	s_mul_i32 s55, s53, s4
	s_mul_hi_u32 s45, s53, s45
	s_mul_hi_u32 s54, s53, s4
	s_add_u32 s45, s45, s55
	s_addc_u32 s54, 0, s54
	s_add_u32 s45, s45, s52
	s_mul_hi_u32 s5, s51, s4
	s_addc_u32 s45, s54, s50
	s_addc_u32 s5, s5, 0
	s_mul_i32 s4, s51, s4
	s_add_u32 s4, s45, s4
	s_addc_u32 s45, 0, s5
	s_add_u32 s50, s53, s4
	s_cselect_b64 s[4:5], -1, 0
	v_ashrrev_i32_e32 v5, 31, v9
	s_cmp_lg_u64 s[4:5], 0
	v_add_co_u32_e32 v10, vcc, v8, v5
	s_addc_u32 s45, s51, s45
	v_xor_b32_e32 v18, v10, v5
	v_mad_u64_u32 v[10:11], s[4:5], v18, s45, 0
	v_mul_hi_u32 v17, v18, s50
	v_addc_co_u32_e32 v16, vcc, v9, v5, vcc
	v_xor_b32_e32 v19, v16, v5
	v_add_co_u32_e32 v20, vcc, v17, v10
	v_addc_co_u32_e32 v21, vcc, 0, v11, vcc
	v_mad_u64_u32 v[10:11], s[4:5], v19, s50, 0
	v_mad_u64_u32 v[16:17], s[4:5], v19, s45, 0
	v_add_co_u32_e32 v10, vcc, v20, v10
	v_addc_co_u32_e32 v10, vcc, v21, v11, vcc
	v_addc_co_u32_e32 v11, vcc, 0, v17, vcc
	v_add_co_u32_e32 v16, vcc, v10, v16
	v_addc_co_u32_e32 v17, vcc, 0, v11, vcc
	v_mul_lo_u32 v20, s47, v16
	v_mul_lo_u32 v21, s46, v17
	v_mad_u64_u32 v[10:11], s[4:5], s46, v16, 0
	v_xor_b32_e32 v5, s44, v5
	v_add3_u32 v11, v11, v21, v20
	v_sub_u32_e32 v20, v19, v11
	v_mov_b32_e32 v21, s47
	v_sub_co_u32_e32 v10, vcc, v18, v10
	v_subb_co_u32_e64 v18, s[4:5], v20, v21, vcc
	v_subrev_co_u32_e64 v20, s[4:5], s46, v10
	v_subbrev_co_u32_e64 v18, s[4:5], 0, v18, s[4:5]
	v_cmp_le_u32_e64 s[4:5], s47, v18
	v_cndmask_b32_e64 v21, 0, -1, s[4:5]
	v_cmp_le_u32_e64 s[4:5], s46, v20
	v_cndmask_b32_e64 v20, 0, -1, s[4:5]
	v_cmp_eq_u32_e64 s[4:5], s47, v18
	v_cndmask_b32_e64 v18, v21, v20, s[4:5]
	v_add_co_u32_e64 v20, s[4:5], 2, v16
	v_subb_co_u32_e32 v11, vcc, v19, v11, vcc
	v_addc_co_u32_e64 v21, s[4:5], 0, v17, s[4:5]
	v_cmp_le_u32_e32 vcc, s47, v11
	v_add_co_u32_e64 v22, s[4:5], 1, v16
	v_cndmask_b32_e64 v19, 0, -1, vcc
	v_cmp_le_u32_e32 vcc, s46, v10
	v_addc_co_u32_e64 v23, s[4:5], 0, v17, s[4:5]
	v_cndmask_b32_e64 v10, 0, -1, vcc
	v_cmp_eq_u32_e32 vcc, s47, v11
	v_cmp_ne_u32_e64 s[4:5], 0, v18
	v_cndmask_b32_e32 v10, v19, v10, vcc
	v_cndmask_b32_e64 v18, v23, v21, s[4:5]
	v_cmp_ne_u32_e32 vcc, 0, v10
	v_cndmask_b32_e64 v11, v22, v20, s[4:5]
	v_cndmask_b32_e32 v10, v17, v18, vcc
	v_cndmask_b32_e32 v11, v16, v11, vcc
	v_xor_b32_e32 v16, v10, v5
	v_xor_b32_e32 v10, v11, v5
	v_sub_co_u32_e32 v10, vcc, v10, v5
	v_subb_co_u32_e32 v11, vcc, v16, v5, vcc
.LBB4_13:                               ;   in Loop: Header=BB4_11 Depth=2
	s_andn2_saveexec_b64 s[4:5], s[42:43]
	s_cbranch_execz .LBB4_15
; %bb.14:                               ;   in Loop: Header=BB4_11 Depth=2
	v_cvt_f32_u32_e32 v5, s40
	s_sub_i32 s42, 0, s40
	v_rcp_iflag_f32_e32 v5, v5
	v_mul_f32_e32 v5, 0x4f7ffffe, v5
	v_cvt_u32_f32_e32 v5, v5
	v_mul_lo_u32 v10, s42, v5
	v_mul_hi_u32 v10, v5, v10
	v_add_u32_e32 v5, v5, v10
	v_mul_hi_u32 v5, v8, v5
	v_mul_lo_u32 v10, v5, s40
	v_add_u32_e32 v11, 1, v5
	v_sub_u32_e32 v10, v8, v10
	v_subrev_u32_e32 v16, s40, v10
	v_cmp_le_u32_e32 vcc, s40, v10
	v_cndmask_b32_e32 v10, v10, v16, vcc
	v_cndmask_b32_e32 v5, v5, v11, vcc
	v_add_u32_e32 v11, 1, v5
	v_cmp_le_u32_e32 vcc, s40, v10
	v_cndmask_b32_e32 v10, v5, v11, vcc
	v_mov_b32_e32 v11, v4
.LBB4_15:                               ;   in Loop: Header=BB4_11 Depth=2
	s_or_b64 exec, exec, s[4:5]
	v_mul_lo_u32 v5, v11, s40
	v_mul_lo_u32 v18, v10, s41
	v_mad_u64_u32 v[16:17], s[4:5], v10, s40, 0
	s_load_dwordx2 s[4:5], s[38:39], 0xc8
	s_add_i32 s30, s30, -1
	v_add3_u32 v5, v17, v18, v5
	v_sub_co_u32_e32 v8, vcc, v8, v16
	v_subb_co_u32_e32 v5, vcc, v9, v5, vcc
	s_waitcnt lgkmcnt(0)
	v_mul_lo_u32 v5, s4, v5
	v_mul_lo_u32 v9, s5, v8
	v_mad_u64_u32 v[6:7], s[4:5], s4, v8, v[6:7]
	s_add_u32 s38, s38, -8
	s_addc_u32 s39, s39, -1
	s_cmp_gt_u32 s30, 2
	v_add3_u32 v7, v9, v7, v5
	s_cbranch_scc0 .LBB4_17
; %bb.16:                               ;   in Loop: Header=BB4_11 Depth=2
	v_mov_b32_e32 v8, v10
	v_mov_b32_e32 v9, v11
	s_branch .LBB4_11
.LBB4_17:                               ;   in Loop: Header=BB4_10 Depth=1
	v_mov_b32_e32 v8, s28
	v_mov_b32_e32 v9, s29
	v_mul_lo_u32 v5, s26, v11
	v_mul_lo_u32 v11, s27, v10
	v_mad_u64_u32 v[8:9], s[4:5], s26, v10, v[8:9]
	v_add3_u32 v9, v11, v9, v5
	v_add_co_u32_e32 v5, vcc, v8, v6
	v_addc_co_u32_e32 v6, vcc, v9, v7, vcc
	global_load_ubyte v5, v[5:6], off
	v_mov_b32_e32 v6, s31
	s_waitcnt vmcnt(0)
	v_and_b32_e32 v5, 0xffff, v5
	v_cmp_le_i64_e32 vcc, s[10:11], v[5:6]
	v_cmp_ge_i64_e64 s[4:5], s[12:13], v[5:6]
	s_and_b64 s[4:5], vcc, s[4:5]
	s_and_saveexec_b64 s[38:39], s[4:5]
	s_cbranch_execz .LBB4_9
; %bb.18:                               ;   in Loop: Header=BB4_10 Depth=1
	v_mov_b32_e32 v6, s11
	v_subrev_co_u32_e32 v5, vcc, s10, v5
	v_subb_co_u32_e32 v6, vcc, 0, v6, vcc
	v_mul_lo_u32 v8, v6, s8
	v_mul_lo_u32 v9, v5, s9
	v_mad_u64_u32 v[6:7], s[4:5], v5, s8, 0
	v_add3_u32 v7, v7, v9, v8
	v_or_b32_e32 v5, s48, v7
	v_cmp_ne_u64_e32 vcc, 0, v[4:5]
                                        ; implicit-def: $vgpr8_vgpr9
	s_and_saveexec_b64 s[4:5], vcc
	s_xor_b64 s[40:41], exec, s[4:5]
	s_cbranch_execz .LBB4_20
; %bb.19:                               ;   in Loop: Header=BB4_10 Depth=1
	s_ashr_i32 s42, s48, 31
	s_add_u32 s4, s33, s42
	s_mov_b32 s43, s42
	s_addc_u32 s5, s48, s42
	s_xor_b64 s[44:45], s[4:5], s[42:43]
	v_cvt_f32_u32_e32 v5, s44
	v_cvt_f32_u32_e32 v8, s45
	s_sub_u32 s30, 0, s44
	s_subb_u32 s43, 0, s45
	v_ashrrev_i32_e32 v9, 31, v7
	v_mac_f32_e32 v5, 0x4f800000, v8
	v_rcp_f32_e32 v5, v5
	v_mul_f32_e32 v5, 0x5f7ffffc, v5
	v_mul_f32_e32 v8, 0x2f800000, v5
	v_trunc_f32_e32 v8, v8
	v_mac_f32_e32 v5, 0xcf800000, v8
	v_cvt_u32_f32_e32 v8, v8
	v_cvt_u32_f32_e32 v5, v5
	v_readfirstlane_b32 s46, v8
	v_readfirstlane_b32 s4, v5
	s_mul_i32 s5, s30, s46
	s_mul_hi_u32 s50, s30, s4
	s_mul_i32 s47, s43, s4
	s_add_i32 s5, s50, s5
	s_add_i32 s5, s5, s47
	s_mul_i32 s51, s30, s4
	s_mul_i32 s50, s4, s5
	s_mul_hi_u32 s52, s4, s51
	s_mul_hi_u32 s47, s4, s5
	s_add_u32 s50, s52, s50
	s_addc_u32 s47, 0, s47
	s_mul_hi_u32 s53, s46, s51
	s_mul_i32 s51, s46, s51
	s_add_u32 s50, s50, s51
	s_mul_hi_u32 s52, s46, s5
	s_addc_u32 s47, s47, s53
	s_addc_u32 s50, s52, 0
	s_mul_i32 s5, s46, s5
	s_add_u32 s5, s47, s5
	s_addc_u32 s47, 0, s50
	s_add_u32 s50, s4, s5
	s_cselect_b64 s[4:5], -1, 0
	s_cmp_lg_u64 s[4:5], 0
	s_addc_u32 s46, s46, s47
	s_mul_i32 s4, s30, s46
	s_mul_hi_u32 s5, s30, s50
	s_add_i32 s4, s5, s4
	s_mul_i32 s43, s43, s50
	s_add_i32 s4, s4, s43
	s_mul_i32 s30, s30, s50
	s_mul_hi_u32 s43, s46, s30
	s_mul_i32 s47, s46, s30
	s_mul_i32 s52, s50, s4
	s_mul_hi_u32 s30, s50, s30
	s_mul_hi_u32 s51, s50, s4
	s_add_u32 s30, s30, s52
	s_addc_u32 s51, 0, s51
	s_add_u32 s30, s30, s47
	s_mul_hi_u32 s5, s46, s4
	s_addc_u32 s30, s51, s43
	s_addc_u32 s5, s5, 0
	s_mul_i32 s4, s46, s4
	s_add_u32 s4, s30, s4
	s_addc_u32 s30, 0, s5
	s_add_u32 s43, s50, s4
	s_cselect_b64 s[4:5], -1, 0
	s_cmp_lg_u64 s[4:5], 0
	v_add_co_u32_e32 v5, vcc, v6, v9
	s_addc_u32 s30, s46, s30
	v_xor_b32_e32 v10, v5, v9
	v_mad_u64_u32 v[5:6], s[4:5], v10, s30, 0
	v_mul_hi_u32 v8, v10, s43
	v_addc_co_u32_e32 v7, vcc, v7, v9, vcc
	v_xor_b32_e32 v11, v7, v9
	v_add_co_u32_e32 v16, vcc, v8, v5
	v_addc_co_u32_e32 v17, vcc, 0, v6, vcc
	v_mad_u64_u32 v[5:6], s[4:5], v11, s43, 0
	v_mad_u64_u32 v[7:8], s[4:5], v11, s30, 0
	v_add_co_u32_e32 v5, vcc, v16, v5
	v_addc_co_u32_e32 v5, vcc, v17, v6, vcc
	v_addc_co_u32_e32 v6, vcc, 0, v8, vcc
	v_add_co_u32_e32 v7, vcc, v5, v7
	v_addc_co_u32_e32 v5, vcc, 0, v6, vcc
	v_mul_lo_u32 v8, s45, v7
	v_mul_lo_u32 v16, s44, v5
	v_mad_u64_u32 v[5:6], s[4:5], s44, v7, 0
	v_add3_u32 v6, v6, v16, v8
	v_sub_u32_e32 v8, v11, v6
	v_mov_b32_e32 v16, s45
	v_sub_co_u32_e32 v5, vcc, v10, v5
	v_subb_co_u32_e64 v8, s[4:5], v8, v16, vcc
	v_subrev_co_u32_e64 v10, s[4:5], s44, v5
	v_subbrev_co_u32_e64 v8, s[4:5], 0, v8, s[4:5]
	v_cmp_le_u32_e64 s[4:5], s45, v8
	v_subb_co_u32_e32 v6, vcc, v11, v6, vcc
	v_cndmask_b32_e64 v16, 0, -1, s[4:5]
	v_cmp_le_u32_e64 s[4:5], s44, v10
	v_cmp_le_u32_e32 vcc, s45, v6
	v_cndmask_b32_e64 v10, 0, -1, s[4:5]
	v_cmp_eq_u32_e64 s[4:5], s45, v8
	v_cndmask_b32_e64 v11, 0, -1, vcc
	v_cmp_le_u32_e32 vcc, s44, v5
	v_cndmask_b32_e64 v8, v16, v10, s[4:5]
	v_cndmask_b32_e64 v5, 0, -1, vcc
	v_cmp_eq_u32_e32 vcc, s45, v6
	v_add_co_u32_e64 v10, s[4:5], 2, v7
	v_add_co_u32_e64 v16, s[4:5], 1, v7
	v_cndmask_b32_e32 v5, v11, v5, vcc
	v_cmp_ne_u32_e32 vcc, 0, v8
	v_cndmask_b32_e32 v6, v16, v10, vcc
	v_cmp_ne_u32_e32 vcc, 0, v5
	v_cndmask_b32_e32 v5, v7, v6, vcc
	v_xor_b32_e32 v6, s42, v9
	v_xor_b32_e32 v5, v5, v6
	v_sub_co_u32_e32 v8, vcc, v5, v6
                                        ; implicit-def: $vgpr6_vgpr7
.LBB4_20:                               ;   in Loop: Header=BB4_10 Depth=1
	s_andn2_saveexec_b64 s[4:5], s[40:41]
	s_cbranch_execz .LBB4_8
; %bb.21:                               ;   in Loop: Header=BB4_10 Depth=1
	v_cvt_f32_u32_e32 v5, s33
	s_sub_i32 s30, 0, s33
	v_rcp_iflag_f32_e32 v5, v5
	v_mul_f32_e32 v5, 0x4f7ffffe, v5
	v_cvt_u32_f32_e32 v5, v5
	v_mul_lo_u32 v7, s30, v5
	v_mul_hi_u32 v7, v5, v7
	v_add_u32_e32 v5, v5, v7
	v_mul_hi_u32 v5, v6, v5
	v_mul_lo_u32 v7, v5, s33
	v_add_u32_e32 v8, 1, v5
	v_sub_u32_e32 v6, v6, v7
	v_subrev_u32_e32 v7, s33, v6
	v_cmp_le_u32_e32 vcc, s33, v6
	v_cndmask_b32_e32 v6, v6, v7, vcc
	v_cndmask_b32_e32 v5, v5, v8, vcc
	v_add_u32_e32 v7, 1, v5
	v_cmp_le_u32_e32 vcc, s33, v6
	v_cndmask_b32_e32 v8, v5, v7, vcc
	s_branch .LBB4_8
.LBB4_22:
	s_or_b64 exec, exec, s[6:7]
; %bb.23:
	s_waitcnt lgkmcnt(0)
	s_barrier
	s_and_saveexec_b64 s[2:3], s[0:1]
	s_cbranch_execz .LBB4_26
; %bb.24:
	v_mad_u64_u32 v[2:3], s[0:1], s22, v0, 0
	v_and_b32_e32 v6, 0xffff, v14
	v_mov_b32_e32 v9, s17
	v_mad_u64_u32 v[3:4], s[0:1], s23, v0, v[3:4]
	v_mad_u64_u32 v[4:5], s[0:1], s22, v6, 0
	v_lshlrev_b64 v[2:3], 3, v[2:3]
	v_mad_u64_u32 v[7:8], s[0:1], s23, v6, v[5:6]
	v_add_co_u32_e32 v2, vcc, s16, v2
	v_mov_b32_e32 v5, v7
	v_lshlrev_b64 v[4:5], 3, v[4:5]
	v_addc_co_u32_e32 v3, vcc, v9, v3, vcc
	v_lshlrev_b32_e32 v7, 3, v13
	s_mov_b64 s[0:1], 0
.LBB4_25:                               ; =>This Inner Loop Header: Depth=1
	ds_read_b64 v[8:9], v12
	v_add_co_u32_e32 v0, vcc, v0, v6
	v_addc_co_u32_e32 v1, vcc, 0, v1, vcc
	s_waitcnt lgkmcnt(0)
	global_atomic_add_x2 v[2:3], v[8:9], off
	v_cmp_le_i64_e32 vcc, s[18:19], v[0:1]
	v_add_u32_e32 v12, v12, v7
	s_or_b64 s[0:1], vcc, s[0:1]
	v_add_co_u32_e32 v2, vcc, v2, v4
	v_addc_co_u32_e32 v3, vcc, v3, v5, vcc
	s_andn2_b64 exec, exec, s[0:1]
	s_cbranch_execnz .LBB4_25
.LBB4_26:
	s_endpgm
	.section	.rodata,"a",@progbits
	.p2align	6, 0x0
	.amdhsa_kernel _ZN2at4cuda17kernelHistogram1DIlhlLi1ELi2ELin1ELNS0_23CUDAHistogramMemoryTypeE0EZNS0_21CUDA_tensor_histogramIlhLb0EEEbNS_6TensorES4_S4_lNS_14AccumulateTypeIT0_Lb1EE4typeES8_NS0_13TensorArgTypeES9_S9_EUllE_EEvNS0_6detail10TensorInfoIT_T1_EESF_NSC_IKS6_SE_EElS8_S8_SE_T6_
		.amdhsa_group_segment_fixed_size 0
		.amdhsa_private_segment_fixed_size 0
		.amdhsa_kernarg_size 1952
		.amdhsa_user_sgpr_count 6
		.amdhsa_user_sgpr_private_segment_buffer 1
		.amdhsa_user_sgpr_dispatch_ptr 0
		.amdhsa_user_sgpr_queue_ptr 0
		.amdhsa_user_sgpr_kernarg_segment_ptr 1
		.amdhsa_user_sgpr_dispatch_id 0
		.amdhsa_user_sgpr_flat_scratch_init 0
		.amdhsa_user_sgpr_private_segment_size 0
		.amdhsa_uses_dynamic_stack 0
		.amdhsa_system_sgpr_private_segment_wavefront_offset 0
		.amdhsa_system_sgpr_workgroup_id_x 1
		.amdhsa_system_sgpr_workgroup_id_y 0
		.amdhsa_system_sgpr_workgroup_id_z 0
		.amdhsa_system_sgpr_workgroup_info 0
		.amdhsa_system_vgpr_workitem_id 0
		.amdhsa_next_free_vgpr 24
		.amdhsa_next_free_sgpr 57
		.amdhsa_reserve_vcc 1
		.amdhsa_reserve_flat_scratch 0
		.amdhsa_float_round_mode_32 0
		.amdhsa_float_round_mode_16_64 0
		.amdhsa_float_denorm_mode_32 3
		.amdhsa_float_denorm_mode_16_64 3
		.amdhsa_dx10_clamp 1
		.amdhsa_ieee_mode 1
		.amdhsa_fp16_overflow 0
		.amdhsa_exception_fp_ieee_invalid_op 0
		.amdhsa_exception_fp_denorm_src 0
		.amdhsa_exception_fp_ieee_div_zero 0
		.amdhsa_exception_fp_ieee_overflow 0
		.amdhsa_exception_fp_ieee_underflow 0
		.amdhsa_exception_fp_ieee_inexact 0
		.amdhsa_exception_int_div_zero 0
	.end_amdhsa_kernel
	.section	.text._ZN2at4cuda17kernelHistogram1DIlhlLi1ELi2ELin1ELNS0_23CUDAHistogramMemoryTypeE0EZNS0_21CUDA_tensor_histogramIlhLb0EEEbNS_6TensorES4_S4_lNS_14AccumulateTypeIT0_Lb1EE4typeES8_NS0_13TensorArgTypeES9_S9_EUllE_EEvNS0_6detail10TensorInfoIT_T1_EESF_NSC_IKS6_SE_EElS8_S8_SE_T6_,"axG",@progbits,_ZN2at4cuda17kernelHistogram1DIlhlLi1ELi2ELin1ELNS0_23CUDAHistogramMemoryTypeE0EZNS0_21CUDA_tensor_histogramIlhLb0EEEbNS_6TensorES4_S4_lNS_14AccumulateTypeIT0_Lb1EE4typeES8_NS0_13TensorArgTypeES9_S9_EUllE_EEvNS0_6detail10TensorInfoIT_T1_EESF_NSC_IKS6_SE_EElS8_S8_SE_T6_,comdat
.Lfunc_end4:
	.size	_ZN2at4cuda17kernelHistogram1DIlhlLi1ELi2ELin1ELNS0_23CUDAHistogramMemoryTypeE0EZNS0_21CUDA_tensor_histogramIlhLb0EEEbNS_6TensorES4_S4_lNS_14AccumulateTypeIT0_Lb1EE4typeES8_NS0_13TensorArgTypeES9_S9_EUllE_EEvNS0_6detail10TensorInfoIT_T1_EESF_NSC_IKS6_SE_EElS8_S8_SE_T6_, .Lfunc_end4-_ZN2at4cuda17kernelHistogram1DIlhlLi1ELi2ELin1ELNS0_23CUDAHistogramMemoryTypeE0EZNS0_21CUDA_tensor_histogramIlhLb0EEEbNS_6TensorES4_S4_lNS_14AccumulateTypeIT0_Lb1EE4typeES8_NS0_13TensorArgTypeES9_S9_EUllE_EEvNS0_6detail10TensorInfoIT_T1_EESF_NSC_IKS6_SE_EElS8_S8_SE_T6_
                                        ; -- End function
	.set _ZN2at4cuda17kernelHistogram1DIlhlLi1ELi2ELin1ELNS0_23CUDAHistogramMemoryTypeE0EZNS0_21CUDA_tensor_histogramIlhLb0EEEbNS_6TensorES4_S4_lNS_14AccumulateTypeIT0_Lb1EE4typeES8_NS0_13TensorArgTypeES9_S9_EUllE_EEvNS0_6detail10TensorInfoIT_T1_EESF_NSC_IKS6_SE_EElS8_S8_SE_T6_.num_vgpr, 24
	.set _ZN2at4cuda17kernelHistogram1DIlhlLi1ELi2ELin1ELNS0_23CUDAHistogramMemoryTypeE0EZNS0_21CUDA_tensor_histogramIlhLb0EEEbNS_6TensorES4_S4_lNS_14AccumulateTypeIT0_Lb1EE4typeES8_NS0_13TensorArgTypeES9_S9_EUllE_EEvNS0_6detail10TensorInfoIT_T1_EESF_NSC_IKS6_SE_EElS8_S8_SE_T6_.num_agpr, 0
	.set _ZN2at4cuda17kernelHistogram1DIlhlLi1ELi2ELin1ELNS0_23CUDAHistogramMemoryTypeE0EZNS0_21CUDA_tensor_histogramIlhLb0EEEbNS_6TensorES4_S4_lNS_14AccumulateTypeIT0_Lb1EE4typeES8_NS0_13TensorArgTypeES9_S9_EUllE_EEvNS0_6detail10TensorInfoIT_T1_EESF_NSC_IKS6_SE_EElS8_S8_SE_T6_.numbered_sgpr, 57
	.set _ZN2at4cuda17kernelHistogram1DIlhlLi1ELi2ELin1ELNS0_23CUDAHistogramMemoryTypeE0EZNS0_21CUDA_tensor_histogramIlhLb0EEEbNS_6TensorES4_S4_lNS_14AccumulateTypeIT0_Lb1EE4typeES8_NS0_13TensorArgTypeES9_S9_EUllE_EEvNS0_6detail10TensorInfoIT_T1_EESF_NSC_IKS6_SE_EElS8_S8_SE_T6_.num_named_barrier, 0
	.set _ZN2at4cuda17kernelHistogram1DIlhlLi1ELi2ELin1ELNS0_23CUDAHistogramMemoryTypeE0EZNS0_21CUDA_tensor_histogramIlhLb0EEEbNS_6TensorES4_S4_lNS_14AccumulateTypeIT0_Lb1EE4typeES8_NS0_13TensorArgTypeES9_S9_EUllE_EEvNS0_6detail10TensorInfoIT_T1_EESF_NSC_IKS6_SE_EElS8_S8_SE_T6_.private_seg_size, 0
	.set _ZN2at4cuda17kernelHistogram1DIlhlLi1ELi2ELin1ELNS0_23CUDAHistogramMemoryTypeE0EZNS0_21CUDA_tensor_histogramIlhLb0EEEbNS_6TensorES4_S4_lNS_14AccumulateTypeIT0_Lb1EE4typeES8_NS0_13TensorArgTypeES9_S9_EUllE_EEvNS0_6detail10TensorInfoIT_T1_EESF_NSC_IKS6_SE_EElS8_S8_SE_T6_.uses_vcc, 1
	.set _ZN2at4cuda17kernelHistogram1DIlhlLi1ELi2ELin1ELNS0_23CUDAHistogramMemoryTypeE0EZNS0_21CUDA_tensor_histogramIlhLb0EEEbNS_6TensorES4_S4_lNS_14AccumulateTypeIT0_Lb1EE4typeES8_NS0_13TensorArgTypeES9_S9_EUllE_EEvNS0_6detail10TensorInfoIT_T1_EESF_NSC_IKS6_SE_EElS8_S8_SE_T6_.uses_flat_scratch, 0
	.set _ZN2at4cuda17kernelHistogram1DIlhlLi1ELi2ELin1ELNS0_23CUDAHistogramMemoryTypeE0EZNS0_21CUDA_tensor_histogramIlhLb0EEEbNS_6TensorES4_S4_lNS_14AccumulateTypeIT0_Lb1EE4typeES8_NS0_13TensorArgTypeES9_S9_EUllE_EEvNS0_6detail10TensorInfoIT_T1_EESF_NSC_IKS6_SE_EElS8_S8_SE_T6_.has_dyn_sized_stack, 0
	.set _ZN2at4cuda17kernelHistogram1DIlhlLi1ELi2ELin1ELNS0_23CUDAHistogramMemoryTypeE0EZNS0_21CUDA_tensor_histogramIlhLb0EEEbNS_6TensorES4_S4_lNS_14AccumulateTypeIT0_Lb1EE4typeES8_NS0_13TensorArgTypeES9_S9_EUllE_EEvNS0_6detail10TensorInfoIT_T1_EESF_NSC_IKS6_SE_EElS8_S8_SE_T6_.has_recursion, 0
	.set _ZN2at4cuda17kernelHistogram1DIlhlLi1ELi2ELin1ELNS0_23CUDAHistogramMemoryTypeE0EZNS0_21CUDA_tensor_histogramIlhLb0EEEbNS_6TensorES4_S4_lNS_14AccumulateTypeIT0_Lb1EE4typeES8_NS0_13TensorArgTypeES9_S9_EUllE_EEvNS0_6detail10TensorInfoIT_T1_EESF_NSC_IKS6_SE_EElS8_S8_SE_T6_.has_indirect_call, 0
	.section	.AMDGPU.csdata,"",@progbits
; Kernel info:
; codeLenInByte = 2416
; TotalNumSgprs: 61
; NumVgprs: 24
; ScratchSize: 0
; MemoryBound: 0
; FloatMode: 240
; IeeeMode: 1
; LDSByteSize: 0 bytes/workgroup (compile time only)
; SGPRBlocks: 7
; VGPRBlocks: 5
; NumSGPRsForWavesPerEU: 61
; NumVGPRsForWavesPerEU: 24
; Occupancy: 10
; WaveLimiterHint : 1
; COMPUTE_PGM_RSRC2:SCRATCH_EN: 0
; COMPUTE_PGM_RSRC2:USER_SGPR: 6
; COMPUTE_PGM_RSRC2:TRAP_HANDLER: 0
; COMPUTE_PGM_RSRC2:TGID_X_EN: 1
; COMPUTE_PGM_RSRC2:TGID_Y_EN: 0
; COMPUTE_PGM_RSRC2:TGID_Z_EN: 0
; COMPUTE_PGM_RSRC2:TIDIG_COMP_CNT: 0
	.section	.text._ZN2at4cuda17kernelHistogram1DIlhlLi1ELi2ELin1ELNS0_23CUDAHistogramMemoryTypeE1EZNS0_21CUDA_tensor_histogramIlhLb0EEEbNS_6TensorES4_S4_lNS_14AccumulateTypeIT0_Lb1EE4typeES8_NS0_13TensorArgTypeES9_S9_EUllE_EEvNS0_6detail10TensorInfoIT_T1_EESF_NSC_IKS6_SE_EElS8_S8_SE_T6_,"axG",@progbits,_ZN2at4cuda17kernelHistogram1DIlhlLi1ELi2ELin1ELNS0_23CUDAHistogramMemoryTypeE1EZNS0_21CUDA_tensor_histogramIlhLb0EEEbNS_6TensorES4_S4_lNS_14AccumulateTypeIT0_Lb1EE4typeES8_NS0_13TensorArgTypeES9_S9_EUllE_EEvNS0_6detail10TensorInfoIT_T1_EESF_NSC_IKS6_SE_EElS8_S8_SE_T6_,comdat
	.protected	_ZN2at4cuda17kernelHistogram1DIlhlLi1ELi2ELin1ELNS0_23CUDAHistogramMemoryTypeE1EZNS0_21CUDA_tensor_histogramIlhLb0EEEbNS_6TensorES4_S4_lNS_14AccumulateTypeIT0_Lb1EE4typeES8_NS0_13TensorArgTypeES9_S9_EUllE_EEvNS0_6detail10TensorInfoIT_T1_EESF_NSC_IKS6_SE_EElS8_S8_SE_T6_ ; -- Begin function _ZN2at4cuda17kernelHistogram1DIlhlLi1ELi2ELin1ELNS0_23CUDAHistogramMemoryTypeE1EZNS0_21CUDA_tensor_histogramIlhLb0EEEbNS_6TensorES4_S4_lNS_14AccumulateTypeIT0_Lb1EE4typeES8_NS0_13TensorArgTypeES9_S9_EUllE_EEvNS0_6detail10TensorInfoIT_T1_EESF_NSC_IKS6_SE_EElS8_S8_SE_T6_
	.globl	_ZN2at4cuda17kernelHistogram1DIlhlLi1ELi2ELin1ELNS0_23CUDAHistogramMemoryTypeE1EZNS0_21CUDA_tensor_histogramIlhLb0EEEbNS_6TensorES4_S4_lNS_14AccumulateTypeIT0_Lb1EE4typeES8_NS0_13TensorArgTypeES9_S9_EUllE_EEvNS0_6detail10TensorInfoIT_T1_EESF_NSC_IKS6_SE_EElS8_S8_SE_T6_
	.p2align	8
	.type	_ZN2at4cuda17kernelHistogram1DIlhlLi1ELi2ELin1ELNS0_23CUDAHistogramMemoryTypeE1EZNS0_21CUDA_tensor_histogramIlhLb0EEEbNS_6TensorES4_S4_lNS_14AccumulateTypeIT0_Lb1EE4typeES8_NS0_13TensorArgTypeES9_S9_EUllE_EEvNS0_6detail10TensorInfoIT_T1_EESF_NSC_IKS6_SE_EElS8_S8_SE_T6_,@function
_ZN2at4cuda17kernelHistogram1DIlhlLi1ELi2ELin1ELNS0_23CUDAHistogramMemoryTypeE1EZNS0_21CUDA_tensor_histogramIlhLb0EEEbNS_6TensorES4_S4_lNS_14AccumulateTypeIT0_Lb1EE4typeES8_NS0_13TensorArgTypeES9_S9_EUllE_EEvNS0_6detail10TensorInfoIT_T1_EESF_NSC_IKS6_SE_EElS8_S8_SE_T6_: ; @_ZN2at4cuda17kernelHistogram1DIlhlLi1ELi2ELin1ELNS0_23CUDAHistogramMemoryTypeE1EZNS0_21CUDA_tensor_histogramIlhLb0EEEbNS_6TensorES4_S4_lNS_14AccumulateTypeIT0_Lb1EE4typeES8_NS0_13TensorArgTypeES9_S9_EUllE_EEvNS0_6detail10TensorInfoIT_T1_EESF_NSC_IKS6_SE_EElS8_S8_SE_T6_
; %bb.0:
	s_load_dword s2, s[4:5], 0x6ac
	s_load_dwordx8 s[8:15], s[4:5], 0x4e0
	s_add_u32 s0, s4, 0x6a0
	s_addc_u32 s1, s5, 0
	v_mov_b32_e32 v2, 0
	s_waitcnt lgkmcnt(0)
	s_and_b32 s2, s2, 0xffff
	s_mul_i32 s6, s6, s2
	v_add_u32_e32 v0, s6, v0
	v_mov_b32_e32 v1, v2
	v_cmp_gt_i64_e32 vcc, s[14:15], v[0:1]
	s_and_saveexec_b64 s[6:7], vcc
	s_cbranch_execz .LBB5_16
; %bb.1:
	s_load_dwordx2 s[6:7], s[4:5], 0x5d0
	s_load_dword s3, s[4:5], 0x4d8
	s_load_dwordx2 s[16:17], s[4:5], 0x500
	s_add_u32 s26, s4, 0x340
	s_load_dword s28, s[0:1], 0x0
	s_addc_u32 s27, s5, 0
	s_waitcnt lgkmcnt(0)
	s_cmp_gt_i32 s3, 1
	s_cselect_b64 s[0:1], -1, 0
	s_load_dwordx2 s[18:19], s[4:5], 0x0
	s_load_dwordx2 s[20:21], s[4:5], 0xd0
	;; [unrolled: 1-line block ×4, first 2 shown]
	s_sub_u32 s33, s12, s10
	s_subb_u32 s42, s13, s11
	s_mov_b32 s5, 0
	s_add_i32 s4, s3, -1
	s_mul_i32 s43, s28, s2
	s_add_i32 s44, s3, 1
	s_lshl_b64 s[2:3], s[4:5], 3
	s_add_u32 s2, s26, s2
	s_addc_u32 s3, s27, s3
	s_add_u32 s26, s2, 8
	v_cndmask_b32_e64 v3, 0, 1, s[0:1]
	s_addc_u32 s27, s3, 0
	s_mov_b64 s[28:29], 0
	v_cmp_ne_u32_e64 s[0:1], 1, v3
	s_branch .LBB5_4
.LBB5_2:                                ;   in Loop: Header=BB5_4 Depth=1
	s_or_b64 exec, exec, s[2:3]
	v_mul_lo_u32 v5, v1, s6
	v_mul_lo_u32 v7, v0, s7
	v_mad_u64_u32 v[3:4], s[2:3], v0, s6, 0
	v_add3_u32 v4, v4, v7, v5
	v_lshlrev_b64 v[3:4], 3, v[3:4]
	v_mov_b32_e32 v5, s17
	v_add_co_u32_e32 v3, vcc, s16, v3
	v_addc_co_u32_e32 v4, vcc, v5, v4, vcc
	global_load_dwordx2 v[3:4], v[3:4], off
	v_ashrrev_i32_e32 v7, 31, v6
	v_cmp_eq_u64_e32 vcc, s[8:9], v[6:7]
	v_cndmask_b32_e64 v5, 0, 1, vcc
	v_sub_co_u32_e32 v5, vcc, v6, v5
	v_subbrev_co_u32_e32 v6, vcc, 0, v7, vcc
	v_mul_lo_u32 v7, v6, s20
	v_mul_lo_u32 v8, v5, s21
	v_mad_u64_u32 v[5:6], s[2:3], v5, s20, 0
	v_add3_u32 v6, v6, v8, v7
	v_lshlrev_b64 v[5:6], 3, v[5:6]
	v_mov_b32_e32 v7, s19
	v_add_co_u32_e32 v5, vcc, s18, v5
	v_addc_co_u32_e32 v6, vcc, v7, v6, vcc
	s_waitcnt vmcnt(0)
	global_atomic_add_x2 v[5:6], v[3:4], off
.LBB5_3:                                ;   in Loop: Header=BB5_4 Depth=1
	s_or_b64 exec, exec, s[30:31]
	v_add_co_u32_e32 v0, vcc, s43, v0
	v_addc_co_u32_e32 v1, vcc, 0, v1, vcc
	v_cmp_le_i64_e32 vcc, s[14:15], v[0:1]
	s_or_b64 s[28:29], vcc, s[28:29]
	s_andn2_b64 exec, exec, s[28:29]
	s_cbranch_execz .LBB5_16
.LBB5_4:                                ; =>This Loop Header: Depth=1
                                        ;     Child Loop BB5_5 Depth 2
	v_mov_b32_e32 v4, 0
	v_mov_b32_e32 v7, v1
	;; [unrolled: 1-line block ×4, first 2 shown]
	s_and_b64 vcc, exec, s[0:1]
	s_mov_b64 s[30:31], s[26:27]
	s_mov_b32 s4, s44
	v_mov_b32_e32 v6, v0
	v_mov_b32_e32 v8, v0
	s_cbranch_vccnz .LBB5_11
.LBB5_5:                                ;   Parent Loop BB5_4 Depth=1
                                        ; =>  This Inner Loop Header: Depth=2
	s_load_dwordx2 s[34:35], s[30:31], 0x0
                                        ; implicit-def: $vgpr8_vgpr9
	s_waitcnt lgkmcnt(0)
	v_or_b32_e32 v3, s35, v7
	v_cmp_ne_u64_e32 vcc, 0, v[2:3]
	s_and_saveexec_b64 s[2:3], vcc
	s_xor_b64 s[36:37], exec, s[2:3]
	s_cbranch_execz .LBB5_7
; %bb.6:                                ;   in Loop: Header=BB5_5 Depth=2
	s_ashr_i32 s38, s35, 31
	s_add_u32 s2, s34, s38
	s_mov_b32 s39, s38
	s_addc_u32 s3, s35, s38
	s_xor_b64 s[40:41], s[2:3], s[38:39]
	v_cvt_f32_u32_e32 v3, s40
	v_cvt_f32_u32_e32 v8, s41
	s_sub_u32 s39, 0, s40
	s_subb_u32 s45, 0, s41
	v_mac_f32_e32 v3, 0x4f800000, v8
	v_rcp_f32_e32 v3, v3
	v_mul_f32_e32 v3, 0x5f7ffffc, v3
	v_mul_f32_e32 v8, 0x2f800000, v3
	v_trunc_f32_e32 v8, v8
	v_mac_f32_e32 v3, 0xcf800000, v8
	v_cvt_u32_f32_e32 v8, v8
	v_cvt_u32_f32_e32 v3, v3
	v_readfirstlane_b32 s46, v8
	v_readfirstlane_b32 s2, v3
	s_mul_i32 s3, s39, s46
	s_mul_hi_u32 s48, s39, s2
	s_mul_i32 s47, s45, s2
	s_add_i32 s3, s48, s3
	s_add_i32 s3, s3, s47
	s_mul_i32 s49, s39, s2
	s_mul_i32 s48, s2, s3
	s_mul_hi_u32 s50, s2, s49
	s_mul_hi_u32 s47, s2, s3
	s_add_u32 s48, s50, s48
	s_addc_u32 s47, 0, s47
	s_mul_hi_u32 s51, s46, s49
	s_mul_i32 s49, s46, s49
	s_add_u32 s48, s48, s49
	s_mul_hi_u32 s50, s46, s3
	s_addc_u32 s47, s47, s51
	s_addc_u32 s48, s50, 0
	s_mul_i32 s3, s46, s3
	s_add_u32 s3, s47, s3
	s_addc_u32 s47, 0, s48
	s_add_u32 s48, s2, s3
	s_cselect_b64 s[2:3], -1, 0
	s_cmp_lg_u64 s[2:3], 0
	s_addc_u32 s46, s46, s47
	s_mul_i32 s2, s39, s46
	s_mul_hi_u32 s3, s39, s48
	s_add_i32 s2, s3, s2
	s_mul_i32 s45, s45, s48
	s_add_i32 s2, s2, s45
	s_mul_i32 s39, s39, s48
	s_mul_hi_u32 s45, s46, s39
	s_mul_i32 s47, s46, s39
	s_mul_i32 s50, s48, s2
	s_mul_hi_u32 s39, s48, s39
	s_mul_hi_u32 s49, s48, s2
	s_add_u32 s39, s39, s50
	s_addc_u32 s49, 0, s49
	s_add_u32 s39, s39, s47
	s_mul_hi_u32 s3, s46, s2
	s_addc_u32 s39, s49, s45
	s_addc_u32 s3, s3, 0
	s_mul_i32 s2, s46, s2
	s_add_u32 s2, s39, s2
	s_addc_u32 s39, 0, s3
	s_add_u32 s45, s48, s2
	s_cselect_b64 s[2:3], -1, 0
	v_ashrrev_i32_e32 v3, 31, v7
	s_cmp_lg_u64 s[2:3], 0
	v_add_co_u32_e32 v8, vcc, v6, v3
	s_addc_u32 s39, s46, s39
	v_xor_b32_e32 v12, v8, v3
	v_mad_u64_u32 v[8:9], s[2:3], v12, s39, 0
	v_mul_hi_u32 v11, v12, s45
	v_addc_co_u32_e32 v10, vcc, v7, v3, vcc
	v_xor_b32_e32 v13, v10, v3
	v_add_co_u32_e32 v14, vcc, v11, v8
	v_addc_co_u32_e32 v15, vcc, 0, v9, vcc
	v_mad_u64_u32 v[8:9], s[2:3], v13, s45, 0
	v_mad_u64_u32 v[10:11], s[2:3], v13, s39, 0
	v_add_co_u32_e32 v8, vcc, v14, v8
	v_addc_co_u32_e32 v8, vcc, v15, v9, vcc
	v_addc_co_u32_e32 v9, vcc, 0, v11, vcc
	v_add_co_u32_e32 v10, vcc, v8, v10
	v_addc_co_u32_e32 v11, vcc, 0, v9, vcc
	v_mul_lo_u32 v14, s41, v10
	v_mul_lo_u32 v15, s40, v11
	v_mad_u64_u32 v[8:9], s[2:3], s40, v10, 0
	v_xor_b32_e32 v3, s38, v3
	v_add3_u32 v9, v9, v15, v14
	v_sub_u32_e32 v14, v13, v9
	v_mov_b32_e32 v15, s41
	v_sub_co_u32_e32 v8, vcc, v12, v8
	v_subb_co_u32_e64 v12, s[2:3], v14, v15, vcc
	v_subrev_co_u32_e64 v14, s[2:3], s40, v8
	v_subbrev_co_u32_e64 v12, s[2:3], 0, v12, s[2:3]
	v_cmp_le_u32_e64 s[2:3], s41, v12
	v_cndmask_b32_e64 v15, 0, -1, s[2:3]
	v_cmp_le_u32_e64 s[2:3], s40, v14
	v_cndmask_b32_e64 v14, 0, -1, s[2:3]
	v_cmp_eq_u32_e64 s[2:3], s41, v12
	v_cndmask_b32_e64 v12, v15, v14, s[2:3]
	v_add_co_u32_e64 v14, s[2:3], 2, v10
	v_subb_co_u32_e32 v9, vcc, v13, v9, vcc
	v_addc_co_u32_e64 v15, s[2:3], 0, v11, s[2:3]
	v_cmp_le_u32_e32 vcc, s41, v9
	v_add_co_u32_e64 v16, s[2:3], 1, v10
	v_cndmask_b32_e64 v13, 0, -1, vcc
	v_cmp_le_u32_e32 vcc, s40, v8
	v_addc_co_u32_e64 v17, s[2:3], 0, v11, s[2:3]
	v_cndmask_b32_e64 v8, 0, -1, vcc
	v_cmp_eq_u32_e32 vcc, s41, v9
	v_cmp_ne_u32_e64 s[2:3], 0, v12
	v_cndmask_b32_e32 v8, v13, v8, vcc
	v_cndmask_b32_e64 v12, v17, v15, s[2:3]
	v_cmp_ne_u32_e32 vcc, 0, v8
	v_cndmask_b32_e64 v9, v16, v14, s[2:3]
	v_cndmask_b32_e32 v8, v11, v12, vcc
	v_cndmask_b32_e32 v9, v10, v9, vcc
	v_xor_b32_e32 v10, v8, v3
	v_xor_b32_e32 v8, v9, v3
	v_sub_co_u32_e32 v8, vcc, v8, v3
	v_subb_co_u32_e32 v9, vcc, v10, v3, vcc
.LBB5_7:                                ;   in Loop: Header=BB5_5 Depth=2
	s_andn2_saveexec_b64 s[2:3], s[36:37]
	s_cbranch_execz .LBB5_9
; %bb.8:                                ;   in Loop: Header=BB5_5 Depth=2
	v_cvt_f32_u32_e32 v3, s34
	s_sub_i32 s36, 0, s34
	v_rcp_iflag_f32_e32 v3, v3
	v_mul_f32_e32 v3, 0x4f7ffffe, v3
	v_cvt_u32_f32_e32 v3, v3
	v_mul_lo_u32 v8, s36, v3
	v_mul_hi_u32 v8, v3, v8
	v_add_u32_e32 v3, v3, v8
	v_mul_hi_u32 v3, v6, v3
	v_mul_lo_u32 v8, v3, s34
	v_add_u32_e32 v9, 1, v3
	v_sub_u32_e32 v8, v6, v8
	v_subrev_u32_e32 v10, s34, v8
	v_cmp_le_u32_e32 vcc, s34, v8
	v_cndmask_b32_e32 v8, v8, v10, vcc
	v_cndmask_b32_e32 v3, v3, v9, vcc
	v_add_u32_e32 v9, 1, v3
	v_cmp_le_u32_e32 vcc, s34, v8
	v_cndmask_b32_e32 v8, v3, v9, vcc
	v_mov_b32_e32 v9, v2
.LBB5_9:                                ;   in Loop: Header=BB5_5 Depth=2
	s_or_b64 exec, exec, s[2:3]
	v_mul_lo_u32 v3, v9, s34
	v_mul_lo_u32 v12, v8, s35
	v_mad_u64_u32 v[10:11], s[2:3], v8, s34, 0
	s_load_dwordx2 s[2:3], s[30:31], 0xc8
	s_add_i32 s4, s4, -1
	v_add3_u32 v3, v11, v12, v3
	v_sub_co_u32_e32 v6, vcc, v6, v10
	v_subb_co_u32_e32 v3, vcc, v7, v3, vcc
	s_waitcnt lgkmcnt(0)
	v_mul_lo_u32 v3, s2, v3
	v_mul_lo_u32 v7, s3, v6
	v_mad_u64_u32 v[4:5], s[2:3], s2, v6, v[4:5]
	s_add_u32 s30, s30, -8
	s_addc_u32 s31, s31, -1
	s_cmp_gt_u32 s4, 2
	v_add3_u32 v5, v7, v5, v3
	s_cbranch_scc0 .LBB5_11
; %bb.10:                               ;   in Loop: Header=BB5_5 Depth=2
	v_mov_b32_e32 v6, v8
	v_mov_b32_e32 v7, v9
	s_branch .LBB5_5
.LBB5_11:                               ;   in Loop: Header=BB5_4 Depth=1
	s_waitcnt lgkmcnt(0)
	v_mov_b32_e32 v6, s24
	v_mov_b32_e32 v7, s25
	v_mul_lo_u32 v3, s22, v9
	v_mul_lo_u32 v9, s23, v8
	v_mad_u64_u32 v[6:7], s[2:3], s22, v8, v[6:7]
	v_add3_u32 v7, v9, v7, v3
	v_add_co_u32_e32 v3, vcc, v6, v4
	v_addc_co_u32_e32 v4, vcc, v7, v5, vcc
	global_load_ubyte v3, v[3:4], off
	v_mov_b32_e32 v4, s5
	s_waitcnt vmcnt(0)
	v_and_b32_e32 v3, 0xffff, v3
	v_cmp_le_i64_e32 vcc, s[10:11], v[3:4]
	v_cmp_ge_i64_e64 s[2:3], s[12:13], v[3:4]
	s_and_b64 s[2:3], vcc, s[2:3]
	s_and_saveexec_b64 s[30:31], s[2:3]
	s_cbranch_execz .LBB5_3
; %bb.12:                               ;   in Loop: Header=BB5_4 Depth=1
	v_mov_b32_e32 v4, s11
	v_subrev_co_u32_e32 v3, vcc, s10, v3
	v_subb_co_u32_e32 v4, vcc, 0, v4, vcc
	v_mul_lo_u32 v6, v4, s8
	v_mul_lo_u32 v7, v3, s9
	v_mad_u64_u32 v[4:5], s[2:3], v3, s8, 0
	v_add3_u32 v5, v5, v7, v6
	v_or_b32_e32 v3, s42, v5
	v_cmp_ne_u64_e32 vcc, 0, v[2:3]
                                        ; implicit-def: $vgpr6_vgpr7
	s_and_saveexec_b64 s[2:3], vcc
	s_xor_b64 s[34:35], exec, s[2:3]
	s_cbranch_execz .LBB5_14
; %bb.13:                               ;   in Loop: Header=BB5_4 Depth=1
	s_ashr_i32 s36, s42, 31
	s_add_u32 s2, s33, s36
	s_mov_b32 s37, s36
	s_addc_u32 s3, s42, s36
	s_xor_b64 s[38:39], s[2:3], s[36:37]
	v_cvt_f32_u32_e32 v3, s38
	v_cvt_f32_u32_e32 v6, s39
	s_sub_u32 s4, 0, s38
	s_subb_u32 s37, 0, s39
	v_ashrrev_i32_e32 v7, 31, v5
	v_mac_f32_e32 v3, 0x4f800000, v6
	v_rcp_f32_e32 v3, v3
	v_mul_f32_e32 v3, 0x5f7ffffc, v3
	v_mul_f32_e32 v6, 0x2f800000, v3
	v_trunc_f32_e32 v6, v6
	v_mac_f32_e32 v3, 0xcf800000, v6
	v_cvt_u32_f32_e32 v6, v6
	v_cvt_u32_f32_e32 v3, v3
	v_readfirstlane_b32 s40, v6
	v_readfirstlane_b32 s2, v3
	s_mul_i32 s3, s4, s40
	s_mul_hi_u32 s45, s4, s2
	s_mul_i32 s41, s37, s2
	s_add_i32 s3, s45, s3
	s_add_i32 s3, s3, s41
	s_mul_i32 s46, s4, s2
	s_mul_i32 s45, s2, s3
	s_mul_hi_u32 s47, s2, s46
	s_mul_hi_u32 s41, s2, s3
	s_add_u32 s45, s47, s45
	s_addc_u32 s41, 0, s41
	s_mul_hi_u32 s48, s40, s46
	s_mul_i32 s46, s40, s46
	s_add_u32 s45, s45, s46
	s_mul_hi_u32 s47, s40, s3
	s_addc_u32 s41, s41, s48
	s_addc_u32 s45, s47, 0
	s_mul_i32 s3, s40, s3
	s_add_u32 s3, s41, s3
	s_addc_u32 s41, 0, s45
	s_add_u32 s45, s2, s3
	s_cselect_b64 s[2:3], -1, 0
	s_cmp_lg_u64 s[2:3], 0
	s_addc_u32 s40, s40, s41
	s_mul_i32 s2, s4, s40
	s_mul_hi_u32 s3, s4, s45
	s_add_i32 s2, s3, s2
	s_mul_i32 s37, s37, s45
	s_add_i32 s2, s2, s37
	s_mul_i32 s4, s4, s45
	s_mul_hi_u32 s37, s40, s4
	s_mul_i32 s41, s40, s4
	s_mul_i32 s47, s45, s2
	s_mul_hi_u32 s4, s45, s4
	s_mul_hi_u32 s46, s45, s2
	s_add_u32 s4, s4, s47
	s_addc_u32 s46, 0, s46
	s_add_u32 s4, s4, s41
	s_mul_hi_u32 s3, s40, s2
	s_addc_u32 s4, s46, s37
	s_addc_u32 s3, s3, 0
	s_mul_i32 s2, s40, s2
	s_add_u32 s2, s4, s2
	s_addc_u32 s4, 0, s3
	s_add_u32 s37, s45, s2
	s_cselect_b64 s[2:3], -1, 0
	s_cmp_lg_u64 s[2:3], 0
	v_add_co_u32_e32 v3, vcc, v4, v7
	s_addc_u32 s4, s40, s4
	v_xor_b32_e32 v8, v3, v7
	v_mad_u64_u32 v[3:4], s[2:3], v8, s4, 0
	v_mul_hi_u32 v6, v8, s37
	v_addc_co_u32_e32 v5, vcc, v5, v7, vcc
	v_xor_b32_e32 v9, v5, v7
	v_add_co_u32_e32 v10, vcc, v6, v3
	v_addc_co_u32_e32 v11, vcc, 0, v4, vcc
	v_mad_u64_u32 v[3:4], s[2:3], v9, s37, 0
	v_mad_u64_u32 v[5:6], s[2:3], v9, s4, 0
	v_add_co_u32_e32 v3, vcc, v10, v3
	v_addc_co_u32_e32 v3, vcc, v11, v4, vcc
	v_addc_co_u32_e32 v4, vcc, 0, v6, vcc
	v_add_co_u32_e32 v5, vcc, v3, v5
	v_addc_co_u32_e32 v3, vcc, 0, v4, vcc
	v_mul_lo_u32 v6, s39, v5
	v_mul_lo_u32 v10, s38, v3
	v_mad_u64_u32 v[3:4], s[2:3], s38, v5, 0
	v_add3_u32 v4, v4, v10, v6
	v_sub_u32_e32 v6, v9, v4
	v_mov_b32_e32 v10, s39
	v_sub_co_u32_e32 v3, vcc, v8, v3
	v_subb_co_u32_e64 v6, s[2:3], v6, v10, vcc
	v_subrev_co_u32_e64 v8, s[2:3], s38, v3
	v_subbrev_co_u32_e64 v6, s[2:3], 0, v6, s[2:3]
	v_cmp_le_u32_e64 s[2:3], s39, v6
	v_subb_co_u32_e32 v4, vcc, v9, v4, vcc
	v_cndmask_b32_e64 v10, 0, -1, s[2:3]
	v_cmp_le_u32_e64 s[2:3], s38, v8
	v_cmp_le_u32_e32 vcc, s39, v4
	v_cndmask_b32_e64 v8, 0, -1, s[2:3]
	v_cmp_eq_u32_e64 s[2:3], s39, v6
	v_cndmask_b32_e64 v9, 0, -1, vcc
	v_cmp_le_u32_e32 vcc, s38, v3
	v_cndmask_b32_e64 v6, v10, v8, s[2:3]
	v_cndmask_b32_e64 v3, 0, -1, vcc
	v_cmp_eq_u32_e32 vcc, s39, v4
	v_add_co_u32_e64 v8, s[2:3], 2, v5
	v_add_co_u32_e64 v10, s[2:3], 1, v5
	v_cndmask_b32_e32 v3, v9, v3, vcc
	v_cmp_ne_u32_e32 vcc, 0, v6
	v_cndmask_b32_e32 v4, v10, v8, vcc
	v_cmp_ne_u32_e32 vcc, 0, v3
	v_cndmask_b32_e32 v3, v5, v4, vcc
	v_xor_b32_e32 v4, s36, v7
	v_xor_b32_e32 v3, v3, v4
	v_sub_co_u32_e32 v6, vcc, v3, v4
                                        ; implicit-def: $vgpr4_vgpr5
.LBB5_14:                               ;   in Loop: Header=BB5_4 Depth=1
	s_andn2_saveexec_b64 s[2:3], s[34:35]
	s_cbranch_execz .LBB5_2
; %bb.15:                               ;   in Loop: Header=BB5_4 Depth=1
	v_cvt_f32_u32_e32 v3, s33
	s_sub_i32 s4, 0, s33
	v_rcp_iflag_f32_e32 v3, v3
	v_mul_f32_e32 v3, 0x4f7ffffe, v3
	v_cvt_u32_f32_e32 v3, v3
	v_mul_lo_u32 v5, s4, v3
	v_mul_hi_u32 v5, v3, v5
	v_add_u32_e32 v3, v3, v5
	v_mul_hi_u32 v3, v4, v3
	v_mul_lo_u32 v5, v3, s33
	v_add_u32_e32 v6, 1, v3
	v_sub_u32_e32 v4, v4, v5
	v_subrev_u32_e32 v5, s33, v4
	v_cmp_le_u32_e32 vcc, s33, v4
	v_cndmask_b32_e32 v4, v4, v5, vcc
	v_cndmask_b32_e32 v3, v3, v6, vcc
	v_add_u32_e32 v5, 1, v3
	v_cmp_le_u32_e32 vcc, s33, v4
	v_cndmask_b32_e32 v6, v3, v5, vcc
	s_branch .LBB5_2
.LBB5_16:
	s_endpgm
	.section	.rodata,"a",@progbits
	.p2align	6, 0x0
	.amdhsa_kernel _ZN2at4cuda17kernelHistogram1DIlhlLi1ELi2ELin1ELNS0_23CUDAHistogramMemoryTypeE1EZNS0_21CUDA_tensor_histogramIlhLb0EEEbNS_6TensorES4_S4_lNS_14AccumulateTypeIT0_Lb1EE4typeES8_NS0_13TensorArgTypeES9_S9_EUllE_EEvNS0_6detail10TensorInfoIT_T1_EESF_NSC_IKS6_SE_EElS8_S8_SE_T6_
		.amdhsa_group_segment_fixed_size 0
		.amdhsa_private_segment_fixed_size 0
		.amdhsa_kernarg_size 1952
		.amdhsa_user_sgpr_count 6
		.amdhsa_user_sgpr_private_segment_buffer 1
		.amdhsa_user_sgpr_dispatch_ptr 0
		.amdhsa_user_sgpr_queue_ptr 0
		.amdhsa_user_sgpr_kernarg_segment_ptr 1
		.amdhsa_user_sgpr_dispatch_id 0
		.amdhsa_user_sgpr_flat_scratch_init 0
		.amdhsa_user_sgpr_private_segment_size 0
		.amdhsa_uses_dynamic_stack 0
		.amdhsa_system_sgpr_private_segment_wavefront_offset 0
		.amdhsa_system_sgpr_workgroup_id_x 1
		.amdhsa_system_sgpr_workgroup_id_y 0
		.amdhsa_system_sgpr_workgroup_id_z 0
		.amdhsa_system_sgpr_workgroup_info 0
		.amdhsa_system_vgpr_workitem_id 0
		.amdhsa_next_free_vgpr 18
		.amdhsa_next_free_sgpr 52
		.amdhsa_reserve_vcc 1
		.amdhsa_reserve_flat_scratch 0
		.amdhsa_float_round_mode_32 0
		.amdhsa_float_round_mode_16_64 0
		.amdhsa_float_denorm_mode_32 3
		.amdhsa_float_denorm_mode_16_64 3
		.amdhsa_dx10_clamp 1
		.amdhsa_ieee_mode 1
		.amdhsa_fp16_overflow 0
		.amdhsa_exception_fp_ieee_invalid_op 0
		.amdhsa_exception_fp_denorm_src 0
		.amdhsa_exception_fp_ieee_div_zero 0
		.amdhsa_exception_fp_ieee_overflow 0
		.amdhsa_exception_fp_ieee_underflow 0
		.amdhsa_exception_fp_ieee_inexact 0
		.amdhsa_exception_int_div_zero 0
	.end_amdhsa_kernel
	.section	.text._ZN2at4cuda17kernelHistogram1DIlhlLi1ELi2ELin1ELNS0_23CUDAHistogramMemoryTypeE1EZNS0_21CUDA_tensor_histogramIlhLb0EEEbNS_6TensorES4_S4_lNS_14AccumulateTypeIT0_Lb1EE4typeES8_NS0_13TensorArgTypeES9_S9_EUllE_EEvNS0_6detail10TensorInfoIT_T1_EESF_NSC_IKS6_SE_EElS8_S8_SE_T6_,"axG",@progbits,_ZN2at4cuda17kernelHistogram1DIlhlLi1ELi2ELin1ELNS0_23CUDAHistogramMemoryTypeE1EZNS0_21CUDA_tensor_histogramIlhLb0EEEbNS_6TensorES4_S4_lNS_14AccumulateTypeIT0_Lb1EE4typeES8_NS0_13TensorArgTypeES9_S9_EUllE_EEvNS0_6detail10TensorInfoIT_T1_EESF_NSC_IKS6_SE_EElS8_S8_SE_T6_,comdat
.Lfunc_end5:
	.size	_ZN2at4cuda17kernelHistogram1DIlhlLi1ELi2ELin1ELNS0_23CUDAHistogramMemoryTypeE1EZNS0_21CUDA_tensor_histogramIlhLb0EEEbNS_6TensorES4_S4_lNS_14AccumulateTypeIT0_Lb1EE4typeES8_NS0_13TensorArgTypeES9_S9_EUllE_EEvNS0_6detail10TensorInfoIT_T1_EESF_NSC_IKS6_SE_EElS8_S8_SE_T6_, .Lfunc_end5-_ZN2at4cuda17kernelHistogram1DIlhlLi1ELi2ELin1ELNS0_23CUDAHistogramMemoryTypeE1EZNS0_21CUDA_tensor_histogramIlhLb0EEEbNS_6TensorES4_S4_lNS_14AccumulateTypeIT0_Lb1EE4typeES8_NS0_13TensorArgTypeES9_S9_EUllE_EEvNS0_6detail10TensorInfoIT_T1_EESF_NSC_IKS6_SE_EElS8_S8_SE_T6_
                                        ; -- End function
	.set _ZN2at4cuda17kernelHistogram1DIlhlLi1ELi2ELin1ELNS0_23CUDAHistogramMemoryTypeE1EZNS0_21CUDA_tensor_histogramIlhLb0EEEbNS_6TensorES4_S4_lNS_14AccumulateTypeIT0_Lb1EE4typeES8_NS0_13TensorArgTypeES9_S9_EUllE_EEvNS0_6detail10TensorInfoIT_T1_EESF_NSC_IKS6_SE_EElS8_S8_SE_T6_.num_vgpr, 18
	.set _ZN2at4cuda17kernelHistogram1DIlhlLi1ELi2ELin1ELNS0_23CUDAHistogramMemoryTypeE1EZNS0_21CUDA_tensor_histogramIlhLb0EEEbNS_6TensorES4_S4_lNS_14AccumulateTypeIT0_Lb1EE4typeES8_NS0_13TensorArgTypeES9_S9_EUllE_EEvNS0_6detail10TensorInfoIT_T1_EESF_NSC_IKS6_SE_EElS8_S8_SE_T6_.num_agpr, 0
	.set _ZN2at4cuda17kernelHistogram1DIlhlLi1ELi2ELin1ELNS0_23CUDAHistogramMemoryTypeE1EZNS0_21CUDA_tensor_histogramIlhLb0EEEbNS_6TensorES4_S4_lNS_14AccumulateTypeIT0_Lb1EE4typeES8_NS0_13TensorArgTypeES9_S9_EUllE_EEvNS0_6detail10TensorInfoIT_T1_EESF_NSC_IKS6_SE_EElS8_S8_SE_T6_.numbered_sgpr, 52
	.set _ZN2at4cuda17kernelHistogram1DIlhlLi1ELi2ELin1ELNS0_23CUDAHistogramMemoryTypeE1EZNS0_21CUDA_tensor_histogramIlhLb0EEEbNS_6TensorES4_S4_lNS_14AccumulateTypeIT0_Lb1EE4typeES8_NS0_13TensorArgTypeES9_S9_EUllE_EEvNS0_6detail10TensorInfoIT_T1_EESF_NSC_IKS6_SE_EElS8_S8_SE_T6_.num_named_barrier, 0
	.set _ZN2at4cuda17kernelHistogram1DIlhlLi1ELi2ELin1ELNS0_23CUDAHistogramMemoryTypeE1EZNS0_21CUDA_tensor_histogramIlhLb0EEEbNS_6TensorES4_S4_lNS_14AccumulateTypeIT0_Lb1EE4typeES8_NS0_13TensorArgTypeES9_S9_EUllE_EEvNS0_6detail10TensorInfoIT_T1_EESF_NSC_IKS6_SE_EElS8_S8_SE_T6_.private_seg_size, 0
	.set _ZN2at4cuda17kernelHistogram1DIlhlLi1ELi2ELin1ELNS0_23CUDAHistogramMemoryTypeE1EZNS0_21CUDA_tensor_histogramIlhLb0EEEbNS_6TensorES4_S4_lNS_14AccumulateTypeIT0_Lb1EE4typeES8_NS0_13TensorArgTypeES9_S9_EUllE_EEvNS0_6detail10TensorInfoIT_T1_EESF_NSC_IKS6_SE_EElS8_S8_SE_T6_.uses_vcc, 1
	.set _ZN2at4cuda17kernelHistogram1DIlhlLi1ELi2ELin1ELNS0_23CUDAHistogramMemoryTypeE1EZNS0_21CUDA_tensor_histogramIlhLb0EEEbNS_6TensorES4_S4_lNS_14AccumulateTypeIT0_Lb1EE4typeES8_NS0_13TensorArgTypeES9_S9_EUllE_EEvNS0_6detail10TensorInfoIT_T1_EESF_NSC_IKS6_SE_EElS8_S8_SE_T6_.uses_flat_scratch, 0
	.set _ZN2at4cuda17kernelHistogram1DIlhlLi1ELi2ELin1ELNS0_23CUDAHistogramMemoryTypeE1EZNS0_21CUDA_tensor_histogramIlhLb0EEEbNS_6TensorES4_S4_lNS_14AccumulateTypeIT0_Lb1EE4typeES8_NS0_13TensorArgTypeES9_S9_EUllE_EEvNS0_6detail10TensorInfoIT_T1_EESF_NSC_IKS6_SE_EElS8_S8_SE_T6_.has_dyn_sized_stack, 0
	.set _ZN2at4cuda17kernelHistogram1DIlhlLi1ELi2ELin1ELNS0_23CUDAHistogramMemoryTypeE1EZNS0_21CUDA_tensor_histogramIlhLb0EEEbNS_6TensorES4_S4_lNS_14AccumulateTypeIT0_Lb1EE4typeES8_NS0_13TensorArgTypeES9_S9_EUllE_EEvNS0_6detail10TensorInfoIT_T1_EESF_NSC_IKS6_SE_EElS8_S8_SE_T6_.has_recursion, 0
	.set _ZN2at4cuda17kernelHistogram1DIlhlLi1ELi2ELin1ELNS0_23CUDAHistogramMemoryTypeE1EZNS0_21CUDA_tensor_histogramIlhLb0EEEbNS_6TensorES4_S4_lNS_14AccumulateTypeIT0_Lb1EE4typeES8_NS0_13TensorArgTypeES9_S9_EUllE_EEvNS0_6detail10TensorInfoIT_T1_EESF_NSC_IKS6_SE_EElS8_S8_SE_T6_.has_indirect_call, 0
	.section	.AMDGPU.csdata,"",@progbits
; Kernel info:
; codeLenInByte = 2144
; TotalNumSgprs: 56
; NumVgprs: 18
; ScratchSize: 0
; MemoryBound: 0
; FloatMode: 240
; IeeeMode: 1
; LDSByteSize: 0 bytes/workgroup (compile time only)
; SGPRBlocks: 6
; VGPRBlocks: 4
; NumSGPRsForWavesPerEU: 56
; NumVGPRsForWavesPerEU: 18
; Occupancy: 10
; WaveLimiterHint : 1
; COMPUTE_PGM_RSRC2:SCRATCH_EN: 0
; COMPUTE_PGM_RSRC2:USER_SGPR: 6
; COMPUTE_PGM_RSRC2:TRAP_HANDLER: 0
; COMPUTE_PGM_RSRC2:TGID_X_EN: 1
; COMPUTE_PGM_RSRC2:TGID_Y_EN: 0
; COMPUTE_PGM_RSRC2:TGID_Z_EN: 0
; COMPUTE_PGM_RSRC2:TIDIG_COMP_CNT: 0
	.section	.text._ZN2at4cuda17kernelHistogram1DIlhlLi1ELi2ELin1ELNS0_23CUDAHistogramMemoryTypeE0EZNS0_21CUDA_tensor_histogramIlhLb0EEEbNS_6TensorES4_S4_lNS_14AccumulateTypeIT0_Lb1EE4typeES8_NS0_13TensorArgTypeES9_S9_EUllE0_EEvNS0_6detail10TensorInfoIT_T1_EESF_NSC_IKS6_SE_EElS8_S8_SE_T6_,"axG",@progbits,_ZN2at4cuda17kernelHistogram1DIlhlLi1ELi2ELin1ELNS0_23CUDAHistogramMemoryTypeE0EZNS0_21CUDA_tensor_histogramIlhLb0EEEbNS_6TensorES4_S4_lNS_14AccumulateTypeIT0_Lb1EE4typeES8_NS0_13TensorArgTypeES9_S9_EUllE0_EEvNS0_6detail10TensorInfoIT_T1_EESF_NSC_IKS6_SE_EElS8_S8_SE_T6_,comdat
	.protected	_ZN2at4cuda17kernelHistogram1DIlhlLi1ELi2ELin1ELNS0_23CUDAHistogramMemoryTypeE0EZNS0_21CUDA_tensor_histogramIlhLb0EEEbNS_6TensorES4_S4_lNS_14AccumulateTypeIT0_Lb1EE4typeES8_NS0_13TensorArgTypeES9_S9_EUllE0_EEvNS0_6detail10TensorInfoIT_T1_EESF_NSC_IKS6_SE_EElS8_S8_SE_T6_ ; -- Begin function _ZN2at4cuda17kernelHistogram1DIlhlLi1ELi2ELin1ELNS0_23CUDAHistogramMemoryTypeE0EZNS0_21CUDA_tensor_histogramIlhLb0EEEbNS_6TensorES4_S4_lNS_14AccumulateTypeIT0_Lb1EE4typeES8_NS0_13TensorArgTypeES9_S9_EUllE0_EEvNS0_6detail10TensorInfoIT_T1_EESF_NSC_IKS6_SE_EElS8_S8_SE_T6_
	.globl	_ZN2at4cuda17kernelHistogram1DIlhlLi1ELi2ELin1ELNS0_23CUDAHistogramMemoryTypeE0EZNS0_21CUDA_tensor_histogramIlhLb0EEEbNS_6TensorES4_S4_lNS_14AccumulateTypeIT0_Lb1EE4typeES8_NS0_13TensorArgTypeES9_S9_EUllE0_EEvNS0_6detail10TensorInfoIT_T1_EESF_NSC_IKS6_SE_EElS8_S8_SE_T6_
	.p2align	8
	.type	_ZN2at4cuda17kernelHistogram1DIlhlLi1ELi2ELin1ELNS0_23CUDAHistogramMemoryTypeE0EZNS0_21CUDA_tensor_histogramIlhLb0EEEbNS_6TensorES4_S4_lNS_14AccumulateTypeIT0_Lb1EE4typeES8_NS0_13TensorArgTypeES9_S9_EUllE0_EEvNS0_6detail10TensorInfoIT_T1_EESF_NSC_IKS6_SE_EElS8_S8_SE_T6_,@function
_ZN2at4cuda17kernelHistogram1DIlhlLi1ELi2ELin1ELNS0_23CUDAHistogramMemoryTypeE0EZNS0_21CUDA_tensor_histogramIlhLb0EEEbNS_6TensorES4_S4_lNS_14AccumulateTypeIT0_Lb1EE4typeES8_NS0_13TensorArgTypeES9_S9_EUllE0_EEvNS0_6detail10TensorInfoIT_T1_EESF_NSC_IKS6_SE_EElS8_S8_SE_T6_: ; @_ZN2at4cuda17kernelHistogram1DIlhlLi1ELi2ELin1ELNS0_23CUDAHistogramMemoryTypeE0EZNS0_21CUDA_tensor_histogramIlhLb0EEEbNS_6TensorES4_S4_lNS_14AccumulateTypeIT0_Lb1EE4typeES8_NS0_13TensorArgTypeES9_S9_EUllE0_EEvNS0_6detail10TensorInfoIT_T1_EESF_NSC_IKS6_SE_EElS8_S8_SE_T6_
; %bb.0:
	s_load_dwordx4 s[16:19], s[4:5], 0x0
	v_mov_b32_e32 v1, 0
	s_add_u32 s2, s4, 0x508
	s_addc_u32 s3, s5, 0
                                        ; implicit-def: $sgpr7
                                        ; implicit-def: $sgpr10
	s_waitcnt lgkmcnt(0)
	v_cmp_gt_i64_e64 s[0:1], s[18:19], v[0:1]
	v_cmp_le_i64_e32 vcc, s[18:19], v[0:1]
	s_and_saveexec_b64 s[8:9], vcc
	s_xor_b64 s[8:9], exec, s[8:9]
	s_cbranch_execz .LBB6_2
; %bb.1:
	s_load_dword s7, s[2:3], 0xc
	s_waitcnt lgkmcnt(0)
	s_and_b32 s10, s7, 0xffff
.LBB6_2:
	s_or_saveexec_b64 s[8:9], s[8:9]
	s_load_dwordx2 s[20:21], s[4:5], 0xd0
	v_mov_b32_e32 v14, s7
	v_mov_b32_e32 v13, s10
	v_lshl_add_u32 v12, v0, 3, 0
	s_xor_b64 exec, exec, s[8:9]
	s_cbranch_execz .LBB6_6
; %bb.3:
	s_load_dword s7, s[2:3], 0xc
	v_mov_b32_e32 v2, 0
	v_mov_b32_e32 v5, v1
	v_lshl_add_u32 v6, v0, 3, 0
	s_mov_b64 s[10:11], 0
	s_waitcnt lgkmcnt(0)
	s_and_b32 s12, s7, 0xffff
	v_mov_b32_e32 v3, v2
	s_lshl_b32 s13, s12, 3
	v_mov_b32_e32 v4, v0
.LBB6_4:                                ; =>This Inner Loop Header: Depth=1
	v_add_co_u32_e32 v4, vcc, s12, v4
	v_addc_co_u32_e32 v5, vcc, 0, v5, vcc
	v_cmp_le_i64_e32 vcc, s[18:19], v[4:5]
	ds_write_b64 v6, v[2:3]
	s_or_b64 s[10:11], vcc, s[10:11]
	v_add_u32_e32 v6, s13, v6
	s_andn2_b64 exec, exec, s[10:11]
	s_cbranch_execnz .LBB6_4
; %bb.5:
	s_or_b64 exec, exec, s[10:11]
	v_mov_b32_e32 v14, s7
	v_mov_b32_e32 v13, s12
.LBB6_6:
	s_or_b64 exec, exec, s[8:9]
	s_load_dwordx8 s[8:15], s[4:5], 0x4e0
	v_mad_u64_u32 v[2:3], s[6:7], s6, v13, v[0:1]
	v_mov_b32_e32 v4, 0
	v_mov_b32_e32 v3, v4
	s_waitcnt lgkmcnt(0)
	v_cmp_gt_i64_e32 vcc, s[14:15], v[2:3]
	s_barrier
	s_and_saveexec_b64 s[6:7], vcc
	s_cbranch_execz .LBB6_22
; %bb.7:
	s_load_dword s26, s[4:5], 0x4d8
	s_load_dwordx2 s[24:25], s[4:5], 0x340
	s_add_u32 s28, s4, 0x340
	s_load_dword s27, s[2:3], 0x0
	s_load_dwordx2 s[22:23], s[4:5], 0x410
	s_addc_u32 s29, s5, 0
	s_waitcnt lgkmcnt(0)
	s_cmp_gt_i32 s26, 1
	s_cselect_b64 s[2:3], -1, 0
	s_sub_u32 s33, s12, s10
	s_subb_u32 s44, s13, s11
	v_mul_lo_u32 v15, s27, v13
	s_mov_b32 s27, 0
	s_add_i32 s45, s26, 1
	s_add_i32 s26, s26, -1
	s_lshl_b64 s[4:5], s[26:27], 3
	s_add_u32 s4, s28, s4
	s_addc_u32 s5, s29, s5
	s_add_u32 s28, s4, 8
	v_cndmask_b32_e64 v5, 0, 1, s[2:3]
	s_addc_u32 s29, s5, 0
	s_mov_b64 s[30:31], 0
	v_cmp_ne_u32_e64 s[2:3], 1, v5
	s_branch .LBB6_10
.LBB6_8:                                ;   in Loop: Header=BB6_10 Depth=1
	s_or_b64 exec, exec, s[4:5]
	v_ashrrev_i32_e32 v9, 31, v8
	v_cmp_eq_u64_e32 vcc, s[8:9], v[8:9]
	v_subbrev_co_u32_e32 v5, vcc, 0, v8, vcc
	v_lshl_add_u32 v7, v5, 3, 0
	v_mov_b32_e32 v5, 1
	v_mov_b32_e32 v6, 0
	ds_add_u64 v7, v[5:6]
.LBB6_9:                                ;   in Loop: Header=BB6_10 Depth=1
	s_or_b64 exec, exec, s[34:35]
	v_add_co_u32_e32 v2, vcc, v2, v15
	v_addc_co_u32_e32 v3, vcc, 0, v3, vcc
	v_cmp_le_i64_e32 vcc, s[14:15], v[2:3]
	s_or_b64 s[30:31], vcc, s[30:31]
	s_andn2_b64 exec, exec, s[30:31]
	s_cbranch_execz .LBB6_22
.LBB6_10:                               ; =>This Loop Header: Depth=1
                                        ;     Child Loop BB6_11 Depth 2
	v_mov_b32_e32 v6, 0
	v_mov_b32_e32 v9, v3
	;; [unrolled: 1-line block ×4, first 2 shown]
	s_and_b64 vcc, exec, s[2:3]
	s_mov_b64 s[34:35], s[28:29]
	s_mov_b32 s26, s45
	v_mov_b32_e32 v8, v2
	v_mov_b32_e32 v10, v2
	s_cbranch_vccnz .LBB6_17
.LBB6_11:                               ;   Parent Loop BB6_10 Depth=1
                                        ; =>  This Inner Loop Header: Depth=2
	s_load_dwordx2 s[36:37], s[34:35], 0x0
                                        ; implicit-def: $vgpr10_vgpr11
	s_waitcnt lgkmcnt(0)
	v_or_b32_e32 v5, s37, v9
	v_cmp_ne_u64_e32 vcc, 0, v[4:5]
	s_and_saveexec_b64 s[4:5], vcc
	s_xor_b64 s[38:39], exec, s[4:5]
	s_cbranch_execz .LBB6_13
; %bb.12:                               ;   in Loop: Header=BB6_11 Depth=2
	s_ashr_i32 s40, s37, 31
	s_add_u32 s4, s36, s40
	s_mov_b32 s41, s40
	s_addc_u32 s5, s37, s40
	s_xor_b64 s[42:43], s[4:5], s[40:41]
	v_cvt_f32_u32_e32 v5, s42
	v_cvt_f32_u32_e32 v10, s43
	s_sub_u32 s41, 0, s42
	s_subb_u32 s46, 0, s43
	v_mac_f32_e32 v5, 0x4f800000, v10
	v_rcp_f32_e32 v5, v5
	v_mul_f32_e32 v5, 0x5f7ffffc, v5
	v_mul_f32_e32 v10, 0x2f800000, v5
	v_trunc_f32_e32 v10, v10
	v_mac_f32_e32 v5, 0xcf800000, v10
	v_cvt_u32_f32_e32 v10, v10
	v_cvt_u32_f32_e32 v5, v5
	v_readfirstlane_b32 s47, v10
	v_readfirstlane_b32 s4, v5
	s_mul_i32 s5, s41, s47
	s_mul_hi_u32 s49, s41, s4
	s_mul_i32 s48, s46, s4
	s_add_i32 s5, s49, s5
	s_add_i32 s5, s5, s48
	s_mul_i32 s50, s41, s4
	s_mul_i32 s49, s4, s5
	s_mul_hi_u32 s51, s4, s50
	s_mul_hi_u32 s48, s4, s5
	s_add_u32 s49, s51, s49
	s_addc_u32 s48, 0, s48
	s_mul_hi_u32 s52, s47, s50
	s_mul_i32 s50, s47, s50
	s_add_u32 s49, s49, s50
	s_mul_hi_u32 s51, s47, s5
	s_addc_u32 s48, s48, s52
	s_addc_u32 s49, s51, 0
	s_mul_i32 s5, s47, s5
	s_add_u32 s5, s48, s5
	s_addc_u32 s48, 0, s49
	s_add_u32 s49, s4, s5
	s_cselect_b64 s[4:5], -1, 0
	s_cmp_lg_u64 s[4:5], 0
	s_addc_u32 s47, s47, s48
	s_mul_i32 s4, s41, s47
	s_mul_hi_u32 s5, s41, s49
	s_add_i32 s4, s5, s4
	s_mul_i32 s46, s46, s49
	s_add_i32 s4, s4, s46
	s_mul_i32 s41, s41, s49
	s_mul_hi_u32 s46, s47, s41
	s_mul_i32 s48, s47, s41
	s_mul_i32 s51, s49, s4
	s_mul_hi_u32 s41, s49, s41
	s_mul_hi_u32 s50, s49, s4
	s_add_u32 s41, s41, s51
	s_addc_u32 s50, 0, s50
	s_add_u32 s41, s41, s48
	s_mul_hi_u32 s5, s47, s4
	s_addc_u32 s41, s50, s46
	s_addc_u32 s5, s5, 0
	s_mul_i32 s4, s47, s4
	s_add_u32 s4, s41, s4
	s_addc_u32 s41, 0, s5
	s_add_u32 s46, s49, s4
	s_cselect_b64 s[4:5], -1, 0
	v_ashrrev_i32_e32 v5, 31, v9
	s_cmp_lg_u64 s[4:5], 0
	v_add_co_u32_e32 v10, vcc, v8, v5
	s_addc_u32 s41, s47, s41
	v_xor_b32_e32 v18, v10, v5
	v_mad_u64_u32 v[10:11], s[4:5], v18, s41, 0
	v_mul_hi_u32 v17, v18, s46
	v_addc_co_u32_e32 v16, vcc, v9, v5, vcc
	v_xor_b32_e32 v19, v16, v5
	v_add_co_u32_e32 v20, vcc, v17, v10
	v_addc_co_u32_e32 v21, vcc, 0, v11, vcc
	v_mad_u64_u32 v[10:11], s[4:5], v19, s46, 0
	v_mad_u64_u32 v[16:17], s[4:5], v19, s41, 0
	v_add_co_u32_e32 v10, vcc, v20, v10
	v_addc_co_u32_e32 v10, vcc, v21, v11, vcc
	v_addc_co_u32_e32 v11, vcc, 0, v17, vcc
	v_add_co_u32_e32 v16, vcc, v10, v16
	v_addc_co_u32_e32 v17, vcc, 0, v11, vcc
	v_mul_lo_u32 v20, s43, v16
	v_mul_lo_u32 v21, s42, v17
	v_mad_u64_u32 v[10:11], s[4:5], s42, v16, 0
	v_xor_b32_e32 v5, s40, v5
	v_add3_u32 v11, v11, v21, v20
	v_sub_u32_e32 v20, v19, v11
	v_mov_b32_e32 v21, s43
	v_sub_co_u32_e32 v10, vcc, v18, v10
	v_subb_co_u32_e64 v18, s[4:5], v20, v21, vcc
	v_subrev_co_u32_e64 v20, s[4:5], s42, v10
	v_subbrev_co_u32_e64 v18, s[4:5], 0, v18, s[4:5]
	v_cmp_le_u32_e64 s[4:5], s43, v18
	v_cndmask_b32_e64 v21, 0, -1, s[4:5]
	v_cmp_le_u32_e64 s[4:5], s42, v20
	v_cndmask_b32_e64 v20, 0, -1, s[4:5]
	v_cmp_eq_u32_e64 s[4:5], s43, v18
	v_cndmask_b32_e64 v18, v21, v20, s[4:5]
	v_add_co_u32_e64 v20, s[4:5], 2, v16
	v_subb_co_u32_e32 v11, vcc, v19, v11, vcc
	v_addc_co_u32_e64 v21, s[4:5], 0, v17, s[4:5]
	v_cmp_le_u32_e32 vcc, s43, v11
	v_add_co_u32_e64 v22, s[4:5], 1, v16
	v_cndmask_b32_e64 v19, 0, -1, vcc
	v_cmp_le_u32_e32 vcc, s42, v10
	v_addc_co_u32_e64 v23, s[4:5], 0, v17, s[4:5]
	v_cndmask_b32_e64 v10, 0, -1, vcc
	v_cmp_eq_u32_e32 vcc, s43, v11
	v_cmp_ne_u32_e64 s[4:5], 0, v18
	v_cndmask_b32_e32 v10, v19, v10, vcc
	v_cndmask_b32_e64 v18, v23, v21, s[4:5]
	v_cmp_ne_u32_e32 vcc, 0, v10
	v_cndmask_b32_e64 v11, v22, v20, s[4:5]
	v_cndmask_b32_e32 v10, v17, v18, vcc
	v_cndmask_b32_e32 v11, v16, v11, vcc
	v_xor_b32_e32 v16, v10, v5
	v_xor_b32_e32 v10, v11, v5
	v_sub_co_u32_e32 v10, vcc, v10, v5
	v_subb_co_u32_e32 v11, vcc, v16, v5, vcc
.LBB6_13:                               ;   in Loop: Header=BB6_11 Depth=2
	s_andn2_saveexec_b64 s[4:5], s[38:39]
	s_cbranch_execz .LBB6_15
; %bb.14:                               ;   in Loop: Header=BB6_11 Depth=2
	v_cvt_f32_u32_e32 v5, s36
	s_sub_i32 s38, 0, s36
	v_rcp_iflag_f32_e32 v5, v5
	v_mul_f32_e32 v5, 0x4f7ffffe, v5
	v_cvt_u32_f32_e32 v5, v5
	v_mul_lo_u32 v10, s38, v5
	v_mul_hi_u32 v10, v5, v10
	v_add_u32_e32 v5, v5, v10
	v_mul_hi_u32 v5, v8, v5
	v_mul_lo_u32 v10, v5, s36
	v_add_u32_e32 v11, 1, v5
	v_sub_u32_e32 v10, v8, v10
	v_subrev_u32_e32 v16, s36, v10
	v_cmp_le_u32_e32 vcc, s36, v10
	v_cndmask_b32_e32 v10, v10, v16, vcc
	v_cndmask_b32_e32 v5, v5, v11, vcc
	v_add_u32_e32 v11, 1, v5
	v_cmp_le_u32_e32 vcc, s36, v10
	v_cndmask_b32_e32 v10, v5, v11, vcc
	v_mov_b32_e32 v11, v4
.LBB6_15:                               ;   in Loop: Header=BB6_11 Depth=2
	s_or_b64 exec, exec, s[4:5]
	v_mul_lo_u32 v5, v11, s36
	v_mul_lo_u32 v18, v10, s37
	v_mad_u64_u32 v[16:17], s[4:5], v10, s36, 0
	s_load_dwordx2 s[4:5], s[34:35], 0xc8
	s_add_i32 s26, s26, -1
	v_add3_u32 v5, v17, v18, v5
	v_sub_co_u32_e32 v8, vcc, v8, v16
	v_subb_co_u32_e32 v5, vcc, v9, v5, vcc
	s_waitcnt lgkmcnt(0)
	v_mul_lo_u32 v5, s4, v5
	v_mul_lo_u32 v9, s5, v8
	v_mad_u64_u32 v[6:7], s[4:5], s4, v8, v[6:7]
	s_add_u32 s34, s34, -8
	s_addc_u32 s35, s35, -1
	s_cmp_gt_u32 s26, 2
	v_add3_u32 v7, v9, v7, v5
	s_cbranch_scc0 .LBB6_17
; %bb.16:                               ;   in Loop: Header=BB6_11 Depth=2
	v_mov_b32_e32 v8, v10
	v_mov_b32_e32 v9, v11
	s_branch .LBB6_11
.LBB6_17:                               ;   in Loop: Header=BB6_10 Depth=1
	v_mov_b32_e32 v8, s24
	v_mov_b32_e32 v9, s25
	v_mul_lo_u32 v5, s22, v11
	v_mul_lo_u32 v11, s23, v10
	v_mad_u64_u32 v[8:9], s[4:5], s22, v10, v[8:9]
	v_add3_u32 v9, v11, v9, v5
	v_add_co_u32_e32 v5, vcc, v8, v6
	v_addc_co_u32_e32 v6, vcc, v9, v7, vcc
	global_load_ubyte v5, v[5:6], off
	v_mov_b32_e32 v6, s27
	s_waitcnt vmcnt(0)
	v_and_b32_e32 v5, 0xffff, v5
	v_cmp_le_i64_e32 vcc, s[10:11], v[5:6]
	v_cmp_ge_i64_e64 s[4:5], s[12:13], v[5:6]
	s_and_b64 s[4:5], vcc, s[4:5]
	s_and_saveexec_b64 s[34:35], s[4:5]
	s_cbranch_execz .LBB6_9
; %bb.18:                               ;   in Loop: Header=BB6_10 Depth=1
	v_mov_b32_e32 v6, s11
	v_subrev_co_u32_e32 v5, vcc, s10, v5
	v_subb_co_u32_e32 v6, vcc, 0, v6, vcc
	v_mul_lo_u32 v8, v6, s8
	v_mul_lo_u32 v9, v5, s9
	v_mad_u64_u32 v[6:7], s[4:5], v5, s8, 0
	v_add3_u32 v7, v7, v9, v8
	v_or_b32_e32 v5, s44, v7
	v_cmp_ne_u64_e32 vcc, 0, v[4:5]
                                        ; implicit-def: $vgpr8_vgpr9
	s_and_saveexec_b64 s[4:5], vcc
	s_xor_b64 s[36:37], exec, s[4:5]
	s_cbranch_execz .LBB6_20
; %bb.19:                               ;   in Loop: Header=BB6_10 Depth=1
	s_ashr_i32 s38, s44, 31
	s_add_u32 s4, s33, s38
	s_mov_b32 s39, s38
	s_addc_u32 s5, s44, s38
	s_xor_b64 s[40:41], s[4:5], s[38:39]
	v_cvt_f32_u32_e32 v5, s40
	v_cvt_f32_u32_e32 v8, s41
	s_sub_u32 s26, 0, s40
	s_subb_u32 s39, 0, s41
	v_ashrrev_i32_e32 v9, 31, v7
	v_mac_f32_e32 v5, 0x4f800000, v8
	v_rcp_f32_e32 v5, v5
	v_mul_f32_e32 v5, 0x5f7ffffc, v5
	v_mul_f32_e32 v8, 0x2f800000, v5
	v_trunc_f32_e32 v8, v8
	v_mac_f32_e32 v5, 0xcf800000, v8
	v_cvt_u32_f32_e32 v8, v8
	v_cvt_u32_f32_e32 v5, v5
	v_readfirstlane_b32 s42, v8
	v_readfirstlane_b32 s4, v5
	s_mul_i32 s5, s26, s42
	s_mul_hi_u32 s46, s26, s4
	s_mul_i32 s43, s39, s4
	s_add_i32 s5, s46, s5
	s_add_i32 s5, s5, s43
	s_mul_i32 s47, s26, s4
	s_mul_i32 s46, s4, s5
	s_mul_hi_u32 s48, s4, s47
	s_mul_hi_u32 s43, s4, s5
	s_add_u32 s46, s48, s46
	s_addc_u32 s43, 0, s43
	s_mul_hi_u32 s49, s42, s47
	s_mul_i32 s47, s42, s47
	s_add_u32 s46, s46, s47
	s_mul_hi_u32 s48, s42, s5
	s_addc_u32 s43, s43, s49
	s_addc_u32 s46, s48, 0
	s_mul_i32 s5, s42, s5
	s_add_u32 s5, s43, s5
	s_addc_u32 s43, 0, s46
	s_add_u32 s46, s4, s5
	s_cselect_b64 s[4:5], -1, 0
	s_cmp_lg_u64 s[4:5], 0
	s_addc_u32 s42, s42, s43
	s_mul_i32 s4, s26, s42
	s_mul_hi_u32 s5, s26, s46
	s_add_i32 s4, s5, s4
	s_mul_i32 s39, s39, s46
	s_add_i32 s4, s4, s39
	s_mul_i32 s26, s26, s46
	s_mul_hi_u32 s39, s42, s26
	s_mul_i32 s43, s42, s26
	s_mul_i32 s48, s46, s4
	s_mul_hi_u32 s26, s46, s26
	s_mul_hi_u32 s47, s46, s4
	s_add_u32 s26, s26, s48
	s_addc_u32 s47, 0, s47
	s_add_u32 s26, s26, s43
	s_mul_hi_u32 s5, s42, s4
	s_addc_u32 s26, s47, s39
	s_addc_u32 s5, s5, 0
	s_mul_i32 s4, s42, s4
	s_add_u32 s4, s26, s4
	s_addc_u32 s26, 0, s5
	s_add_u32 s39, s46, s4
	s_cselect_b64 s[4:5], -1, 0
	s_cmp_lg_u64 s[4:5], 0
	v_add_co_u32_e32 v5, vcc, v6, v9
	s_addc_u32 s26, s42, s26
	v_xor_b32_e32 v10, v5, v9
	v_mad_u64_u32 v[5:6], s[4:5], v10, s26, 0
	v_mul_hi_u32 v8, v10, s39
	v_addc_co_u32_e32 v7, vcc, v7, v9, vcc
	v_xor_b32_e32 v11, v7, v9
	v_add_co_u32_e32 v16, vcc, v8, v5
	v_addc_co_u32_e32 v17, vcc, 0, v6, vcc
	v_mad_u64_u32 v[5:6], s[4:5], v11, s39, 0
	v_mad_u64_u32 v[7:8], s[4:5], v11, s26, 0
	v_add_co_u32_e32 v5, vcc, v16, v5
	v_addc_co_u32_e32 v5, vcc, v17, v6, vcc
	v_addc_co_u32_e32 v6, vcc, 0, v8, vcc
	v_add_co_u32_e32 v7, vcc, v5, v7
	v_addc_co_u32_e32 v5, vcc, 0, v6, vcc
	v_mul_lo_u32 v8, s41, v7
	v_mul_lo_u32 v16, s40, v5
	v_mad_u64_u32 v[5:6], s[4:5], s40, v7, 0
	v_add3_u32 v6, v6, v16, v8
	v_sub_u32_e32 v8, v11, v6
	v_mov_b32_e32 v16, s41
	v_sub_co_u32_e32 v5, vcc, v10, v5
	v_subb_co_u32_e64 v8, s[4:5], v8, v16, vcc
	v_subrev_co_u32_e64 v10, s[4:5], s40, v5
	v_subbrev_co_u32_e64 v8, s[4:5], 0, v8, s[4:5]
	v_cmp_le_u32_e64 s[4:5], s41, v8
	v_subb_co_u32_e32 v6, vcc, v11, v6, vcc
	v_cndmask_b32_e64 v16, 0, -1, s[4:5]
	v_cmp_le_u32_e64 s[4:5], s40, v10
	v_cmp_le_u32_e32 vcc, s41, v6
	v_cndmask_b32_e64 v10, 0, -1, s[4:5]
	v_cmp_eq_u32_e64 s[4:5], s41, v8
	v_cndmask_b32_e64 v11, 0, -1, vcc
	v_cmp_le_u32_e32 vcc, s40, v5
	v_cndmask_b32_e64 v8, v16, v10, s[4:5]
	v_cndmask_b32_e64 v5, 0, -1, vcc
	v_cmp_eq_u32_e32 vcc, s41, v6
	v_add_co_u32_e64 v10, s[4:5], 2, v7
	v_add_co_u32_e64 v16, s[4:5], 1, v7
	v_cndmask_b32_e32 v5, v11, v5, vcc
	v_cmp_ne_u32_e32 vcc, 0, v8
	v_cndmask_b32_e32 v6, v16, v10, vcc
	v_cmp_ne_u32_e32 vcc, 0, v5
	v_cndmask_b32_e32 v5, v7, v6, vcc
	v_xor_b32_e32 v6, s38, v9
	v_xor_b32_e32 v5, v5, v6
	v_sub_co_u32_e32 v8, vcc, v5, v6
                                        ; implicit-def: $vgpr6_vgpr7
.LBB6_20:                               ;   in Loop: Header=BB6_10 Depth=1
	s_andn2_saveexec_b64 s[4:5], s[36:37]
	s_cbranch_execz .LBB6_8
; %bb.21:                               ;   in Loop: Header=BB6_10 Depth=1
	v_cvt_f32_u32_e32 v5, s33
	s_sub_i32 s26, 0, s33
	v_rcp_iflag_f32_e32 v5, v5
	v_mul_f32_e32 v5, 0x4f7ffffe, v5
	v_cvt_u32_f32_e32 v5, v5
	v_mul_lo_u32 v7, s26, v5
	v_mul_hi_u32 v7, v5, v7
	v_add_u32_e32 v5, v5, v7
	v_mul_hi_u32 v5, v6, v5
	v_mul_lo_u32 v7, v5, s33
	v_add_u32_e32 v8, 1, v5
	v_sub_u32_e32 v6, v6, v7
	v_subrev_u32_e32 v7, s33, v6
	v_cmp_le_u32_e32 vcc, s33, v6
	v_cndmask_b32_e32 v6, v6, v7, vcc
	v_cndmask_b32_e32 v5, v5, v8, vcc
	v_add_u32_e32 v7, 1, v5
	v_cmp_le_u32_e32 vcc, s33, v6
	v_cndmask_b32_e32 v8, v5, v7, vcc
	s_branch .LBB6_8
.LBB6_22:
	s_or_b64 exec, exec, s[6:7]
; %bb.23:
	s_waitcnt lgkmcnt(0)
	s_barrier
	s_and_saveexec_b64 s[2:3], s[0:1]
	s_cbranch_execz .LBB6_26
; %bb.24:
	v_mad_u64_u32 v[2:3], s[0:1], s20, v0, 0
	v_and_b32_e32 v6, 0xffff, v14
	v_mov_b32_e32 v9, s17
	v_mad_u64_u32 v[3:4], s[0:1], s21, v0, v[3:4]
	v_mad_u64_u32 v[4:5], s[0:1], s20, v6, 0
	v_lshlrev_b64 v[2:3], 3, v[2:3]
	v_mad_u64_u32 v[7:8], s[0:1], s21, v6, v[5:6]
	v_add_co_u32_e32 v2, vcc, s16, v2
	v_mov_b32_e32 v5, v7
	v_lshlrev_b64 v[4:5], 3, v[4:5]
	v_addc_co_u32_e32 v3, vcc, v9, v3, vcc
	v_lshlrev_b32_e32 v7, 3, v13
	s_mov_b64 s[0:1], 0
.LBB6_25:                               ; =>This Inner Loop Header: Depth=1
	ds_read_b64 v[8:9], v12
	v_add_co_u32_e32 v0, vcc, v0, v6
	v_addc_co_u32_e32 v1, vcc, 0, v1, vcc
	s_waitcnt lgkmcnt(0)
	global_atomic_add_x2 v[2:3], v[8:9], off
	v_cmp_le_i64_e32 vcc, s[18:19], v[0:1]
	v_add_u32_e32 v12, v12, v7
	s_or_b64 s[0:1], vcc, s[0:1]
	v_add_co_u32_e32 v2, vcc, v2, v4
	v_addc_co_u32_e32 v3, vcc, v3, v5, vcc
	s_andn2_b64 exec, exec, s[0:1]
	s_cbranch_execnz .LBB6_25
.LBB6_26:
	s_endpgm
	.section	.rodata,"a",@progbits
	.p2align	6, 0x0
	.amdhsa_kernel _ZN2at4cuda17kernelHistogram1DIlhlLi1ELi2ELin1ELNS0_23CUDAHistogramMemoryTypeE0EZNS0_21CUDA_tensor_histogramIlhLb0EEEbNS_6TensorES4_S4_lNS_14AccumulateTypeIT0_Lb1EE4typeES8_NS0_13TensorArgTypeES9_S9_EUllE0_EEvNS0_6detail10TensorInfoIT_T1_EESF_NSC_IKS6_SE_EElS8_S8_SE_T6_
		.amdhsa_group_segment_fixed_size 0
		.amdhsa_private_segment_fixed_size 0
		.amdhsa_kernarg_size 1544
		.amdhsa_user_sgpr_count 6
		.amdhsa_user_sgpr_private_segment_buffer 1
		.amdhsa_user_sgpr_dispatch_ptr 0
		.amdhsa_user_sgpr_queue_ptr 0
		.amdhsa_user_sgpr_kernarg_segment_ptr 1
		.amdhsa_user_sgpr_dispatch_id 0
		.amdhsa_user_sgpr_flat_scratch_init 0
		.amdhsa_user_sgpr_private_segment_size 0
		.amdhsa_uses_dynamic_stack 0
		.amdhsa_system_sgpr_private_segment_wavefront_offset 0
		.amdhsa_system_sgpr_workgroup_id_x 1
		.amdhsa_system_sgpr_workgroup_id_y 0
		.amdhsa_system_sgpr_workgroup_id_z 0
		.amdhsa_system_sgpr_workgroup_info 0
		.amdhsa_system_vgpr_workitem_id 0
		.amdhsa_next_free_vgpr 24
		.amdhsa_next_free_sgpr 53
		.amdhsa_reserve_vcc 1
		.amdhsa_reserve_flat_scratch 0
		.amdhsa_float_round_mode_32 0
		.amdhsa_float_round_mode_16_64 0
		.amdhsa_float_denorm_mode_32 3
		.amdhsa_float_denorm_mode_16_64 3
		.amdhsa_dx10_clamp 1
		.amdhsa_ieee_mode 1
		.amdhsa_fp16_overflow 0
		.amdhsa_exception_fp_ieee_invalid_op 0
		.amdhsa_exception_fp_denorm_src 0
		.amdhsa_exception_fp_ieee_div_zero 0
		.amdhsa_exception_fp_ieee_overflow 0
		.amdhsa_exception_fp_ieee_underflow 0
		.amdhsa_exception_fp_ieee_inexact 0
		.amdhsa_exception_int_div_zero 0
	.end_amdhsa_kernel
	.section	.text._ZN2at4cuda17kernelHistogram1DIlhlLi1ELi2ELin1ELNS0_23CUDAHistogramMemoryTypeE0EZNS0_21CUDA_tensor_histogramIlhLb0EEEbNS_6TensorES4_S4_lNS_14AccumulateTypeIT0_Lb1EE4typeES8_NS0_13TensorArgTypeES9_S9_EUllE0_EEvNS0_6detail10TensorInfoIT_T1_EESF_NSC_IKS6_SE_EElS8_S8_SE_T6_,"axG",@progbits,_ZN2at4cuda17kernelHistogram1DIlhlLi1ELi2ELin1ELNS0_23CUDAHistogramMemoryTypeE0EZNS0_21CUDA_tensor_histogramIlhLb0EEEbNS_6TensorES4_S4_lNS_14AccumulateTypeIT0_Lb1EE4typeES8_NS0_13TensorArgTypeES9_S9_EUllE0_EEvNS0_6detail10TensorInfoIT_T1_EESF_NSC_IKS6_SE_EElS8_S8_SE_T6_,comdat
.Lfunc_end6:
	.size	_ZN2at4cuda17kernelHistogram1DIlhlLi1ELi2ELin1ELNS0_23CUDAHistogramMemoryTypeE0EZNS0_21CUDA_tensor_histogramIlhLb0EEEbNS_6TensorES4_S4_lNS_14AccumulateTypeIT0_Lb1EE4typeES8_NS0_13TensorArgTypeES9_S9_EUllE0_EEvNS0_6detail10TensorInfoIT_T1_EESF_NSC_IKS6_SE_EElS8_S8_SE_T6_, .Lfunc_end6-_ZN2at4cuda17kernelHistogram1DIlhlLi1ELi2ELin1ELNS0_23CUDAHistogramMemoryTypeE0EZNS0_21CUDA_tensor_histogramIlhLb0EEEbNS_6TensorES4_S4_lNS_14AccumulateTypeIT0_Lb1EE4typeES8_NS0_13TensorArgTypeES9_S9_EUllE0_EEvNS0_6detail10TensorInfoIT_T1_EESF_NSC_IKS6_SE_EElS8_S8_SE_T6_
                                        ; -- End function
	.set _ZN2at4cuda17kernelHistogram1DIlhlLi1ELi2ELin1ELNS0_23CUDAHistogramMemoryTypeE0EZNS0_21CUDA_tensor_histogramIlhLb0EEEbNS_6TensorES4_S4_lNS_14AccumulateTypeIT0_Lb1EE4typeES8_NS0_13TensorArgTypeES9_S9_EUllE0_EEvNS0_6detail10TensorInfoIT_T1_EESF_NSC_IKS6_SE_EElS8_S8_SE_T6_.num_vgpr, 24
	.set _ZN2at4cuda17kernelHistogram1DIlhlLi1ELi2ELin1ELNS0_23CUDAHistogramMemoryTypeE0EZNS0_21CUDA_tensor_histogramIlhLb0EEEbNS_6TensorES4_S4_lNS_14AccumulateTypeIT0_Lb1EE4typeES8_NS0_13TensorArgTypeES9_S9_EUllE0_EEvNS0_6detail10TensorInfoIT_T1_EESF_NSC_IKS6_SE_EElS8_S8_SE_T6_.num_agpr, 0
	.set _ZN2at4cuda17kernelHistogram1DIlhlLi1ELi2ELin1ELNS0_23CUDAHistogramMemoryTypeE0EZNS0_21CUDA_tensor_histogramIlhLb0EEEbNS_6TensorES4_S4_lNS_14AccumulateTypeIT0_Lb1EE4typeES8_NS0_13TensorArgTypeES9_S9_EUllE0_EEvNS0_6detail10TensorInfoIT_T1_EESF_NSC_IKS6_SE_EElS8_S8_SE_T6_.numbered_sgpr, 53
	.set _ZN2at4cuda17kernelHistogram1DIlhlLi1ELi2ELin1ELNS0_23CUDAHistogramMemoryTypeE0EZNS0_21CUDA_tensor_histogramIlhLb0EEEbNS_6TensorES4_S4_lNS_14AccumulateTypeIT0_Lb1EE4typeES8_NS0_13TensorArgTypeES9_S9_EUllE0_EEvNS0_6detail10TensorInfoIT_T1_EESF_NSC_IKS6_SE_EElS8_S8_SE_T6_.num_named_barrier, 0
	.set _ZN2at4cuda17kernelHistogram1DIlhlLi1ELi2ELin1ELNS0_23CUDAHistogramMemoryTypeE0EZNS0_21CUDA_tensor_histogramIlhLb0EEEbNS_6TensorES4_S4_lNS_14AccumulateTypeIT0_Lb1EE4typeES8_NS0_13TensorArgTypeES9_S9_EUllE0_EEvNS0_6detail10TensorInfoIT_T1_EESF_NSC_IKS6_SE_EElS8_S8_SE_T6_.private_seg_size, 0
	.set _ZN2at4cuda17kernelHistogram1DIlhlLi1ELi2ELin1ELNS0_23CUDAHistogramMemoryTypeE0EZNS0_21CUDA_tensor_histogramIlhLb0EEEbNS_6TensorES4_S4_lNS_14AccumulateTypeIT0_Lb1EE4typeES8_NS0_13TensorArgTypeES9_S9_EUllE0_EEvNS0_6detail10TensorInfoIT_T1_EESF_NSC_IKS6_SE_EElS8_S8_SE_T6_.uses_vcc, 1
	.set _ZN2at4cuda17kernelHistogram1DIlhlLi1ELi2ELin1ELNS0_23CUDAHistogramMemoryTypeE0EZNS0_21CUDA_tensor_histogramIlhLb0EEEbNS_6TensorES4_S4_lNS_14AccumulateTypeIT0_Lb1EE4typeES8_NS0_13TensorArgTypeES9_S9_EUllE0_EEvNS0_6detail10TensorInfoIT_T1_EESF_NSC_IKS6_SE_EElS8_S8_SE_T6_.uses_flat_scratch, 0
	.set _ZN2at4cuda17kernelHistogram1DIlhlLi1ELi2ELin1ELNS0_23CUDAHistogramMemoryTypeE0EZNS0_21CUDA_tensor_histogramIlhLb0EEEbNS_6TensorES4_S4_lNS_14AccumulateTypeIT0_Lb1EE4typeES8_NS0_13TensorArgTypeES9_S9_EUllE0_EEvNS0_6detail10TensorInfoIT_T1_EESF_NSC_IKS6_SE_EElS8_S8_SE_T6_.has_dyn_sized_stack, 0
	.set _ZN2at4cuda17kernelHistogram1DIlhlLi1ELi2ELin1ELNS0_23CUDAHistogramMemoryTypeE0EZNS0_21CUDA_tensor_histogramIlhLb0EEEbNS_6TensorES4_S4_lNS_14AccumulateTypeIT0_Lb1EE4typeES8_NS0_13TensorArgTypeES9_S9_EUllE0_EEvNS0_6detail10TensorInfoIT_T1_EESF_NSC_IKS6_SE_EElS8_S8_SE_T6_.has_recursion, 0
	.set _ZN2at4cuda17kernelHistogram1DIlhlLi1ELi2ELin1ELNS0_23CUDAHistogramMemoryTypeE0EZNS0_21CUDA_tensor_histogramIlhLb0EEEbNS_6TensorES4_S4_lNS_14AccumulateTypeIT0_Lb1EE4typeES8_NS0_13TensorArgTypeES9_S9_EUllE0_EEvNS0_6detail10TensorInfoIT_T1_EESF_NSC_IKS6_SE_EElS8_S8_SE_T6_.has_indirect_call, 0
	.section	.AMDGPU.csdata,"",@progbits
; Kernel info:
; codeLenInByte = 2344
; TotalNumSgprs: 57
; NumVgprs: 24
; ScratchSize: 0
; MemoryBound: 0
; FloatMode: 240
; IeeeMode: 1
; LDSByteSize: 0 bytes/workgroup (compile time only)
; SGPRBlocks: 7
; VGPRBlocks: 5
; NumSGPRsForWavesPerEU: 57
; NumVGPRsForWavesPerEU: 24
; Occupancy: 10
; WaveLimiterHint : 1
; COMPUTE_PGM_RSRC2:SCRATCH_EN: 0
; COMPUTE_PGM_RSRC2:USER_SGPR: 6
; COMPUTE_PGM_RSRC2:TRAP_HANDLER: 0
; COMPUTE_PGM_RSRC2:TGID_X_EN: 1
; COMPUTE_PGM_RSRC2:TGID_Y_EN: 0
; COMPUTE_PGM_RSRC2:TGID_Z_EN: 0
; COMPUTE_PGM_RSRC2:TIDIG_COMP_CNT: 0
	.section	.text._ZN2at4cuda17kernelHistogram1DIlhlLi1ELi2ELin1ELNS0_23CUDAHistogramMemoryTypeE1EZNS0_21CUDA_tensor_histogramIlhLb0EEEbNS_6TensorES4_S4_lNS_14AccumulateTypeIT0_Lb1EE4typeES8_NS0_13TensorArgTypeES9_S9_EUllE0_EEvNS0_6detail10TensorInfoIT_T1_EESF_NSC_IKS6_SE_EElS8_S8_SE_T6_,"axG",@progbits,_ZN2at4cuda17kernelHistogram1DIlhlLi1ELi2ELin1ELNS0_23CUDAHistogramMemoryTypeE1EZNS0_21CUDA_tensor_histogramIlhLb0EEEbNS_6TensorES4_S4_lNS_14AccumulateTypeIT0_Lb1EE4typeES8_NS0_13TensorArgTypeES9_S9_EUllE0_EEvNS0_6detail10TensorInfoIT_T1_EESF_NSC_IKS6_SE_EElS8_S8_SE_T6_,comdat
	.protected	_ZN2at4cuda17kernelHistogram1DIlhlLi1ELi2ELin1ELNS0_23CUDAHistogramMemoryTypeE1EZNS0_21CUDA_tensor_histogramIlhLb0EEEbNS_6TensorES4_S4_lNS_14AccumulateTypeIT0_Lb1EE4typeES8_NS0_13TensorArgTypeES9_S9_EUllE0_EEvNS0_6detail10TensorInfoIT_T1_EESF_NSC_IKS6_SE_EElS8_S8_SE_T6_ ; -- Begin function _ZN2at4cuda17kernelHistogram1DIlhlLi1ELi2ELin1ELNS0_23CUDAHistogramMemoryTypeE1EZNS0_21CUDA_tensor_histogramIlhLb0EEEbNS_6TensorES4_S4_lNS_14AccumulateTypeIT0_Lb1EE4typeES8_NS0_13TensorArgTypeES9_S9_EUllE0_EEvNS0_6detail10TensorInfoIT_T1_EESF_NSC_IKS6_SE_EElS8_S8_SE_T6_
	.globl	_ZN2at4cuda17kernelHistogram1DIlhlLi1ELi2ELin1ELNS0_23CUDAHistogramMemoryTypeE1EZNS0_21CUDA_tensor_histogramIlhLb0EEEbNS_6TensorES4_S4_lNS_14AccumulateTypeIT0_Lb1EE4typeES8_NS0_13TensorArgTypeES9_S9_EUllE0_EEvNS0_6detail10TensorInfoIT_T1_EESF_NSC_IKS6_SE_EElS8_S8_SE_T6_
	.p2align	8
	.type	_ZN2at4cuda17kernelHistogram1DIlhlLi1ELi2ELin1ELNS0_23CUDAHistogramMemoryTypeE1EZNS0_21CUDA_tensor_histogramIlhLb0EEEbNS_6TensorES4_S4_lNS_14AccumulateTypeIT0_Lb1EE4typeES8_NS0_13TensorArgTypeES9_S9_EUllE0_EEvNS0_6detail10TensorInfoIT_T1_EESF_NSC_IKS6_SE_EElS8_S8_SE_T6_,@function
_ZN2at4cuda17kernelHistogram1DIlhlLi1ELi2ELin1ELNS0_23CUDAHistogramMemoryTypeE1EZNS0_21CUDA_tensor_histogramIlhLb0EEEbNS_6TensorES4_S4_lNS_14AccumulateTypeIT0_Lb1EE4typeES8_NS0_13TensorArgTypeES9_S9_EUllE0_EEvNS0_6detail10TensorInfoIT_T1_EESF_NSC_IKS6_SE_EElS8_S8_SE_T6_: ; @_ZN2at4cuda17kernelHistogram1DIlhlLi1ELi2ELin1ELNS0_23CUDAHistogramMemoryTypeE1EZNS0_21CUDA_tensor_histogramIlhLb0EEEbNS_6TensorES4_S4_lNS_14AccumulateTypeIT0_Lb1EE4typeES8_NS0_13TensorArgTypeES9_S9_EUllE0_EEvNS0_6detail10TensorInfoIT_T1_EESF_NSC_IKS6_SE_EElS8_S8_SE_T6_
; %bb.0:
	s_load_dword s2, s[4:5], 0x514
	s_load_dwordx8 s[8:15], s[4:5], 0x4e0
	s_add_u32 s0, s4, 0x508
	s_addc_u32 s1, s5, 0
	v_mov_b32_e32 v2, 0
	s_waitcnt lgkmcnt(0)
	s_and_b32 s2, s2, 0xffff
	s_mul_i32 s6, s6, s2
	v_add_u32_e32 v0, s6, v0
	v_mov_b32_e32 v1, v2
	v_cmp_gt_i64_e32 vcc, s[14:15], v[0:1]
	s_and_saveexec_b64 s[6:7], vcc
	s_cbranch_execz .LBB7_16
; %bb.1:
	s_load_dword s3, s[4:5], 0x4d8
	s_add_u32 s22, s4, 0x340
	s_load_dword s23, s[0:1], 0x0
	s_addc_u32 s24, s5, 0
	s_load_dwordx2 s[6:7], s[4:5], 0x0
	s_load_dwordx2 s[16:17], s[4:5], 0xd0
	;; [unrolled: 1-line block ×4, first 2 shown]
	s_waitcnt lgkmcnt(0)
	s_cmp_gt_i32 s3, 1
	s_cselect_b64 s[0:1], -1, 0
	s_sub_u32 s33, s12, s10
	s_subb_u32 s38, s13, s11
	s_mov_b32 s5, 0
	s_add_i32 s4, s3, -1
	s_mul_i32 s39, s23, s2
	s_add_i32 s40, s3, 1
	s_lshl_b64 s[2:3], s[4:5], 3
	s_add_u32 s2, s22, s2
	s_addc_u32 s3, s24, s3
	s_add_u32 s22, s2, 8
	v_cndmask_b32_e64 v3, 0, 1, s[0:1]
	v_mov_b32_e32 v4, 1
	s_addc_u32 s23, s3, 0
	s_mov_b64 s[24:25], 0
	v_mov_b32_e32 v5, 0
	v_cmp_ne_u32_e64 s[0:1], 1, v3
	s_branch .LBB7_4
.LBB7_2:                                ;   in Loop: Header=BB7_4 Depth=1
	s_or_b64 exec, exec, s[2:3]
	v_ashrrev_i32_e32 v9, 31, v8
	v_cmp_eq_u64_e32 vcc, s[8:9], v[8:9]
	v_cndmask_b32_e64 v3, 0, 1, vcc
	v_sub_co_u32_e32 v3, vcc, v8, v3
	v_subbrev_co_u32_e32 v6, vcc, 0, v9, vcc
	v_mul_lo_u32 v8, v6, s16
	v_mul_lo_u32 v9, v3, s17
	v_mad_u64_u32 v[6:7], s[2:3], v3, s16, 0
	v_mov_b32_e32 v3, s7
	v_add3_u32 v7, v7, v9, v8
	v_lshlrev_b64 v[6:7], 3, v[6:7]
	v_add_co_u32_e32 v6, vcc, s6, v6
	v_addc_co_u32_e32 v7, vcc, v3, v7, vcc
	global_atomic_add_x2 v[6:7], v[4:5], off
.LBB7_3:                                ;   in Loop: Header=BB7_4 Depth=1
	s_or_b64 exec, exec, s[26:27]
	v_add_co_u32_e32 v0, vcc, s39, v0
	v_addc_co_u32_e32 v1, vcc, 0, v1, vcc
	v_cmp_le_i64_e32 vcc, s[14:15], v[0:1]
	s_or_b64 s[24:25], vcc, s[24:25]
	s_andn2_b64 exec, exec, s[24:25]
	s_cbranch_execz .LBB7_16
.LBB7_4:                                ; =>This Loop Header: Depth=1
                                        ;     Child Loop BB7_5 Depth 2
	v_mov_b32_e32 v6, 0
	v_mov_b32_e32 v9, v1
	;; [unrolled: 1-line block ×4, first 2 shown]
	s_and_b64 vcc, exec, s[0:1]
	s_mov_b64 s[26:27], s[22:23]
	s_mov_b32 s4, s40
	v_mov_b32_e32 v8, v0
	v_mov_b32_e32 v10, v0
	s_cbranch_vccnz .LBB7_11
.LBB7_5:                                ;   Parent Loop BB7_4 Depth=1
                                        ; =>  This Inner Loop Header: Depth=2
	s_load_dwordx2 s[28:29], s[26:27], 0x0
                                        ; implicit-def: $vgpr10_vgpr11
	s_waitcnt lgkmcnt(0)
	v_or_b32_e32 v3, s29, v9
	v_cmp_ne_u64_e32 vcc, 0, v[2:3]
	s_and_saveexec_b64 s[2:3], vcc
	s_xor_b64 s[30:31], exec, s[2:3]
	s_cbranch_execz .LBB7_7
; %bb.6:                                ;   in Loop: Header=BB7_5 Depth=2
	s_ashr_i32 s34, s29, 31
	s_add_u32 s2, s28, s34
	s_mov_b32 s35, s34
	s_addc_u32 s3, s29, s34
	s_xor_b64 s[36:37], s[2:3], s[34:35]
	v_cvt_f32_u32_e32 v3, s36
	v_cvt_f32_u32_e32 v10, s37
	s_sub_u32 s35, 0, s36
	s_subb_u32 s41, 0, s37
	v_mac_f32_e32 v3, 0x4f800000, v10
	v_rcp_f32_e32 v3, v3
	v_mul_f32_e32 v3, 0x5f7ffffc, v3
	v_mul_f32_e32 v10, 0x2f800000, v3
	v_trunc_f32_e32 v10, v10
	v_mac_f32_e32 v3, 0xcf800000, v10
	v_cvt_u32_f32_e32 v10, v10
	v_cvt_u32_f32_e32 v3, v3
	v_readfirstlane_b32 s42, v10
	v_readfirstlane_b32 s2, v3
	s_mul_i32 s3, s35, s42
	s_mul_hi_u32 s44, s35, s2
	s_mul_i32 s43, s41, s2
	s_add_i32 s3, s44, s3
	s_add_i32 s3, s3, s43
	s_mul_i32 s45, s35, s2
	s_mul_i32 s44, s2, s3
	s_mul_hi_u32 s46, s2, s45
	s_mul_hi_u32 s43, s2, s3
	s_add_u32 s44, s46, s44
	s_addc_u32 s43, 0, s43
	s_mul_hi_u32 s47, s42, s45
	s_mul_i32 s45, s42, s45
	s_add_u32 s44, s44, s45
	s_mul_hi_u32 s46, s42, s3
	s_addc_u32 s43, s43, s47
	s_addc_u32 s44, s46, 0
	s_mul_i32 s3, s42, s3
	s_add_u32 s3, s43, s3
	s_addc_u32 s43, 0, s44
	s_add_u32 s44, s2, s3
	s_cselect_b64 s[2:3], -1, 0
	s_cmp_lg_u64 s[2:3], 0
	s_addc_u32 s42, s42, s43
	s_mul_i32 s2, s35, s42
	s_mul_hi_u32 s3, s35, s44
	s_add_i32 s2, s3, s2
	s_mul_i32 s41, s41, s44
	s_add_i32 s2, s2, s41
	s_mul_i32 s35, s35, s44
	s_mul_hi_u32 s41, s42, s35
	s_mul_i32 s43, s42, s35
	s_mul_i32 s46, s44, s2
	s_mul_hi_u32 s35, s44, s35
	s_mul_hi_u32 s45, s44, s2
	s_add_u32 s35, s35, s46
	s_addc_u32 s45, 0, s45
	s_add_u32 s35, s35, s43
	s_mul_hi_u32 s3, s42, s2
	s_addc_u32 s35, s45, s41
	s_addc_u32 s3, s3, 0
	s_mul_i32 s2, s42, s2
	s_add_u32 s2, s35, s2
	s_addc_u32 s35, 0, s3
	s_add_u32 s41, s44, s2
	s_cselect_b64 s[2:3], -1, 0
	v_ashrrev_i32_e32 v3, 31, v9
	s_cmp_lg_u64 s[2:3], 0
	v_add_co_u32_e32 v10, vcc, v8, v3
	s_addc_u32 s35, s42, s35
	v_xor_b32_e32 v14, v10, v3
	v_mad_u64_u32 v[10:11], s[2:3], v14, s35, 0
	v_mul_hi_u32 v13, v14, s41
	v_addc_co_u32_e32 v12, vcc, v9, v3, vcc
	v_xor_b32_e32 v15, v12, v3
	v_add_co_u32_e32 v16, vcc, v13, v10
	v_addc_co_u32_e32 v17, vcc, 0, v11, vcc
	v_mad_u64_u32 v[10:11], s[2:3], v15, s41, 0
	v_mad_u64_u32 v[12:13], s[2:3], v15, s35, 0
	v_add_co_u32_e32 v10, vcc, v16, v10
	v_addc_co_u32_e32 v10, vcc, v17, v11, vcc
	v_addc_co_u32_e32 v11, vcc, 0, v13, vcc
	v_add_co_u32_e32 v12, vcc, v10, v12
	v_addc_co_u32_e32 v13, vcc, 0, v11, vcc
	v_mul_lo_u32 v16, s37, v12
	v_mul_lo_u32 v17, s36, v13
	v_mad_u64_u32 v[10:11], s[2:3], s36, v12, 0
	v_xor_b32_e32 v3, s34, v3
	v_add3_u32 v11, v11, v17, v16
	v_sub_u32_e32 v16, v15, v11
	v_mov_b32_e32 v17, s37
	v_sub_co_u32_e32 v10, vcc, v14, v10
	v_subb_co_u32_e64 v14, s[2:3], v16, v17, vcc
	v_subrev_co_u32_e64 v16, s[2:3], s36, v10
	v_subbrev_co_u32_e64 v14, s[2:3], 0, v14, s[2:3]
	v_cmp_le_u32_e64 s[2:3], s37, v14
	v_cndmask_b32_e64 v17, 0, -1, s[2:3]
	v_cmp_le_u32_e64 s[2:3], s36, v16
	v_cndmask_b32_e64 v16, 0, -1, s[2:3]
	v_cmp_eq_u32_e64 s[2:3], s37, v14
	v_cndmask_b32_e64 v14, v17, v16, s[2:3]
	v_add_co_u32_e64 v16, s[2:3], 2, v12
	v_subb_co_u32_e32 v11, vcc, v15, v11, vcc
	v_addc_co_u32_e64 v17, s[2:3], 0, v13, s[2:3]
	v_cmp_le_u32_e32 vcc, s37, v11
	v_add_co_u32_e64 v18, s[2:3], 1, v12
	v_cndmask_b32_e64 v15, 0, -1, vcc
	v_cmp_le_u32_e32 vcc, s36, v10
	v_addc_co_u32_e64 v19, s[2:3], 0, v13, s[2:3]
	v_cndmask_b32_e64 v10, 0, -1, vcc
	v_cmp_eq_u32_e32 vcc, s37, v11
	v_cmp_ne_u32_e64 s[2:3], 0, v14
	v_cndmask_b32_e32 v10, v15, v10, vcc
	v_cndmask_b32_e64 v14, v19, v17, s[2:3]
	v_cmp_ne_u32_e32 vcc, 0, v10
	v_cndmask_b32_e64 v11, v18, v16, s[2:3]
	v_cndmask_b32_e32 v10, v13, v14, vcc
	v_cndmask_b32_e32 v11, v12, v11, vcc
	v_xor_b32_e32 v12, v10, v3
	v_xor_b32_e32 v10, v11, v3
	v_sub_co_u32_e32 v10, vcc, v10, v3
	v_subb_co_u32_e32 v11, vcc, v12, v3, vcc
.LBB7_7:                                ;   in Loop: Header=BB7_5 Depth=2
	s_andn2_saveexec_b64 s[2:3], s[30:31]
	s_cbranch_execz .LBB7_9
; %bb.8:                                ;   in Loop: Header=BB7_5 Depth=2
	v_cvt_f32_u32_e32 v3, s28
	s_sub_i32 s30, 0, s28
	v_rcp_iflag_f32_e32 v3, v3
	v_mul_f32_e32 v3, 0x4f7ffffe, v3
	v_cvt_u32_f32_e32 v3, v3
	v_mul_lo_u32 v10, s30, v3
	v_mul_hi_u32 v10, v3, v10
	v_add_u32_e32 v3, v3, v10
	v_mul_hi_u32 v3, v8, v3
	v_mul_lo_u32 v10, v3, s28
	v_add_u32_e32 v11, 1, v3
	v_sub_u32_e32 v10, v8, v10
	v_subrev_u32_e32 v12, s28, v10
	v_cmp_le_u32_e32 vcc, s28, v10
	v_cndmask_b32_e32 v10, v10, v12, vcc
	v_cndmask_b32_e32 v3, v3, v11, vcc
	v_add_u32_e32 v11, 1, v3
	v_cmp_le_u32_e32 vcc, s28, v10
	v_cndmask_b32_e32 v10, v3, v11, vcc
	v_mov_b32_e32 v11, v2
.LBB7_9:                                ;   in Loop: Header=BB7_5 Depth=2
	s_or_b64 exec, exec, s[2:3]
	v_mul_lo_u32 v3, v11, s28
	v_mul_lo_u32 v14, v10, s29
	v_mad_u64_u32 v[12:13], s[2:3], v10, s28, 0
	s_load_dwordx2 s[2:3], s[26:27], 0xc8
	s_add_i32 s4, s4, -1
	v_add3_u32 v3, v13, v14, v3
	v_sub_co_u32_e32 v8, vcc, v8, v12
	v_subb_co_u32_e32 v3, vcc, v9, v3, vcc
	s_waitcnt lgkmcnt(0)
	v_mul_lo_u32 v3, s2, v3
	v_mul_lo_u32 v9, s3, v8
	v_mad_u64_u32 v[6:7], s[2:3], s2, v8, v[6:7]
	s_add_u32 s26, s26, -8
	s_addc_u32 s27, s27, -1
	s_cmp_gt_u32 s4, 2
	v_add3_u32 v7, v9, v7, v3
	s_cbranch_scc0 .LBB7_11
; %bb.10:                               ;   in Loop: Header=BB7_5 Depth=2
	v_mov_b32_e32 v8, v10
	v_mov_b32_e32 v9, v11
	s_branch .LBB7_5
.LBB7_11:                               ;   in Loop: Header=BB7_4 Depth=1
	v_mov_b32_e32 v8, s20
	v_mov_b32_e32 v9, s21
	v_mul_lo_u32 v3, s18, v11
	v_mul_lo_u32 v11, s19, v10
	v_mad_u64_u32 v[8:9], s[2:3], s18, v10, v[8:9]
	v_add3_u32 v3, v11, v9, v3
	v_add_co_u32_e32 v6, vcc, v8, v6
	v_addc_co_u32_e32 v7, vcc, v3, v7, vcc
	global_load_ubyte v3, v[6:7], off
	v_mov_b32_e32 v7, s5
	s_waitcnt vmcnt(0)
	v_and_b32_e32 v6, 0xffff, v3
	v_cmp_le_i64_e32 vcc, s[10:11], v[6:7]
	v_cmp_ge_i64_e64 s[2:3], s[12:13], v[6:7]
	s_and_b64 s[2:3], vcc, s[2:3]
	s_and_saveexec_b64 s[26:27], s[2:3]
	s_cbranch_execz .LBB7_3
; %bb.12:                               ;   in Loop: Header=BB7_4 Depth=1
	v_mov_b32_e32 v3, s11
	v_subrev_co_u32_e32 v6, vcc, s10, v6
	v_subb_co_u32_e32 v3, vcc, 0, v3, vcc
	v_mul_lo_u32 v3, v3, s8
	v_mul_lo_u32 v8, v6, s9
	v_mad_u64_u32 v[6:7], s[2:3], v6, s8, 0
	v_add3_u32 v7, v7, v8, v3
	v_or_b32_e32 v3, s38, v7
	v_cmp_ne_u64_e32 vcc, 0, v[2:3]
                                        ; implicit-def: $vgpr8_vgpr9
	s_and_saveexec_b64 s[2:3], vcc
	s_xor_b64 s[28:29], exec, s[2:3]
	s_cbranch_execz .LBB7_14
; %bb.13:                               ;   in Loop: Header=BB7_4 Depth=1
	s_ashr_i32 s30, s38, 31
	s_add_u32 s2, s33, s30
	s_mov_b32 s31, s30
	s_addc_u32 s3, s38, s30
	s_xor_b64 s[34:35], s[2:3], s[30:31]
	v_cvt_f32_u32_e32 v3, s34
	v_cvt_f32_u32_e32 v8, s35
	s_sub_u32 s4, 0, s34
	s_subb_u32 s31, 0, s35
	v_mac_f32_e32 v3, 0x4f800000, v8
	v_rcp_f32_e32 v3, v3
	v_mul_f32_e32 v3, 0x5f7ffffc, v3
	v_mul_f32_e32 v8, 0x2f800000, v3
	v_trunc_f32_e32 v8, v8
	v_mac_f32_e32 v3, 0xcf800000, v8
	v_cvt_u32_f32_e32 v8, v8
	v_cvt_u32_f32_e32 v3, v3
	v_readfirstlane_b32 s36, v8
	v_readfirstlane_b32 s2, v3
	s_mul_i32 s3, s4, s36
	s_mul_hi_u32 s41, s4, s2
	s_mul_i32 s37, s31, s2
	s_add_i32 s3, s41, s3
	s_add_i32 s3, s3, s37
	s_mul_i32 s42, s4, s2
	s_mul_i32 s41, s2, s3
	s_mul_hi_u32 s43, s2, s42
	s_mul_hi_u32 s37, s2, s3
	s_add_u32 s41, s43, s41
	s_addc_u32 s37, 0, s37
	s_mul_hi_u32 s44, s36, s42
	s_mul_i32 s42, s36, s42
	s_add_u32 s41, s41, s42
	s_mul_hi_u32 s43, s36, s3
	s_addc_u32 s37, s37, s44
	s_addc_u32 s41, s43, 0
	s_mul_i32 s3, s36, s3
	s_add_u32 s3, s37, s3
	s_addc_u32 s37, 0, s41
	s_add_u32 s41, s2, s3
	s_cselect_b64 s[2:3], -1, 0
	s_cmp_lg_u64 s[2:3], 0
	s_addc_u32 s36, s36, s37
	s_mul_i32 s2, s4, s36
	s_mul_hi_u32 s3, s4, s41
	s_add_i32 s2, s3, s2
	s_mul_i32 s31, s31, s41
	s_add_i32 s2, s2, s31
	s_mul_i32 s4, s4, s41
	s_mul_hi_u32 s31, s36, s4
	s_mul_i32 s37, s36, s4
	s_mul_i32 s43, s41, s2
	s_mul_hi_u32 s4, s41, s4
	s_mul_hi_u32 s42, s41, s2
	s_add_u32 s4, s4, s43
	s_addc_u32 s42, 0, s42
	s_add_u32 s4, s4, s37
	s_mul_hi_u32 s3, s36, s2
	s_addc_u32 s4, s42, s31
	s_addc_u32 s3, s3, 0
	s_mul_i32 s2, s36, s2
	s_add_u32 s2, s4, s2
	s_addc_u32 s4, 0, s3
	s_add_u32 s31, s41, s2
	s_cselect_b64 s[2:3], -1, 0
	v_ashrrev_i32_e32 v3, 31, v7
	s_cmp_lg_u64 s[2:3], 0
	v_add_co_u32_e32 v6, vcc, v6, v3
	s_addc_u32 s4, s36, s4
	v_xor_b32_e32 v10, v6, v3
	v_addc_co_u32_e32 v8, vcc, v7, v3, vcc
	v_mad_u64_u32 v[6:7], s[2:3], v10, s4, 0
	v_mul_hi_u32 v9, v10, s31
	v_xor_b32_e32 v11, v8, v3
	v_xor_b32_e32 v3, s30, v3
	v_add_co_u32_e32 v12, vcc, v9, v6
	v_addc_co_u32_e32 v13, vcc, 0, v7, vcc
	v_mad_u64_u32 v[6:7], s[2:3], v11, s31, 0
	v_mad_u64_u32 v[8:9], s[2:3], v11, s4, 0
	v_add_co_u32_e32 v6, vcc, v12, v6
	v_addc_co_u32_e32 v6, vcc, v13, v7, vcc
	v_addc_co_u32_e32 v7, vcc, 0, v9, vcc
	v_add_co_u32_e32 v8, vcc, v6, v8
	v_addc_co_u32_e32 v6, vcc, 0, v7, vcc
	v_mul_lo_u32 v9, s35, v8
	v_mul_lo_u32 v12, s34, v6
	v_mad_u64_u32 v[6:7], s[2:3], s34, v8, 0
	v_add3_u32 v7, v7, v12, v9
	v_sub_u32_e32 v9, v11, v7
	v_mov_b32_e32 v12, s35
	v_sub_co_u32_e32 v6, vcc, v10, v6
	v_subb_co_u32_e64 v9, s[2:3], v9, v12, vcc
	v_subrev_co_u32_e64 v10, s[2:3], s34, v6
	v_subbrev_co_u32_e64 v9, s[2:3], 0, v9, s[2:3]
	v_cmp_le_u32_e64 s[2:3], s35, v9
	v_subb_co_u32_e32 v7, vcc, v11, v7, vcc
	v_cndmask_b32_e64 v12, 0, -1, s[2:3]
	v_cmp_le_u32_e64 s[2:3], s34, v10
	v_cmp_le_u32_e32 vcc, s35, v7
	v_cndmask_b32_e64 v10, 0, -1, s[2:3]
	v_cmp_eq_u32_e64 s[2:3], s35, v9
	v_cndmask_b32_e64 v11, 0, -1, vcc
	v_cmp_le_u32_e32 vcc, s34, v6
	v_cndmask_b32_e64 v9, v12, v10, s[2:3]
	v_cndmask_b32_e64 v6, 0, -1, vcc
	v_cmp_eq_u32_e32 vcc, s35, v7
	v_add_co_u32_e64 v10, s[2:3], 2, v8
	v_add_co_u32_e64 v12, s[2:3], 1, v8
	v_cndmask_b32_e32 v6, v11, v6, vcc
	v_cmp_ne_u32_e32 vcc, 0, v9
	v_cndmask_b32_e32 v7, v12, v10, vcc
	v_cmp_ne_u32_e32 vcc, 0, v6
	v_cndmask_b32_e32 v6, v8, v7, vcc
	v_xor_b32_e32 v6, v6, v3
	v_sub_co_u32_e32 v8, vcc, v6, v3
                                        ; implicit-def: $vgpr6_vgpr7
.LBB7_14:                               ;   in Loop: Header=BB7_4 Depth=1
	s_andn2_saveexec_b64 s[2:3], s[28:29]
	s_cbranch_execz .LBB7_2
; %bb.15:                               ;   in Loop: Header=BB7_4 Depth=1
	v_cvt_f32_u32_e32 v3, s33
	s_sub_i32 s4, 0, s33
	v_rcp_iflag_f32_e32 v3, v3
	v_mul_f32_e32 v3, 0x4f7ffffe, v3
	v_cvt_u32_f32_e32 v3, v3
	v_mul_lo_u32 v7, s4, v3
	v_mul_hi_u32 v7, v3, v7
	v_add_u32_e32 v3, v3, v7
	v_mul_hi_u32 v3, v6, v3
	v_mul_lo_u32 v7, v3, s33
	v_add_u32_e32 v8, 1, v3
	v_sub_u32_e32 v6, v6, v7
	v_subrev_u32_e32 v7, s33, v6
	v_cmp_le_u32_e32 vcc, s33, v6
	v_cndmask_b32_e32 v6, v6, v7, vcc
	v_cndmask_b32_e32 v3, v3, v8, vcc
	v_add_u32_e32 v7, 1, v3
	v_cmp_le_u32_e32 vcc, s33, v6
	v_cndmask_b32_e32 v8, v3, v7, vcc
	s_branch .LBB7_2
.LBB7_16:
	s_endpgm
	.section	.rodata,"a",@progbits
	.p2align	6, 0x0
	.amdhsa_kernel _ZN2at4cuda17kernelHistogram1DIlhlLi1ELi2ELin1ELNS0_23CUDAHistogramMemoryTypeE1EZNS0_21CUDA_tensor_histogramIlhLb0EEEbNS_6TensorES4_S4_lNS_14AccumulateTypeIT0_Lb1EE4typeES8_NS0_13TensorArgTypeES9_S9_EUllE0_EEvNS0_6detail10TensorInfoIT_T1_EESF_NSC_IKS6_SE_EElS8_S8_SE_T6_
		.amdhsa_group_segment_fixed_size 0
		.amdhsa_private_segment_fixed_size 0
		.amdhsa_kernarg_size 1544
		.amdhsa_user_sgpr_count 6
		.amdhsa_user_sgpr_private_segment_buffer 1
		.amdhsa_user_sgpr_dispatch_ptr 0
		.amdhsa_user_sgpr_queue_ptr 0
		.amdhsa_user_sgpr_kernarg_segment_ptr 1
		.amdhsa_user_sgpr_dispatch_id 0
		.amdhsa_user_sgpr_flat_scratch_init 0
		.amdhsa_user_sgpr_private_segment_size 0
		.amdhsa_uses_dynamic_stack 0
		.amdhsa_system_sgpr_private_segment_wavefront_offset 0
		.amdhsa_system_sgpr_workgroup_id_x 1
		.amdhsa_system_sgpr_workgroup_id_y 0
		.amdhsa_system_sgpr_workgroup_id_z 0
		.amdhsa_system_sgpr_workgroup_info 0
		.amdhsa_system_vgpr_workitem_id 0
		.amdhsa_next_free_vgpr 20
		.amdhsa_next_free_sgpr 48
		.amdhsa_reserve_vcc 1
		.amdhsa_reserve_flat_scratch 0
		.amdhsa_float_round_mode_32 0
		.amdhsa_float_round_mode_16_64 0
		.amdhsa_float_denorm_mode_32 3
		.amdhsa_float_denorm_mode_16_64 3
		.amdhsa_dx10_clamp 1
		.amdhsa_ieee_mode 1
		.amdhsa_fp16_overflow 0
		.amdhsa_exception_fp_ieee_invalid_op 0
		.amdhsa_exception_fp_denorm_src 0
		.amdhsa_exception_fp_ieee_div_zero 0
		.amdhsa_exception_fp_ieee_overflow 0
		.amdhsa_exception_fp_ieee_underflow 0
		.amdhsa_exception_fp_ieee_inexact 0
		.amdhsa_exception_int_div_zero 0
	.end_amdhsa_kernel
	.section	.text._ZN2at4cuda17kernelHistogram1DIlhlLi1ELi2ELin1ELNS0_23CUDAHistogramMemoryTypeE1EZNS0_21CUDA_tensor_histogramIlhLb0EEEbNS_6TensorES4_S4_lNS_14AccumulateTypeIT0_Lb1EE4typeES8_NS0_13TensorArgTypeES9_S9_EUllE0_EEvNS0_6detail10TensorInfoIT_T1_EESF_NSC_IKS6_SE_EElS8_S8_SE_T6_,"axG",@progbits,_ZN2at4cuda17kernelHistogram1DIlhlLi1ELi2ELin1ELNS0_23CUDAHistogramMemoryTypeE1EZNS0_21CUDA_tensor_histogramIlhLb0EEEbNS_6TensorES4_S4_lNS_14AccumulateTypeIT0_Lb1EE4typeES8_NS0_13TensorArgTypeES9_S9_EUllE0_EEvNS0_6detail10TensorInfoIT_T1_EESF_NSC_IKS6_SE_EElS8_S8_SE_T6_,comdat
.Lfunc_end7:
	.size	_ZN2at4cuda17kernelHistogram1DIlhlLi1ELi2ELin1ELNS0_23CUDAHistogramMemoryTypeE1EZNS0_21CUDA_tensor_histogramIlhLb0EEEbNS_6TensorES4_S4_lNS_14AccumulateTypeIT0_Lb1EE4typeES8_NS0_13TensorArgTypeES9_S9_EUllE0_EEvNS0_6detail10TensorInfoIT_T1_EESF_NSC_IKS6_SE_EElS8_S8_SE_T6_, .Lfunc_end7-_ZN2at4cuda17kernelHistogram1DIlhlLi1ELi2ELin1ELNS0_23CUDAHistogramMemoryTypeE1EZNS0_21CUDA_tensor_histogramIlhLb0EEEbNS_6TensorES4_S4_lNS_14AccumulateTypeIT0_Lb1EE4typeES8_NS0_13TensorArgTypeES9_S9_EUllE0_EEvNS0_6detail10TensorInfoIT_T1_EESF_NSC_IKS6_SE_EElS8_S8_SE_T6_
                                        ; -- End function
	.set _ZN2at4cuda17kernelHistogram1DIlhlLi1ELi2ELin1ELNS0_23CUDAHistogramMemoryTypeE1EZNS0_21CUDA_tensor_histogramIlhLb0EEEbNS_6TensorES4_S4_lNS_14AccumulateTypeIT0_Lb1EE4typeES8_NS0_13TensorArgTypeES9_S9_EUllE0_EEvNS0_6detail10TensorInfoIT_T1_EESF_NSC_IKS6_SE_EElS8_S8_SE_T6_.num_vgpr, 20
	.set _ZN2at4cuda17kernelHistogram1DIlhlLi1ELi2ELin1ELNS0_23CUDAHistogramMemoryTypeE1EZNS0_21CUDA_tensor_histogramIlhLb0EEEbNS_6TensorES4_S4_lNS_14AccumulateTypeIT0_Lb1EE4typeES8_NS0_13TensorArgTypeES9_S9_EUllE0_EEvNS0_6detail10TensorInfoIT_T1_EESF_NSC_IKS6_SE_EElS8_S8_SE_T6_.num_agpr, 0
	.set _ZN2at4cuda17kernelHistogram1DIlhlLi1ELi2ELin1ELNS0_23CUDAHistogramMemoryTypeE1EZNS0_21CUDA_tensor_histogramIlhLb0EEEbNS_6TensorES4_S4_lNS_14AccumulateTypeIT0_Lb1EE4typeES8_NS0_13TensorArgTypeES9_S9_EUllE0_EEvNS0_6detail10TensorInfoIT_T1_EESF_NSC_IKS6_SE_EElS8_S8_SE_T6_.numbered_sgpr, 48
	.set _ZN2at4cuda17kernelHistogram1DIlhlLi1ELi2ELin1ELNS0_23CUDAHistogramMemoryTypeE1EZNS0_21CUDA_tensor_histogramIlhLb0EEEbNS_6TensorES4_S4_lNS_14AccumulateTypeIT0_Lb1EE4typeES8_NS0_13TensorArgTypeES9_S9_EUllE0_EEvNS0_6detail10TensorInfoIT_T1_EESF_NSC_IKS6_SE_EElS8_S8_SE_T6_.num_named_barrier, 0
	.set _ZN2at4cuda17kernelHistogram1DIlhlLi1ELi2ELin1ELNS0_23CUDAHistogramMemoryTypeE1EZNS0_21CUDA_tensor_histogramIlhLb0EEEbNS_6TensorES4_S4_lNS_14AccumulateTypeIT0_Lb1EE4typeES8_NS0_13TensorArgTypeES9_S9_EUllE0_EEvNS0_6detail10TensorInfoIT_T1_EESF_NSC_IKS6_SE_EElS8_S8_SE_T6_.private_seg_size, 0
	.set _ZN2at4cuda17kernelHistogram1DIlhlLi1ELi2ELin1ELNS0_23CUDAHistogramMemoryTypeE1EZNS0_21CUDA_tensor_histogramIlhLb0EEEbNS_6TensorES4_S4_lNS_14AccumulateTypeIT0_Lb1EE4typeES8_NS0_13TensorArgTypeES9_S9_EUllE0_EEvNS0_6detail10TensorInfoIT_T1_EESF_NSC_IKS6_SE_EElS8_S8_SE_T6_.uses_vcc, 1
	.set _ZN2at4cuda17kernelHistogram1DIlhlLi1ELi2ELin1ELNS0_23CUDAHistogramMemoryTypeE1EZNS0_21CUDA_tensor_histogramIlhLb0EEEbNS_6TensorES4_S4_lNS_14AccumulateTypeIT0_Lb1EE4typeES8_NS0_13TensorArgTypeES9_S9_EUllE0_EEvNS0_6detail10TensorInfoIT_T1_EESF_NSC_IKS6_SE_EElS8_S8_SE_T6_.uses_flat_scratch, 0
	.set _ZN2at4cuda17kernelHistogram1DIlhlLi1ELi2ELin1ELNS0_23CUDAHistogramMemoryTypeE1EZNS0_21CUDA_tensor_histogramIlhLb0EEEbNS_6TensorES4_S4_lNS_14AccumulateTypeIT0_Lb1EE4typeES8_NS0_13TensorArgTypeES9_S9_EUllE0_EEvNS0_6detail10TensorInfoIT_T1_EESF_NSC_IKS6_SE_EElS8_S8_SE_T6_.has_dyn_sized_stack, 0
	.set _ZN2at4cuda17kernelHistogram1DIlhlLi1ELi2ELin1ELNS0_23CUDAHistogramMemoryTypeE1EZNS0_21CUDA_tensor_histogramIlhLb0EEEbNS_6TensorES4_S4_lNS_14AccumulateTypeIT0_Lb1EE4typeES8_NS0_13TensorArgTypeES9_S9_EUllE0_EEvNS0_6detail10TensorInfoIT_T1_EESF_NSC_IKS6_SE_EElS8_S8_SE_T6_.has_recursion, 0
	.set _ZN2at4cuda17kernelHistogram1DIlhlLi1ELi2ELin1ELNS0_23CUDAHistogramMemoryTypeE1EZNS0_21CUDA_tensor_histogramIlhLb0EEEbNS_6TensorES4_S4_lNS_14AccumulateTypeIT0_Lb1EE4typeES8_NS0_13TensorArgTypeES9_S9_EUllE0_EEvNS0_6detail10TensorInfoIT_T1_EESF_NSC_IKS6_SE_EElS8_S8_SE_T6_.has_indirect_call, 0
	.section	.AMDGPU.csdata,"",@progbits
; Kernel info:
; codeLenInByte = 2068
; TotalNumSgprs: 52
; NumVgprs: 20
; ScratchSize: 0
; MemoryBound: 0
; FloatMode: 240
; IeeeMode: 1
; LDSByteSize: 0 bytes/workgroup (compile time only)
; SGPRBlocks: 6
; VGPRBlocks: 4
; NumSGPRsForWavesPerEU: 52
; NumVGPRsForWavesPerEU: 20
; Occupancy: 10
; WaveLimiterHint : 1
; COMPUTE_PGM_RSRC2:SCRATCH_EN: 0
; COMPUTE_PGM_RSRC2:USER_SGPR: 6
; COMPUTE_PGM_RSRC2:TRAP_HANDLER: 0
; COMPUTE_PGM_RSRC2:TGID_X_EN: 1
; COMPUTE_PGM_RSRC2:TGID_Y_EN: 0
; COMPUTE_PGM_RSRC2:TGID_Z_EN: 0
; COMPUTE_PGM_RSRC2:TIDIG_COMP_CNT: 0
	.section	.text._ZN2at4cuda17kernelHistogram1DIdhlLi1ELi2ELin1ELNS0_23CUDAHistogramMemoryTypeE0EZNS0_21CUDA_tensor_histogramIdhLb1EEEbNS_6TensorES4_S4_lNS_14AccumulateTypeIT0_Lb1EE4typeES8_NS0_13TensorArgTypeES9_S9_EUllE_EEvNS0_6detail10TensorInfoIT_T1_EESF_NSC_IKS6_SE_EElS8_S8_SE_T6_,"axG",@progbits,_ZN2at4cuda17kernelHistogram1DIdhlLi1ELi2ELin1ELNS0_23CUDAHistogramMemoryTypeE0EZNS0_21CUDA_tensor_histogramIdhLb1EEEbNS_6TensorES4_S4_lNS_14AccumulateTypeIT0_Lb1EE4typeES8_NS0_13TensorArgTypeES9_S9_EUllE_EEvNS0_6detail10TensorInfoIT_T1_EESF_NSC_IKS6_SE_EElS8_S8_SE_T6_,comdat
	.protected	_ZN2at4cuda17kernelHistogram1DIdhlLi1ELi2ELin1ELNS0_23CUDAHistogramMemoryTypeE0EZNS0_21CUDA_tensor_histogramIdhLb1EEEbNS_6TensorES4_S4_lNS_14AccumulateTypeIT0_Lb1EE4typeES8_NS0_13TensorArgTypeES9_S9_EUllE_EEvNS0_6detail10TensorInfoIT_T1_EESF_NSC_IKS6_SE_EElS8_S8_SE_T6_ ; -- Begin function _ZN2at4cuda17kernelHistogram1DIdhlLi1ELi2ELin1ELNS0_23CUDAHistogramMemoryTypeE0EZNS0_21CUDA_tensor_histogramIdhLb1EEEbNS_6TensorES4_S4_lNS_14AccumulateTypeIT0_Lb1EE4typeES8_NS0_13TensorArgTypeES9_S9_EUllE_EEvNS0_6detail10TensorInfoIT_T1_EESF_NSC_IKS6_SE_EElS8_S8_SE_T6_
	.globl	_ZN2at4cuda17kernelHistogram1DIdhlLi1ELi2ELin1ELNS0_23CUDAHistogramMemoryTypeE0EZNS0_21CUDA_tensor_histogramIdhLb1EEEbNS_6TensorES4_S4_lNS_14AccumulateTypeIT0_Lb1EE4typeES8_NS0_13TensorArgTypeES9_S9_EUllE_EEvNS0_6detail10TensorInfoIT_T1_EESF_NSC_IKS6_SE_EElS8_S8_SE_T6_
	.p2align	8
	.type	_ZN2at4cuda17kernelHistogram1DIdhlLi1ELi2ELin1ELNS0_23CUDAHistogramMemoryTypeE0EZNS0_21CUDA_tensor_histogramIdhLb1EEEbNS_6TensorES4_S4_lNS_14AccumulateTypeIT0_Lb1EE4typeES8_NS0_13TensorArgTypeES9_S9_EUllE_EEvNS0_6detail10TensorInfoIT_T1_EESF_NSC_IKS6_SE_EElS8_S8_SE_T6_,@function
_ZN2at4cuda17kernelHistogram1DIdhlLi1ELi2ELin1ELNS0_23CUDAHistogramMemoryTypeE0EZNS0_21CUDA_tensor_histogramIdhLb1EEEbNS_6TensorES4_S4_lNS_14AccumulateTypeIT0_Lb1EE4typeES8_NS0_13TensorArgTypeES9_S9_EUllE_EEvNS0_6detail10TensorInfoIT_T1_EESF_NSC_IKS6_SE_EElS8_S8_SE_T6_: ; @_ZN2at4cuda17kernelHistogram1DIdhlLi1ELi2ELin1ELNS0_23CUDAHistogramMemoryTypeE0EZNS0_21CUDA_tensor_histogramIdhLb1EEEbNS_6TensorES4_S4_lNS_14AccumulateTypeIT0_Lb1EE4typeES8_NS0_13TensorArgTypeES9_S9_EUllE_EEvNS0_6detail10TensorInfoIT_T1_EESF_NSC_IKS6_SE_EElS8_S8_SE_T6_
; %bb.0:
	s_load_dwordx4 s[16:19], s[4:5], 0x0
	s_load_dwordx2 s[22:23], s[4:5], 0x500
	s_load_dwordx8 s[8:15], s[4:5], 0x4e0
	v_mov_b32_e32 v1, 0
	s_add_u32 s2, s4, 0x6a0
	s_waitcnt lgkmcnt(0)
	v_cmp_gt_i64_e64 s[0:1], s[18:19], v[0:1]
	v_cmp_le_i64_e32 vcc, s[18:19], v[0:1]
	s_addc_u32 s3, s5, 0
                                        ; implicit-def: $sgpr28
                                        ; implicit-def: $sgpr7
	s_and_saveexec_b64 s[20:21], vcc
	s_xor_b64 s[20:21], exec, s[20:21]
	s_cbranch_execz .LBB8_2
; %bb.1:
	s_load_dword s28, s[2:3], 0xc
	s_waitcnt lgkmcnt(0)
	s_and_b32 s7, s28, 0xffff
.LBB8_2:
	s_or_saveexec_b64 s[26:27], s[20:21]
	s_load_dwordx2 s[20:21], s[4:5], 0xd0
	s_load_dwordx2 s[24:25], s[4:5], 0x5d0
	v_mov_b32_e32 v12, s28
	v_mov_b32_e32 v5, s7
	s_xor_b64 exec, exec, s[26:27]
	s_cbranch_execz .LBB8_6
; %bb.3:
	s_load_dword s7, s[2:3], 0xc
	v_mov_b32_e32 v2, 0
	v_mov_b32_e32 v5, v1
	v_lshl_add_u32 v6, v0, 3, 0
	s_mov_b64 s[28:29], 0
	s_waitcnt lgkmcnt(0)
	s_and_b32 s30, s7, 0xffff
	v_mov_b32_e32 v3, v2
	s_lshl_b32 s31, s30, 3
	v_mov_b32_e32 v4, v0
.LBB8_4:                                ; =>This Inner Loop Header: Depth=1
	v_add_co_u32_e32 v4, vcc, s30, v4
	v_addc_co_u32_e32 v5, vcc, 0, v5, vcc
	v_cmp_le_i64_e32 vcc, s[18:19], v[4:5]
	ds_write_b64 v6, v[2:3]
	s_or_b64 s[28:29], vcc, s[28:29]
	v_add_u32_e32 v6, s31, v6
	s_andn2_b64 exec, exec, s[28:29]
	s_cbranch_execnz .LBB8_4
; %bb.5:
	s_or_b64 exec, exec, s[28:29]
	v_mov_b32_e32 v12, s7
	v_mov_b32_e32 v5, s30
.LBB8_6:
	s_or_b64 exec, exec, s[26:27]
	v_mad_u64_u32 v[2:3], s[6:7], s6, v5, v[0:1]
	v_mov_b32_e32 v4, 0
	v_mov_b32_e32 v3, v4
	v_cmp_gt_i64_e32 vcc, s[14:15], v[2:3]
	s_waitcnt lgkmcnt(0)
	s_barrier
	s_and_saveexec_b64 s[6:7], vcc
	s_cbranch_execz .LBB8_23
; %bb.7:
	s_load_dword s30, s[4:5], 0x4d8
	s_load_dwordx2 s[28:29], s[4:5], 0x340
	s_add_u32 s34, s4, 0x340
	s_load_dword s31, s[2:3], 0x0
	s_load_dwordx2 s[26:27], s[4:5], 0x410
	s_addc_u32 s35, s5, 0
	s_waitcnt lgkmcnt(0)
	s_cmp_gt_i32 s30, 1
	s_cselect_b64 s[2:3], -1, 0
	s_sub_u32 s33, s12, s10
	s_subb_u32 s48, s13, s11
	v_mul_lo_u32 v13, s31, v5
	s_mov_b32 s31, 0
	s_add_i32 s49, s30, 1
	s_add_i32 s30, s30, -1
	s_lshl_b64 s[4:5], s[30:31], 3
	s_add_u32 s4, s34, s4
	s_addc_u32 s5, s35, s5
	s_add_u32 s34, s4, 8
	v_cndmask_b32_e64 v5, 0, 1, s[2:3]
	s_addc_u32 s35, s5, 0
	s_mov_b64 s[36:37], 0
	v_cmp_ne_u32_e64 s[2:3], 1, v5
	s_branch .LBB8_9
.LBB8_8:                                ;   in Loop: Header=BB8_9 Depth=1
	s_or_b64 exec, exec, s[38:39]
	v_add_co_u32_e32 v2, vcc, v2, v13
	v_addc_co_u32_e32 v3, vcc, 0, v3, vcc
	v_cmp_le_i64_e32 vcc, s[14:15], v[2:3]
	s_or_b64 s[36:37], vcc, s[36:37]
	s_andn2_b64 exec, exec, s[36:37]
	s_cbranch_execz .LBB8_23
.LBB8_9:                                ; =>This Loop Header: Depth=1
                                        ;     Child Loop BB8_10 Depth 2
                                        ;     Child Loop BB8_22 Depth 2
	v_mov_b32_e32 v6, 0
	v_mov_b32_e32 v9, v3
	v_mov_b32_e32 v11, v3
	v_mov_b32_e32 v7, 0
	s_and_b64 vcc, exec, s[2:3]
	s_mov_b64 s[38:39], s[34:35]
	s_mov_b32 s30, s49
	v_mov_b32_e32 v8, v2
	v_mov_b32_e32 v10, v2
	s_cbranch_vccnz .LBB8_16
.LBB8_10:                               ;   Parent Loop BB8_9 Depth=1
                                        ; =>  This Inner Loop Header: Depth=2
	s_load_dwordx2 s[40:41], s[38:39], 0x0
                                        ; implicit-def: $vgpr10_vgpr11
	s_waitcnt lgkmcnt(0)
	v_or_b32_e32 v5, s41, v9
	v_cmp_ne_u64_e32 vcc, 0, v[4:5]
	s_and_saveexec_b64 s[4:5], vcc
	s_xor_b64 s[42:43], exec, s[4:5]
	s_cbranch_execz .LBB8_12
; %bb.11:                               ;   in Loop: Header=BB8_10 Depth=2
	s_ashr_i32 s44, s41, 31
	s_add_u32 s4, s40, s44
	s_mov_b32 s45, s44
	s_addc_u32 s5, s41, s44
	s_xor_b64 s[46:47], s[4:5], s[44:45]
	v_cvt_f32_u32_e32 v5, s46
	v_cvt_f32_u32_e32 v10, s47
	s_sub_u32 s45, 0, s46
	s_subb_u32 s50, 0, s47
	v_mac_f32_e32 v5, 0x4f800000, v10
	v_rcp_f32_e32 v5, v5
	v_mul_f32_e32 v5, 0x5f7ffffc, v5
	v_mul_f32_e32 v10, 0x2f800000, v5
	v_trunc_f32_e32 v10, v10
	v_mac_f32_e32 v5, 0xcf800000, v10
	v_cvt_u32_f32_e32 v10, v10
	v_cvt_u32_f32_e32 v5, v5
	v_readfirstlane_b32 s51, v10
	v_readfirstlane_b32 s4, v5
	s_mul_i32 s5, s45, s51
	s_mul_hi_u32 s53, s45, s4
	s_mul_i32 s52, s50, s4
	s_add_i32 s5, s53, s5
	s_add_i32 s5, s5, s52
	s_mul_i32 s54, s45, s4
	s_mul_i32 s53, s4, s5
	s_mul_hi_u32 s55, s4, s54
	s_mul_hi_u32 s52, s4, s5
	s_add_u32 s53, s55, s53
	s_addc_u32 s52, 0, s52
	s_mul_hi_u32 s56, s51, s54
	s_mul_i32 s54, s51, s54
	s_add_u32 s53, s53, s54
	s_mul_hi_u32 s55, s51, s5
	s_addc_u32 s52, s52, s56
	s_addc_u32 s53, s55, 0
	s_mul_i32 s5, s51, s5
	s_add_u32 s5, s52, s5
	s_addc_u32 s52, 0, s53
	s_add_u32 s53, s4, s5
	s_cselect_b64 s[4:5], -1, 0
	s_cmp_lg_u64 s[4:5], 0
	s_addc_u32 s51, s51, s52
	s_mul_i32 s4, s45, s51
	s_mul_hi_u32 s5, s45, s53
	s_add_i32 s4, s5, s4
	s_mul_i32 s50, s50, s53
	s_add_i32 s4, s4, s50
	s_mul_i32 s45, s45, s53
	s_mul_hi_u32 s50, s51, s45
	s_mul_i32 s52, s51, s45
	s_mul_i32 s55, s53, s4
	s_mul_hi_u32 s45, s53, s45
	s_mul_hi_u32 s54, s53, s4
	s_add_u32 s45, s45, s55
	s_addc_u32 s54, 0, s54
	s_add_u32 s45, s45, s52
	s_mul_hi_u32 s5, s51, s4
	s_addc_u32 s45, s54, s50
	s_addc_u32 s5, s5, 0
	s_mul_i32 s4, s51, s4
	s_add_u32 s4, s45, s4
	s_addc_u32 s45, 0, s5
	s_add_u32 s50, s53, s4
	s_cselect_b64 s[4:5], -1, 0
	v_ashrrev_i32_e32 v5, 31, v9
	s_cmp_lg_u64 s[4:5], 0
	v_add_co_u32_e32 v10, vcc, v8, v5
	s_addc_u32 s45, s51, s45
	v_xor_b32_e32 v16, v10, v5
	v_mad_u64_u32 v[10:11], s[4:5], v16, s45, 0
	v_mul_hi_u32 v15, v16, s50
	v_addc_co_u32_e32 v14, vcc, v9, v5, vcc
	v_xor_b32_e32 v17, v14, v5
	v_add_co_u32_e32 v18, vcc, v15, v10
	v_addc_co_u32_e32 v19, vcc, 0, v11, vcc
	v_mad_u64_u32 v[10:11], s[4:5], v17, s50, 0
	v_mad_u64_u32 v[14:15], s[4:5], v17, s45, 0
	v_add_co_u32_e32 v10, vcc, v18, v10
	v_addc_co_u32_e32 v10, vcc, v19, v11, vcc
	v_addc_co_u32_e32 v11, vcc, 0, v15, vcc
	v_add_co_u32_e32 v14, vcc, v10, v14
	v_addc_co_u32_e32 v15, vcc, 0, v11, vcc
	v_mul_lo_u32 v18, s47, v14
	v_mul_lo_u32 v19, s46, v15
	v_mad_u64_u32 v[10:11], s[4:5], s46, v14, 0
	v_xor_b32_e32 v5, s44, v5
	v_add3_u32 v11, v11, v19, v18
	v_sub_u32_e32 v18, v17, v11
	v_mov_b32_e32 v19, s47
	v_sub_co_u32_e32 v10, vcc, v16, v10
	v_subb_co_u32_e64 v16, s[4:5], v18, v19, vcc
	v_subrev_co_u32_e64 v18, s[4:5], s46, v10
	v_subbrev_co_u32_e64 v16, s[4:5], 0, v16, s[4:5]
	v_cmp_le_u32_e64 s[4:5], s47, v16
	v_cndmask_b32_e64 v19, 0, -1, s[4:5]
	v_cmp_le_u32_e64 s[4:5], s46, v18
	v_cndmask_b32_e64 v18, 0, -1, s[4:5]
	v_cmp_eq_u32_e64 s[4:5], s47, v16
	v_cndmask_b32_e64 v16, v19, v18, s[4:5]
	v_add_co_u32_e64 v18, s[4:5], 2, v14
	v_subb_co_u32_e32 v11, vcc, v17, v11, vcc
	v_addc_co_u32_e64 v19, s[4:5], 0, v15, s[4:5]
	v_cmp_le_u32_e32 vcc, s47, v11
	v_add_co_u32_e64 v20, s[4:5], 1, v14
	v_cndmask_b32_e64 v17, 0, -1, vcc
	v_cmp_le_u32_e32 vcc, s46, v10
	v_addc_co_u32_e64 v21, s[4:5], 0, v15, s[4:5]
	v_cndmask_b32_e64 v10, 0, -1, vcc
	v_cmp_eq_u32_e32 vcc, s47, v11
	v_cmp_ne_u32_e64 s[4:5], 0, v16
	v_cndmask_b32_e32 v10, v17, v10, vcc
	v_cndmask_b32_e64 v16, v21, v19, s[4:5]
	v_cmp_ne_u32_e32 vcc, 0, v10
	v_cndmask_b32_e64 v11, v20, v18, s[4:5]
	v_cndmask_b32_e32 v10, v15, v16, vcc
	v_cndmask_b32_e32 v11, v14, v11, vcc
	v_xor_b32_e32 v14, v10, v5
	v_xor_b32_e32 v10, v11, v5
	v_sub_co_u32_e32 v10, vcc, v10, v5
	v_subb_co_u32_e32 v11, vcc, v14, v5, vcc
.LBB8_12:                               ;   in Loop: Header=BB8_10 Depth=2
	s_andn2_saveexec_b64 s[4:5], s[42:43]
	s_cbranch_execz .LBB8_14
; %bb.13:                               ;   in Loop: Header=BB8_10 Depth=2
	v_cvt_f32_u32_e32 v5, s40
	s_sub_i32 s42, 0, s40
	v_rcp_iflag_f32_e32 v5, v5
	v_mul_f32_e32 v5, 0x4f7ffffe, v5
	v_cvt_u32_f32_e32 v5, v5
	v_mul_lo_u32 v10, s42, v5
	v_mul_hi_u32 v10, v5, v10
	v_add_u32_e32 v5, v5, v10
	v_mul_hi_u32 v5, v8, v5
	v_mul_lo_u32 v10, v5, s40
	v_add_u32_e32 v11, 1, v5
	v_sub_u32_e32 v10, v8, v10
	v_subrev_u32_e32 v14, s40, v10
	v_cmp_le_u32_e32 vcc, s40, v10
	v_cndmask_b32_e32 v10, v10, v14, vcc
	v_cndmask_b32_e32 v5, v5, v11, vcc
	v_add_u32_e32 v11, 1, v5
	v_cmp_le_u32_e32 vcc, s40, v10
	v_cndmask_b32_e32 v10, v5, v11, vcc
	v_mov_b32_e32 v11, v4
.LBB8_14:                               ;   in Loop: Header=BB8_10 Depth=2
	s_or_b64 exec, exec, s[4:5]
	v_mul_lo_u32 v5, v11, s40
	v_mul_lo_u32 v16, v10, s41
	v_mad_u64_u32 v[14:15], s[4:5], v10, s40, 0
	s_load_dwordx2 s[4:5], s[38:39], 0xc8
	s_add_i32 s30, s30, -1
	v_add3_u32 v5, v15, v16, v5
	v_sub_co_u32_e32 v8, vcc, v8, v14
	v_subb_co_u32_e32 v5, vcc, v9, v5, vcc
	s_waitcnt lgkmcnt(0)
	v_mul_lo_u32 v5, s4, v5
	v_mul_lo_u32 v9, s5, v8
	v_mad_u64_u32 v[6:7], s[4:5], s4, v8, v[6:7]
	s_add_u32 s38, s38, -8
	s_addc_u32 s39, s39, -1
	s_cmp_gt_u32 s30, 2
	v_add3_u32 v7, v9, v7, v5
	s_cbranch_scc0 .LBB8_16
; %bb.15:                               ;   in Loop: Header=BB8_10 Depth=2
	v_mov_b32_e32 v8, v10
	v_mov_b32_e32 v9, v11
	s_branch .LBB8_10
.LBB8_16:                               ;   in Loop: Header=BB8_9 Depth=1
	v_mov_b32_e32 v8, s28
	v_mov_b32_e32 v9, s29
	v_mul_lo_u32 v5, s26, v11
	v_mul_lo_u32 v11, s27, v10
	v_mad_u64_u32 v[8:9], s[4:5], s26, v10, v[8:9]
	v_add3_u32 v9, v11, v9, v5
	v_add_co_u32_e32 v5, vcc, v8, v6
	v_addc_co_u32_e32 v6, vcc, v9, v7, vcc
	global_load_ubyte v5, v[5:6], off
	v_mov_b32_e32 v6, s31
	s_waitcnt vmcnt(0)
	v_and_b32_e32 v5, 0xffff, v5
	v_cmp_le_i64_e32 vcc, s[10:11], v[5:6]
	v_cmp_ge_i64_e64 s[4:5], s[12:13], v[5:6]
	s_and_b64 s[4:5], vcc, s[4:5]
	s_and_saveexec_b64 s[38:39], s[4:5]
	s_cbranch_execz .LBB8_8
; %bb.17:                               ;   in Loop: Header=BB8_9 Depth=1
	v_mov_b32_e32 v6, s11
	v_subrev_co_u32_e32 v5, vcc, s10, v5
	v_subb_co_u32_e32 v6, vcc, 0, v6, vcc
	v_mul_lo_u32 v8, v6, s8
	v_mul_lo_u32 v9, v5, s9
	v_mad_u64_u32 v[6:7], s[4:5], v5, s8, 0
	v_add3_u32 v7, v7, v9, v8
	v_or_b32_e32 v5, s48, v7
	v_cmp_ne_u64_e32 vcc, 0, v[4:5]
                                        ; implicit-def: $vgpr8_vgpr9
	s_and_saveexec_b64 s[4:5], vcc
	s_xor_b64 s[40:41], exec, s[4:5]
	s_cbranch_execz .LBB8_19
; %bb.18:                               ;   in Loop: Header=BB8_9 Depth=1
	s_ashr_i32 s42, s48, 31
	s_add_u32 s4, s33, s42
	s_mov_b32 s43, s42
	s_addc_u32 s5, s48, s42
	s_xor_b64 s[44:45], s[4:5], s[42:43]
	v_cvt_f32_u32_e32 v5, s44
	v_cvt_f32_u32_e32 v8, s45
	s_sub_u32 s30, 0, s44
	s_subb_u32 s43, 0, s45
	v_ashrrev_i32_e32 v9, 31, v7
	v_mac_f32_e32 v5, 0x4f800000, v8
	v_rcp_f32_e32 v5, v5
	v_mul_f32_e32 v5, 0x5f7ffffc, v5
	v_mul_f32_e32 v8, 0x2f800000, v5
	v_trunc_f32_e32 v8, v8
	v_mac_f32_e32 v5, 0xcf800000, v8
	v_cvt_u32_f32_e32 v8, v8
	v_cvt_u32_f32_e32 v5, v5
	v_readfirstlane_b32 s46, v8
	v_readfirstlane_b32 s4, v5
	s_mul_i32 s5, s30, s46
	s_mul_hi_u32 s50, s30, s4
	s_mul_i32 s47, s43, s4
	s_add_i32 s5, s50, s5
	s_add_i32 s5, s5, s47
	s_mul_i32 s51, s30, s4
	s_mul_i32 s50, s4, s5
	s_mul_hi_u32 s52, s4, s51
	s_mul_hi_u32 s47, s4, s5
	s_add_u32 s50, s52, s50
	s_addc_u32 s47, 0, s47
	s_mul_hi_u32 s53, s46, s51
	s_mul_i32 s51, s46, s51
	s_add_u32 s50, s50, s51
	s_mul_hi_u32 s52, s46, s5
	s_addc_u32 s47, s47, s53
	s_addc_u32 s50, s52, 0
	s_mul_i32 s5, s46, s5
	s_add_u32 s5, s47, s5
	s_addc_u32 s47, 0, s50
	s_add_u32 s50, s4, s5
	s_cselect_b64 s[4:5], -1, 0
	s_cmp_lg_u64 s[4:5], 0
	s_addc_u32 s46, s46, s47
	s_mul_i32 s4, s30, s46
	s_mul_hi_u32 s5, s30, s50
	s_add_i32 s4, s5, s4
	s_mul_i32 s43, s43, s50
	s_add_i32 s4, s4, s43
	s_mul_i32 s30, s30, s50
	s_mul_hi_u32 s43, s46, s30
	s_mul_i32 s47, s46, s30
	s_mul_i32 s52, s50, s4
	s_mul_hi_u32 s30, s50, s30
	s_mul_hi_u32 s51, s50, s4
	s_add_u32 s30, s30, s52
	s_addc_u32 s51, 0, s51
	s_add_u32 s30, s30, s47
	s_mul_hi_u32 s5, s46, s4
	s_addc_u32 s30, s51, s43
	s_addc_u32 s5, s5, 0
	s_mul_i32 s4, s46, s4
	s_add_u32 s4, s30, s4
	s_addc_u32 s30, 0, s5
	s_add_u32 s43, s50, s4
	s_cselect_b64 s[4:5], -1, 0
	s_cmp_lg_u64 s[4:5], 0
	v_add_co_u32_e32 v5, vcc, v6, v9
	s_addc_u32 s30, s46, s30
	v_xor_b32_e32 v10, v5, v9
	v_mad_u64_u32 v[5:6], s[4:5], v10, s30, 0
	v_mul_hi_u32 v8, v10, s43
	v_addc_co_u32_e32 v7, vcc, v7, v9, vcc
	v_xor_b32_e32 v11, v7, v9
	v_add_co_u32_e32 v14, vcc, v8, v5
	v_addc_co_u32_e32 v15, vcc, 0, v6, vcc
	v_mad_u64_u32 v[5:6], s[4:5], v11, s43, 0
	v_mad_u64_u32 v[7:8], s[4:5], v11, s30, 0
	v_add_co_u32_e32 v5, vcc, v14, v5
	v_addc_co_u32_e32 v5, vcc, v15, v6, vcc
	v_addc_co_u32_e32 v6, vcc, 0, v8, vcc
	v_add_co_u32_e32 v7, vcc, v5, v7
	v_addc_co_u32_e32 v5, vcc, 0, v6, vcc
	v_mul_lo_u32 v8, s45, v7
	v_mul_lo_u32 v14, s44, v5
	v_mad_u64_u32 v[5:6], s[4:5], s44, v7, 0
	v_add3_u32 v6, v6, v14, v8
	v_sub_u32_e32 v8, v11, v6
	v_mov_b32_e32 v14, s45
	v_sub_co_u32_e32 v5, vcc, v10, v5
	v_subb_co_u32_e64 v8, s[4:5], v8, v14, vcc
	v_subrev_co_u32_e64 v10, s[4:5], s44, v5
	v_subbrev_co_u32_e64 v8, s[4:5], 0, v8, s[4:5]
	v_cmp_le_u32_e64 s[4:5], s45, v8
	v_subb_co_u32_e32 v6, vcc, v11, v6, vcc
	v_cndmask_b32_e64 v14, 0, -1, s[4:5]
	v_cmp_le_u32_e64 s[4:5], s44, v10
	v_cmp_le_u32_e32 vcc, s45, v6
	v_cndmask_b32_e64 v10, 0, -1, s[4:5]
	v_cmp_eq_u32_e64 s[4:5], s45, v8
	v_cndmask_b32_e64 v11, 0, -1, vcc
	v_cmp_le_u32_e32 vcc, s44, v5
	v_cndmask_b32_e64 v8, v14, v10, s[4:5]
	v_cndmask_b32_e64 v5, 0, -1, vcc
	v_cmp_eq_u32_e32 vcc, s45, v6
	v_add_co_u32_e64 v10, s[4:5], 2, v7
	v_add_co_u32_e64 v14, s[4:5], 1, v7
	v_cndmask_b32_e32 v5, v11, v5, vcc
	v_cmp_ne_u32_e32 vcc, 0, v8
	v_cndmask_b32_e32 v6, v14, v10, vcc
	v_cmp_ne_u32_e32 vcc, 0, v5
	v_cndmask_b32_e32 v5, v7, v6, vcc
	v_xor_b32_e32 v6, s42, v9
	v_xor_b32_e32 v5, v5, v6
	v_sub_co_u32_e32 v8, vcc, v5, v6
                                        ; implicit-def: $vgpr6_vgpr7
.LBB8_19:                               ;   in Loop: Header=BB8_9 Depth=1
	s_andn2_saveexec_b64 s[4:5], s[40:41]
	s_cbranch_execz .LBB8_21
; %bb.20:                               ;   in Loop: Header=BB8_9 Depth=1
	v_cvt_f32_u32_e32 v5, s33
	s_sub_i32 s30, 0, s33
	v_rcp_iflag_f32_e32 v5, v5
	v_mul_f32_e32 v5, 0x4f7ffffe, v5
	v_cvt_u32_f32_e32 v5, v5
	v_mul_lo_u32 v7, s30, v5
	v_mul_hi_u32 v7, v5, v7
	v_add_u32_e32 v5, v5, v7
	v_mul_hi_u32 v5, v6, v5
	v_mul_lo_u32 v7, v5, s33
	v_add_u32_e32 v8, 1, v5
	v_sub_u32_e32 v6, v6, v7
	v_subrev_u32_e32 v7, s33, v6
	v_cmp_le_u32_e32 vcc, s33, v6
	v_cndmask_b32_e32 v6, v6, v7, vcc
	v_cndmask_b32_e32 v5, v5, v8, vcc
	v_add_u32_e32 v7, 1, v5
	v_cmp_le_u32_e32 vcc, s33, v6
	v_cndmask_b32_e32 v8, v5, v7, vcc
.LBB8_21:                               ;   in Loop: Header=BB8_9 Depth=1
	s_or_b64 exec, exec, s[4:5]
	v_mul_lo_u32 v7, v3, s24
	v_mul_lo_u32 v9, v2, s25
	v_mad_u64_u32 v[5:6], s[4:5], v2, s24, 0
	s_mov_b64 s[4:5], 0
	v_add3_u32 v6, v6, v9, v7
	v_lshlrev_b64 v[5:6], 3, v[5:6]
	v_mov_b32_e32 v7, s23
	v_add_co_u32_e32 v5, vcc, s22, v5
	v_addc_co_u32_e32 v6, vcc, v7, v6, vcc
	global_load_dwordx2 v[5:6], v[5:6], off
	v_ashrrev_i32_e32 v9, 31, v8
	v_cmp_eq_u64_e32 vcc, s[8:9], v[8:9]
	v_subbrev_co_u32_e32 v7, vcc, 0, v8, vcc
	v_lshl_add_u32 v9, v7, 3, 0
	ds_read_b64 v[7:8], v9
.LBB8_22:                               ;   Parent Loop BB8_9 Depth=1
                                        ; =>  This Inner Loop Header: Depth=2
	s_waitcnt vmcnt(0) lgkmcnt(0)
	v_add_f64 v[10:11], v[7:8], v[5:6]
	ds_cmpst_rtn_b64 v[10:11], v9, v[7:8], v[10:11]
	s_waitcnt lgkmcnt(0)
	v_cmp_eq_u64_e32 vcc, v[10:11], v[7:8]
	v_mov_b32_e32 v7, v10
	s_or_b64 s[4:5], vcc, s[4:5]
	v_mov_b32_e32 v8, v11
	s_andn2_b64 exec, exec, s[4:5]
	s_cbranch_execnz .LBB8_22
	s_branch .LBB8_8
.LBB8_23:
	s_or_b64 exec, exec, s[6:7]
; %bb.24:
	s_barrier
	s_and_saveexec_b64 s[2:3], s[0:1]
	s_cbranch_execz .LBB8_29
; %bb.25:
	v_and_b32_e32 v10, 0xffff, v12
	s_mov_b64 s[0:1], 0
	v_mov_b32_e32 v11, s17
.LBB8_26:                               ; =>This Loop Header: Depth=1
                                        ;     Child Loop BB8_27 Depth 2
	v_mul_lo_u32 v4, v1, s20
	v_mul_lo_u32 v5, v0, s21
	v_mad_u64_u32 v[2:3], s[2:3], v0, s20, 0
	s_mov_b64 s[2:3], 0
	v_add3_u32 v3, v3, v5, v4
	v_lshlrev_b64 v[2:3], 3, v[2:3]
	v_add_co_u32_e32 v6, vcc, s16, v2
	v_addc_co_u32_e32 v7, vcc, v11, v3, vcc
	global_load_dwordx2 v[4:5], v[6:7], off
	v_lshl_add_u32 v2, v0, 3, 0
	ds_read_b64 v[8:9], v2
.LBB8_27:                               ;   Parent Loop BB8_26 Depth=1
                                        ; =>  This Inner Loop Header: Depth=2
	s_waitcnt vmcnt(0) lgkmcnt(0)
	v_add_f64 v[2:3], v[4:5], v[8:9]
	global_atomic_cmpswap_x2 v[2:3], v[6:7], v[2:5], off glc
	s_waitcnt vmcnt(0)
	v_cmp_eq_u64_e32 vcc, v[2:3], v[4:5]
	v_mov_b32_e32 v5, v3
	s_or_b64 s[2:3], vcc, s[2:3]
	v_mov_b32_e32 v4, v2
	s_andn2_b64 exec, exec, s[2:3]
	s_cbranch_execnz .LBB8_27
; %bb.28:                               ;   in Loop: Header=BB8_26 Depth=1
	s_or_b64 exec, exec, s[2:3]
	v_add_co_u32_e32 v0, vcc, v0, v10
	v_addc_co_u32_e32 v1, vcc, 0, v1, vcc
	v_cmp_le_i64_e32 vcc, s[18:19], v[0:1]
	s_or_b64 s[0:1], vcc, s[0:1]
	s_andn2_b64 exec, exec, s[0:1]
	s_cbranch_execnz .LBB8_26
.LBB8_29:
	s_endpgm
	.section	.rodata,"a",@progbits
	.p2align	6, 0x0
	.amdhsa_kernel _ZN2at4cuda17kernelHistogram1DIdhlLi1ELi2ELin1ELNS0_23CUDAHistogramMemoryTypeE0EZNS0_21CUDA_tensor_histogramIdhLb1EEEbNS_6TensorES4_S4_lNS_14AccumulateTypeIT0_Lb1EE4typeES8_NS0_13TensorArgTypeES9_S9_EUllE_EEvNS0_6detail10TensorInfoIT_T1_EESF_NSC_IKS6_SE_EElS8_S8_SE_T6_
		.amdhsa_group_segment_fixed_size 0
		.amdhsa_private_segment_fixed_size 0
		.amdhsa_kernarg_size 1952
		.amdhsa_user_sgpr_count 6
		.amdhsa_user_sgpr_private_segment_buffer 1
		.amdhsa_user_sgpr_dispatch_ptr 0
		.amdhsa_user_sgpr_queue_ptr 0
		.amdhsa_user_sgpr_kernarg_segment_ptr 1
		.amdhsa_user_sgpr_dispatch_id 0
		.amdhsa_user_sgpr_flat_scratch_init 0
		.amdhsa_user_sgpr_private_segment_size 0
		.amdhsa_uses_dynamic_stack 0
		.amdhsa_system_sgpr_private_segment_wavefront_offset 0
		.amdhsa_system_sgpr_workgroup_id_x 1
		.amdhsa_system_sgpr_workgroup_id_y 0
		.amdhsa_system_sgpr_workgroup_id_z 0
		.amdhsa_system_sgpr_workgroup_info 0
		.amdhsa_system_vgpr_workitem_id 0
		.amdhsa_next_free_vgpr 22
		.amdhsa_next_free_sgpr 57
		.amdhsa_reserve_vcc 1
		.amdhsa_reserve_flat_scratch 0
		.amdhsa_float_round_mode_32 0
		.amdhsa_float_round_mode_16_64 0
		.amdhsa_float_denorm_mode_32 3
		.amdhsa_float_denorm_mode_16_64 3
		.amdhsa_dx10_clamp 1
		.amdhsa_ieee_mode 1
		.amdhsa_fp16_overflow 0
		.amdhsa_exception_fp_ieee_invalid_op 0
		.amdhsa_exception_fp_denorm_src 0
		.amdhsa_exception_fp_ieee_div_zero 0
		.amdhsa_exception_fp_ieee_overflow 0
		.amdhsa_exception_fp_ieee_underflow 0
		.amdhsa_exception_fp_ieee_inexact 0
		.amdhsa_exception_int_div_zero 0
	.end_amdhsa_kernel
	.section	.text._ZN2at4cuda17kernelHistogram1DIdhlLi1ELi2ELin1ELNS0_23CUDAHistogramMemoryTypeE0EZNS0_21CUDA_tensor_histogramIdhLb1EEEbNS_6TensorES4_S4_lNS_14AccumulateTypeIT0_Lb1EE4typeES8_NS0_13TensorArgTypeES9_S9_EUllE_EEvNS0_6detail10TensorInfoIT_T1_EESF_NSC_IKS6_SE_EElS8_S8_SE_T6_,"axG",@progbits,_ZN2at4cuda17kernelHistogram1DIdhlLi1ELi2ELin1ELNS0_23CUDAHistogramMemoryTypeE0EZNS0_21CUDA_tensor_histogramIdhLb1EEEbNS_6TensorES4_S4_lNS_14AccumulateTypeIT0_Lb1EE4typeES8_NS0_13TensorArgTypeES9_S9_EUllE_EEvNS0_6detail10TensorInfoIT_T1_EESF_NSC_IKS6_SE_EElS8_S8_SE_T6_,comdat
.Lfunc_end8:
	.size	_ZN2at4cuda17kernelHistogram1DIdhlLi1ELi2ELin1ELNS0_23CUDAHistogramMemoryTypeE0EZNS0_21CUDA_tensor_histogramIdhLb1EEEbNS_6TensorES4_S4_lNS_14AccumulateTypeIT0_Lb1EE4typeES8_NS0_13TensorArgTypeES9_S9_EUllE_EEvNS0_6detail10TensorInfoIT_T1_EESF_NSC_IKS6_SE_EElS8_S8_SE_T6_, .Lfunc_end8-_ZN2at4cuda17kernelHistogram1DIdhlLi1ELi2ELin1ELNS0_23CUDAHistogramMemoryTypeE0EZNS0_21CUDA_tensor_histogramIdhLb1EEEbNS_6TensorES4_S4_lNS_14AccumulateTypeIT0_Lb1EE4typeES8_NS0_13TensorArgTypeES9_S9_EUllE_EEvNS0_6detail10TensorInfoIT_T1_EESF_NSC_IKS6_SE_EElS8_S8_SE_T6_
                                        ; -- End function
	.set _ZN2at4cuda17kernelHistogram1DIdhlLi1ELi2ELin1ELNS0_23CUDAHistogramMemoryTypeE0EZNS0_21CUDA_tensor_histogramIdhLb1EEEbNS_6TensorES4_S4_lNS_14AccumulateTypeIT0_Lb1EE4typeES8_NS0_13TensorArgTypeES9_S9_EUllE_EEvNS0_6detail10TensorInfoIT_T1_EESF_NSC_IKS6_SE_EElS8_S8_SE_T6_.num_vgpr, 22
	.set _ZN2at4cuda17kernelHistogram1DIdhlLi1ELi2ELin1ELNS0_23CUDAHistogramMemoryTypeE0EZNS0_21CUDA_tensor_histogramIdhLb1EEEbNS_6TensorES4_S4_lNS_14AccumulateTypeIT0_Lb1EE4typeES8_NS0_13TensorArgTypeES9_S9_EUllE_EEvNS0_6detail10TensorInfoIT_T1_EESF_NSC_IKS6_SE_EElS8_S8_SE_T6_.num_agpr, 0
	.set _ZN2at4cuda17kernelHistogram1DIdhlLi1ELi2ELin1ELNS0_23CUDAHistogramMemoryTypeE0EZNS0_21CUDA_tensor_histogramIdhLb1EEEbNS_6TensorES4_S4_lNS_14AccumulateTypeIT0_Lb1EE4typeES8_NS0_13TensorArgTypeES9_S9_EUllE_EEvNS0_6detail10TensorInfoIT_T1_EESF_NSC_IKS6_SE_EElS8_S8_SE_T6_.numbered_sgpr, 57
	.set _ZN2at4cuda17kernelHistogram1DIdhlLi1ELi2ELin1ELNS0_23CUDAHistogramMemoryTypeE0EZNS0_21CUDA_tensor_histogramIdhLb1EEEbNS_6TensorES4_S4_lNS_14AccumulateTypeIT0_Lb1EE4typeES8_NS0_13TensorArgTypeES9_S9_EUllE_EEvNS0_6detail10TensorInfoIT_T1_EESF_NSC_IKS6_SE_EElS8_S8_SE_T6_.num_named_barrier, 0
	.set _ZN2at4cuda17kernelHistogram1DIdhlLi1ELi2ELin1ELNS0_23CUDAHistogramMemoryTypeE0EZNS0_21CUDA_tensor_histogramIdhLb1EEEbNS_6TensorES4_S4_lNS_14AccumulateTypeIT0_Lb1EE4typeES8_NS0_13TensorArgTypeES9_S9_EUllE_EEvNS0_6detail10TensorInfoIT_T1_EESF_NSC_IKS6_SE_EElS8_S8_SE_T6_.private_seg_size, 0
	.set _ZN2at4cuda17kernelHistogram1DIdhlLi1ELi2ELin1ELNS0_23CUDAHistogramMemoryTypeE0EZNS0_21CUDA_tensor_histogramIdhLb1EEEbNS_6TensorES4_S4_lNS_14AccumulateTypeIT0_Lb1EE4typeES8_NS0_13TensorArgTypeES9_S9_EUllE_EEvNS0_6detail10TensorInfoIT_T1_EESF_NSC_IKS6_SE_EElS8_S8_SE_T6_.uses_vcc, 1
	.set _ZN2at4cuda17kernelHistogram1DIdhlLi1ELi2ELin1ELNS0_23CUDAHistogramMemoryTypeE0EZNS0_21CUDA_tensor_histogramIdhLb1EEEbNS_6TensorES4_S4_lNS_14AccumulateTypeIT0_Lb1EE4typeES8_NS0_13TensorArgTypeES9_S9_EUllE_EEvNS0_6detail10TensorInfoIT_T1_EESF_NSC_IKS6_SE_EElS8_S8_SE_T6_.uses_flat_scratch, 0
	.set _ZN2at4cuda17kernelHistogram1DIdhlLi1ELi2ELin1ELNS0_23CUDAHistogramMemoryTypeE0EZNS0_21CUDA_tensor_histogramIdhLb1EEEbNS_6TensorES4_S4_lNS_14AccumulateTypeIT0_Lb1EE4typeES8_NS0_13TensorArgTypeES9_S9_EUllE_EEvNS0_6detail10TensorInfoIT_T1_EESF_NSC_IKS6_SE_EElS8_S8_SE_T6_.has_dyn_sized_stack, 0
	.set _ZN2at4cuda17kernelHistogram1DIdhlLi1ELi2ELin1ELNS0_23CUDAHistogramMemoryTypeE0EZNS0_21CUDA_tensor_histogramIdhLb1EEEbNS_6TensorES4_S4_lNS_14AccumulateTypeIT0_Lb1EE4typeES8_NS0_13TensorArgTypeES9_S9_EUllE_EEvNS0_6detail10TensorInfoIT_T1_EESF_NSC_IKS6_SE_EElS8_S8_SE_T6_.has_recursion, 0
	.set _ZN2at4cuda17kernelHistogram1DIdhlLi1ELi2ELin1ELNS0_23CUDAHistogramMemoryTypeE0EZNS0_21CUDA_tensor_histogramIdhLb1EEEbNS_6TensorES4_S4_lNS_14AccumulateTypeIT0_Lb1EE4typeES8_NS0_13TensorArgTypeES9_S9_EUllE_EEvNS0_6detail10TensorInfoIT_T1_EESF_NSC_IKS6_SE_EElS8_S8_SE_T6_.has_indirect_call, 0
	.section	.AMDGPU.csdata,"",@progbits
; Kernel info:
; codeLenInByte = 2484
; TotalNumSgprs: 61
; NumVgprs: 22
; ScratchSize: 0
; MemoryBound: 0
; FloatMode: 240
; IeeeMode: 1
; LDSByteSize: 0 bytes/workgroup (compile time only)
; SGPRBlocks: 7
; VGPRBlocks: 5
; NumSGPRsForWavesPerEU: 61
; NumVGPRsForWavesPerEU: 22
; Occupancy: 10
; WaveLimiterHint : 1
; COMPUTE_PGM_RSRC2:SCRATCH_EN: 0
; COMPUTE_PGM_RSRC2:USER_SGPR: 6
; COMPUTE_PGM_RSRC2:TRAP_HANDLER: 0
; COMPUTE_PGM_RSRC2:TGID_X_EN: 1
; COMPUTE_PGM_RSRC2:TGID_Y_EN: 0
; COMPUTE_PGM_RSRC2:TGID_Z_EN: 0
; COMPUTE_PGM_RSRC2:TIDIG_COMP_CNT: 0
	.section	.text._ZN2at4cuda17kernelHistogram1DIdhlLi1ELi2ELin1ELNS0_23CUDAHistogramMemoryTypeE1EZNS0_21CUDA_tensor_histogramIdhLb1EEEbNS_6TensorES4_S4_lNS_14AccumulateTypeIT0_Lb1EE4typeES8_NS0_13TensorArgTypeES9_S9_EUllE_EEvNS0_6detail10TensorInfoIT_T1_EESF_NSC_IKS6_SE_EElS8_S8_SE_T6_,"axG",@progbits,_ZN2at4cuda17kernelHistogram1DIdhlLi1ELi2ELin1ELNS0_23CUDAHistogramMemoryTypeE1EZNS0_21CUDA_tensor_histogramIdhLb1EEEbNS_6TensorES4_S4_lNS_14AccumulateTypeIT0_Lb1EE4typeES8_NS0_13TensorArgTypeES9_S9_EUllE_EEvNS0_6detail10TensorInfoIT_T1_EESF_NSC_IKS6_SE_EElS8_S8_SE_T6_,comdat
	.protected	_ZN2at4cuda17kernelHistogram1DIdhlLi1ELi2ELin1ELNS0_23CUDAHistogramMemoryTypeE1EZNS0_21CUDA_tensor_histogramIdhLb1EEEbNS_6TensorES4_S4_lNS_14AccumulateTypeIT0_Lb1EE4typeES8_NS0_13TensorArgTypeES9_S9_EUllE_EEvNS0_6detail10TensorInfoIT_T1_EESF_NSC_IKS6_SE_EElS8_S8_SE_T6_ ; -- Begin function _ZN2at4cuda17kernelHistogram1DIdhlLi1ELi2ELin1ELNS0_23CUDAHistogramMemoryTypeE1EZNS0_21CUDA_tensor_histogramIdhLb1EEEbNS_6TensorES4_S4_lNS_14AccumulateTypeIT0_Lb1EE4typeES8_NS0_13TensorArgTypeES9_S9_EUllE_EEvNS0_6detail10TensorInfoIT_T1_EESF_NSC_IKS6_SE_EElS8_S8_SE_T6_
	.globl	_ZN2at4cuda17kernelHistogram1DIdhlLi1ELi2ELin1ELNS0_23CUDAHistogramMemoryTypeE1EZNS0_21CUDA_tensor_histogramIdhLb1EEEbNS_6TensorES4_S4_lNS_14AccumulateTypeIT0_Lb1EE4typeES8_NS0_13TensorArgTypeES9_S9_EUllE_EEvNS0_6detail10TensorInfoIT_T1_EESF_NSC_IKS6_SE_EElS8_S8_SE_T6_
	.p2align	8
	.type	_ZN2at4cuda17kernelHistogram1DIdhlLi1ELi2ELin1ELNS0_23CUDAHistogramMemoryTypeE1EZNS0_21CUDA_tensor_histogramIdhLb1EEEbNS_6TensorES4_S4_lNS_14AccumulateTypeIT0_Lb1EE4typeES8_NS0_13TensorArgTypeES9_S9_EUllE_EEvNS0_6detail10TensorInfoIT_T1_EESF_NSC_IKS6_SE_EElS8_S8_SE_T6_,@function
_ZN2at4cuda17kernelHistogram1DIdhlLi1ELi2ELin1ELNS0_23CUDAHistogramMemoryTypeE1EZNS0_21CUDA_tensor_histogramIdhLb1EEEbNS_6TensorES4_S4_lNS_14AccumulateTypeIT0_Lb1EE4typeES8_NS0_13TensorArgTypeES9_S9_EUllE_EEvNS0_6detail10TensorInfoIT_T1_EESF_NSC_IKS6_SE_EElS8_S8_SE_T6_: ; @_ZN2at4cuda17kernelHistogram1DIdhlLi1ELi2ELin1ELNS0_23CUDAHistogramMemoryTypeE1EZNS0_21CUDA_tensor_histogramIdhLb1EEEbNS_6TensorES4_S4_lNS_14AccumulateTypeIT0_Lb1EE4typeES8_NS0_13TensorArgTypeES9_S9_EUllE_EEvNS0_6detail10TensorInfoIT_T1_EESF_NSC_IKS6_SE_EElS8_S8_SE_T6_
; %bb.0:
	s_load_dword s2, s[4:5], 0x6ac
	s_load_dwordx8 s[8:15], s[4:5], 0x4e0
	s_add_u32 s0, s4, 0x6a0
	s_addc_u32 s1, s5, 0
	v_mov_b32_e32 v6, 0
	s_waitcnt lgkmcnt(0)
	s_and_b32 s2, s2, 0xffff
	s_mul_i32 s6, s6, s2
	v_add_u32_e32 v4, s6, v0
	v_mov_b32_e32 v5, v6
	v_cmp_gt_i64_e32 vcc, s[14:15], v[4:5]
	s_and_saveexec_b64 s[6:7], vcc
	s_cbranch_execz .LBB9_17
; %bb.1:
	s_load_dwordx2 s[6:7], s[4:5], 0x5d0
	s_load_dword s3, s[4:5], 0x4d8
	s_load_dwordx2 s[16:17], s[4:5], 0x500
	s_add_u32 s26, s4, 0x340
	s_load_dword s28, s[0:1], 0x0
	s_addc_u32 s27, s5, 0
	s_waitcnt lgkmcnt(0)
	s_cmp_gt_i32 s3, 1
	s_cselect_b64 s[0:1], -1, 0
	s_load_dwordx2 s[18:19], s[4:5], 0x0
	s_load_dwordx2 s[20:21], s[4:5], 0xd0
	;; [unrolled: 1-line block ×4, first 2 shown]
	s_sub_u32 s33, s12, s10
	s_subb_u32 s42, s13, s11
	s_mov_b32 s5, 0
	s_add_i32 s4, s3, -1
	s_mul_i32 s43, s28, s2
	s_add_i32 s44, s3, 1
	s_lshl_b64 s[2:3], s[4:5], 3
	s_add_u32 s2, s26, s2
	s_addc_u32 s3, s27, s3
	s_add_u32 s26, s2, 8
	v_cndmask_b32_e64 v0, 0, 1, s[0:1]
	s_addc_u32 s27, s3, 0
	s_mov_b64 s[28:29], 0
	v_cmp_ne_u32_e64 s[0:1], 1, v0
	s_branch .LBB9_3
.LBB9_2:                                ;   in Loop: Header=BB9_3 Depth=1
	s_or_b64 exec, exec, s[30:31]
	v_add_co_u32_e32 v4, vcc, s43, v4
	v_addc_co_u32_e32 v5, vcc, 0, v5, vcc
	v_cmp_le_i64_e32 vcc, s[14:15], v[4:5]
	s_or_b64 s[28:29], vcc, s[28:29]
	s_andn2_b64 exec, exec, s[28:29]
	s_cbranch_execz .LBB9_17
.LBB9_3:                                ; =>This Loop Header: Depth=1
                                        ;     Child Loop BB9_4 Depth 2
                                        ;     Child Loop BB9_16 Depth 2
	v_mov_b32_e32 v0, 0
	v_mov_b32_e32 v2, v4
	;; [unrolled: 1-line block ×4, first 2 shown]
	s_and_b64 vcc, exec, s[0:1]
	s_mov_b64 s[30:31], s[26:27]
	s_mov_b32 s4, s44
	v_mov_b32_e32 v3, v5
	v_mov_b32_e32 v7, v4
	s_cbranch_vccnz .LBB9_10
.LBB9_4:                                ;   Parent Loop BB9_3 Depth=1
                                        ; =>  This Inner Loop Header: Depth=2
	s_load_dwordx2 s[34:35], s[30:31], 0x0
	s_waitcnt lgkmcnt(0)
	v_or_b32_e32 v7, s35, v3
	v_cmp_ne_u64_e32 vcc, 0, v[6:7]
                                        ; implicit-def: $vgpr7_vgpr8
	s_and_saveexec_b64 s[2:3], vcc
	s_xor_b64 s[36:37], exec, s[2:3]
	s_cbranch_execz .LBB9_6
; %bb.5:                                ;   in Loop: Header=BB9_4 Depth=2
	s_ashr_i32 s38, s35, 31
	s_add_u32 s2, s34, s38
	s_mov_b32 s39, s38
	s_addc_u32 s3, s35, s38
	s_xor_b64 s[40:41], s[2:3], s[38:39]
	v_cvt_f32_u32_e32 v7, s40
	v_cvt_f32_u32_e32 v8, s41
	s_sub_u32 s39, 0, s40
	s_subb_u32 s45, 0, s41
	v_ashrrev_i32_e32 v11, 31, v3
	v_mac_f32_e32 v7, 0x4f800000, v8
	v_rcp_f32_e32 v7, v7
	v_mul_f32_e32 v7, 0x5f7ffffc, v7
	v_mul_f32_e32 v8, 0x2f800000, v7
	v_trunc_f32_e32 v8, v8
	v_mac_f32_e32 v7, 0xcf800000, v8
	v_cvt_u32_f32_e32 v8, v8
	v_cvt_u32_f32_e32 v7, v7
	v_readfirstlane_b32 s46, v8
	v_readfirstlane_b32 s2, v7
	s_mul_i32 s3, s39, s46
	s_mul_hi_u32 s48, s39, s2
	s_mul_i32 s47, s45, s2
	s_add_i32 s3, s48, s3
	s_add_i32 s3, s3, s47
	s_mul_i32 s49, s39, s2
	s_mul_i32 s48, s2, s3
	s_mul_hi_u32 s50, s2, s49
	s_mul_hi_u32 s47, s2, s3
	s_add_u32 s48, s50, s48
	s_addc_u32 s47, 0, s47
	s_mul_hi_u32 s51, s46, s49
	s_mul_i32 s49, s46, s49
	s_add_u32 s48, s48, s49
	s_mul_hi_u32 s50, s46, s3
	s_addc_u32 s47, s47, s51
	s_addc_u32 s48, s50, 0
	s_mul_i32 s3, s46, s3
	s_add_u32 s3, s47, s3
	s_addc_u32 s47, 0, s48
	s_add_u32 s48, s2, s3
	s_cselect_b64 s[2:3], -1, 0
	s_cmp_lg_u64 s[2:3], 0
	s_addc_u32 s46, s46, s47
	s_mul_i32 s2, s39, s46
	s_mul_hi_u32 s3, s39, s48
	s_add_i32 s2, s3, s2
	s_mul_i32 s45, s45, s48
	s_add_i32 s2, s2, s45
	s_mul_i32 s39, s39, s48
	s_mul_hi_u32 s45, s46, s39
	s_mul_i32 s47, s46, s39
	s_mul_i32 s50, s48, s2
	s_mul_hi_u32 s39, s48, s39
	s_mul_hi_u32 s49, s48, s2
	s_add_u32 s39, s39, s50
	s_addc_u32 s49, 0, s49
	s_add_u32 s39, s39, s47
	s_mul_hi_u32 s3, s46, s2
	s_addc_u32 s39, s49, s45
	s_addc_u32 s3, s3, 0
	s_mul_i32 s2, s46, s2
	s_add_u32 s2, s39, s2
	s_addc_u32 s39, 0, s3
	s_add_u32 s45, s48, s2
	s_cselect_b64 s[2:3], -1, 0
	s_cmp_lg_u64 s[2:3], 0
	v_add_co_u32_e32 v7, vcc, v2, v11
	s_addc_u32 s39, s46, s39
	v_xor_b32_e32 v12, v7, v11
	v_mad_u64_u32 v[7:8], s[2:3], v12, s39, 0
	v_mul_hi_u32 v10, v12, s45
	v_addc_co_u32_e32 v9, vcc, v3, v11, vcc
	v_xor_b32_e32 v13, v9, v11
	v_add_co_u32_e32 v14, vcc, v10, v7
	v_addc_co_u32_e32 v15, vcc, 0, v8, vcc
	v_mad_u64_u32 v[7:8], s[2:3], v13, s45, 0
	v_mad_u64_u32 v[9:10], s[2:3], v13, s39, 0
	v_add_co_u32_e32 v7, vcc, v14, v7
	v_addc_co_u32_e32 v7, vcc, v15, v8, vcc
	v_addc_co_u32_e32 v8, vcc, 0, v10, vcc
	v_add_co_u32_e32 v9, vcc, v7, v9
	v_addc_co_u32_e32 v10, vcc, 0, v8, vcc
	v_mul_lo_u32 v14, s41, v9
	v_mul_lo_u32 v15, s40, v10
	v_mad_u64_u32 v[7:8], s[2:3], s40, v9, 0
	v_add3_u32 v8, v8, v15, v14
	v_sub_u32_e32 v14, v13, v8
	v_mov_b32_e32 v15, s41
	v_sub_co_u32_e32 v7, vcc, v12, v7
	v_subb_co_u32_e64 v12, s[2:3], v14, v15, vcc
	v_subrev_co_u32_e64 v14, s[2:3], s40, v7
	v_subbrev_co_u32_e64 v12, s[2:3], 0, v12, s[2:3]
	v_cmp_le_u32_e64 s[2:3], s41, v12
	v_cndmask_b32_e64 v15, 0, -1, s[2:3]
	v_cmp_le_u32_e64 s[2:3], s40, v14
	v_cndmask_b32_e64 v14, 0, -1, s[2:3]
	v_cmp_eq_u32_e64 s[2:3], s41, v12
	v_cndmask_b32_e64 v12, v15, v14, s[2:3]
	v_add_co_u32_e64 v14, s[2:3], 2, v9
	v_subb_co_u32_e32 v8, vcc, v13, v8, vcc
	v_addc_co_u32_e64 v15, s[2:3], 0, v10, s[2:3]
	v_cmp_le_u32_e32 vcc, s41, v8
	v_add_co_u32_e64 v16, s[2:3], 1, v9
	v_cndmask_b32_e64 v13, 0, -1, vcc
	v_cmp_le_u32_e32 vcc, s40, v7
	v_addc_co_u32_e64 v17, s[2:3], 0, v10, s[2:3]
	v_cndmask_b32_e64 v7, 0, -1, vcc
	v_cmp_eq_u32_e32 vcc, s41, v8
	v_cmp_ne_u32_e64 s[2:3], 0, v12
	v_cndmask_b32_e32 v7, v13, v7, vcc
	v_cndmask_b32_e64 v12, v17, v15, s[2:3]
	v_cmp_ne_u32_e32 vcc, 0, v7
	v_cndmask_b32_e64 v8, v16, v14, s[2:3]
	v_cndmask_b32_e32 v7, v10, v12, vcc
	v_cndmask_b32_e32 v8, v9, v8, vcc
	v_xor_b32_e32 v9, s38, v11
	v_xor_b32_e32 v10, v7, v9
	;; [unrolled: 1-line block ×3, first 2 shown]
	v_sub_co_u32_e32 v7, vcc, v7, v9
	v_subb_co_u32_e32 v8, vcc, v10, v9, vcc
.LBB9_6:                                ;   in Loop: Header=BB9_4 Depth=2
	s_andn2_saveexec_b64 s[2:3], s[36:37]
	s_cbranch_execz .LBB9_8
; %bb.7:                                ;   in Loop: Header=BB9_4 Depth=2
	v_cvt_f32_u32_e32 v7, s34
	s_sub_i32 s36, 0, s34
	v_rcp_iflag_f32_e32 v7, v7
	v_mul_f32_e32 v7, 0x4f7ffffe, v7
	v_cvt_u32_f32_e32 v7, v7
	v_mul_lo_u32 v8, s36, v7
	v_mul_hi_u32 v8, v7, v8
	v_add_u32_e32 v7, v7, v8
	v_mul_hi_u32 v7, v2, v7
	v_mul_lo_u32 v8, v7, s34
	v_add_u32_e32 v9, 1, v7
	v_sub_u32_e32 v8, v2, v8
	v_subrev_u32_e32 v10, s34, v8
	v_cmp_le_u32_e32 vcc, s34, v8
	v_cndmask_b32_e32 v8, v8, v10, vcc
	v_cndmask_b32_e32 v7, v7, v9, vcc
	v_add_u32_e32 v9, 1, v7
	v_cmp_le_u32_e32 vcc, s34, v8
	v_cndmask_b32_e32 v7, v7, v9, vcc
	v_mov_b32_e32 v8, v6
.LBB9_8:                                ;   in Loop: Header=BB9_4 Depth=2
	s_or_b64 exec, exec, s[2:3]
	v_mul_lo_u32 v11, v8, s34
	v_mul_lo_u32 v12, v7, s35
	v_mad_u64_u32 v[9:10], s[2:3], v7, s34, 0
	s_load_dwordx2 s[2:3], s[30:31], 0xc8
	s_add_i32 s4, s4, -1
	v_add3_u32 v10, v10, v12, v11
	v_sub_co_u32_e32 v2, vcc, v2, v9
	v_subb_co_u32_e32 v3, vcc, v3, v10, vcc
	s_waitcnt lgkmcnt(0)
	v_mul_lo_u32 v3, s2, v3
	v_mul_lo_u32 v9, s3, v2
	v_mad_u64_u32 v[0:1], s[2:3], s2, v2, v[0:1]
	s_add_u32 s30, s30, -8
	s_addc_u32 s31, s31, -1
	s_cmp_gt_u32 s4, 2
	v_add3_u32 v1, v9, v1, v3
	s_cbranch_scc0 .LBB9_10
; %bb.9:                                ;   in Loop: Header=BB9_4 Depth=2
	v_mov_b32_e32 v2, v7
	v_mov_b32_e32 v3, v8
	s_branch .LBB9_4
.LBB9_10:                               ;   in Loop: Header=BB9_3 Depth=1
	s_waitcnt lgkmcnt(0)
	v_mov_b32_e32 v2, s24
	v_mov_b32_e32 v3, s25
	v_mul_lo_u32 v8, s22, v8
	v_mul_lo_u32 v9, s23, v7
	v_mad_u64_u32 v[2:3], s[2:3], s22, v7, v[2:3]
	v_add3_u32 v3, v9, v3, v8
	v_add_co_u32_e32 v0, vcc, v2, v0
	v_addc_co_u32_e32 v1, vcc, v3, v1, vcc
	global_load_ubyte v0, v[0:1], off
	v_mov_b32_e32 v1, s5
	s_waitcnt vmcnt(0)
	v_and_b32_e32 v0, 0xffff, v0
	v_cmp_le_i64_e32 vcc, s[10:11], v[0:1]
	v_cmp_ge_i64_e64 s[2:3], s[12:13], v[0:1]
	s_and_b64 s[2:3], vcc, s[2:3]
	s_and_saveexec_b64 s[30:31], s[2:3]
	s_cbranch_execz .LBB9_2
; %bb.11:                               ;   in Loop: Header=BB9_3 Depth=1
	v_mov_b32_e32 v1, s11
	v_subrev_co_u32_e32 v0, vcc, s10, v0
	v_subb_co_u32_e32 v1, vcc, 0, v1, vcc
	v_mul_lo_u32 v2, v1, s8
	v_mul_lo_u32 v3, v0, s9
	v_mad_u64_u32 v[0:1], s[2:3], v0, s8, 0
	v_add3_u32 v1, v1, v3, v2
	v_or_b32_e32 v7, s42, v1
	v_cmp_ne_u64_e32 vcc, 0, v[6:7]
                                        ; implicit-def: $vgpr2_vgpr3
	s_and_saveexec_b64 s[2:3], vcc
	s_xor_b64 s[34:35], exec, s[2:3]
	s_cbranch_execz .LBB9_13
; %bb.12:                               ;   in Loop: Header=BB9_3 Depth=1
	s_ashr_i32 s36, s42, 31
	s_add_u32 s2, s33, s36
	s_mov_b32 s37, s36
	s_addc_u32 s3, s42, s36
	s_xor_b64 s[38:39], s[2:3], s[36:37]
	v_cvt_f32_u32_e32 v2, s38
	v_cvt_f32_u32_e32 v3, s39
	s_sub_u32 s4, 0, s38
	s_subb_u32 s37, 0, s39
	v_ashrrev_i32_e32 v7, 31, v1
	v_mac_f32_e32 v2, 0x4f800000, v3
	v_rcp_f32_e32 v2, v2
	v_add_co_u32_e32 v0, vcc, v0, v7
	v_xor_b32_e32 v8, v0, v7
	v_mul_f32_e32 v2, 0x5f7ffffc, v2
	v_mul_f32_e32 v3, 0x2f800000, v2
	v_trunc_f32_e32 v3, v3
	v_mac_f32_e32 v2, 0xcf800000, v3
	v_cvt_u32_f32_e32 v3, v3
	v_cvt_u32_f32_e32 v2, v2
	v_readfirstlane_b32 s40, v3
	v_readfirstlane_b32 s2, v2
	s_mul_i32 s3, s4, s40
	s_mul_hi_u32 s45, s4, s2
	s_mul_i32 s41, s37, s2
	s_add_i32 s3, s45, s3
	s_add_i32 s3, s3, s41
	s_mul_i32 s46, s4, s2
	s_mul_i32 s45, s2, s3
	s_mul_hi_u32 s47, s2, s46
	s_mul_hi_u32 s41, s2, s3
	s_add_u32 s45, s47, s45
	s_addc_u32 s41, 0, s41
	s_mul_hi_u32 s48, s40, s46
	s_mul_i32 s46, s40, s46
	s_add_u32 s45, s45, s46
	s_mul_hi_u32 s47, s40, s3
	s_addc_u32 s41, s41, s48
	s_addc_u32 s45, s47, 0
	s_mul_i32 s3, s40, s3
	s_add_u32 s3, s41, s3
	s_addc_u32 s41, 0, s45
	s_add_u32 s45, s2, s3
	s_cselect_b64 s[2:3], -1, 0
	s_cmp_lg_u64 s[2:3], 0
	s_addc_u32 s40, s40, s41
	s_mul_i32 s2, s4, s40
	s_mul_hi_u32 s3, s4, s45
	s_add_i32 s2, s3, s2
	s_mul_i32 s37, s37, s45
	s_add_i32 s2, s2, s37
	s_mul_i32 s4, s4, s45
	s_mul_hi_u32 s37, s40, s4
	s_mul_i32 s41, s40, s4
	s_mul_i32 s47, s45, s2
	s_mul_hi_u32 s4, s45, s4
	s_mul_hi_u32 s46, s45, s2
	s_add_u32 s4, s4, s47
	s_addc_u32 s46, 0, s46
	s_add_u32 s4, s4, s41
	s_mul_hi_u32 s3, s40, s2
	s_addc_u32 s4, s46, s37
	s_addc_u32 s3, s3, 0
	s_mul_i32 s2, s40, s2
	s_add_u32 s2, s4, s2
	s_addc_u32 s4, 0, s3
	s_add_u32 s37, s45, s2
	s_cselect_b64 s[2:3], -1, 0
	s_cmp_lg_u64 s[2:3], 0
	s_addc_u32 s4, s40, s4
	v_addc_co_u32_e32 v2, vcc, v1, v7, vcc
	v_mad_u64_u32 v[0:1], s[2:3], v8, s4, 0
	v_mul_hi_u32 v3, v8, s37
	v_xor_b32_e32 v9, v2, v7
	v_add_co_u32_e32 v10, vcc, v3, v0
	v_addc_co_u32_e32 v11, vcc, 0, v1, vcc
	v_mad_u64_u32 v[0:1], s[2:3], v9, s37, 0
	v_mad_u64_u32 v[2:3], s[2:3], v9, s4, 0
	v_add_co_u32_e32 v0, vcc, v10, v0
	v_addc_co_u32_e32 v0, vcc, v11, v1, vcc
	v_addc_co_u32_e32 v1, vcc, 0, v3, vcc
	v_add_co_u32_e32 v2, vcc, v0, v2
	v_addc_co_u32_e32 v0, vcc, 0, v1, vcc
	v_mul_lo_u32 v3, s39, v2
	v_mul_lo_u32 v10, s38, v0
	v_mad_u64_u32 v[0:1], s[2:3], s38, v2, 0
	v_add3_u32 v1, v1, v10, v3
	v_sub_u32_e32 v3, v9, v1
	v_mov_b32_e32 v10, s39
	v_sub_co_u32_e32 v0, vcc, v8, v0
	v_subb_co_u32_e64 v3, s[2:3], v3, v10, vcc
	v_subrev_co_u32_e64 v8, s[2:3], s38, v0
	v_subbrev_co_u32_e64 v3, s[2:3], 0, v3, s[2:3]
	v_cmp_le_u32_e64 s[2:3], s39, v3
	v_subb_co_u32_e32 v1, vcc, v9, v1, vcc
	v_cndmask_b32_e64 v10, 0, -1, s[2:3]
	v_cmp_le_u32_e64 s[2:3], s38, v8
	v_cmp_le_u32_e32 vcc, s39, v1
	v_cndmask_b32_e64 v8, 0, -1, s[2:3]
	v_cmp_eq_u32_e64 s[2:3], s39, v3
	v_cndmask_b32_e64 v9, 0, -1, vcc
	v_cmp_le_u32_e32 vcc, s38, v0
	v_cndmask_b32_e64 v3, v10, v8, s[2:3]
	v_cndmask_b32_e64 v0, 0, -1, vcc
	v_cmp_eq_u32_e32 vcc, s39, v1
	v_add_co_u32_e64 v8, s[2:3], 2, v2
	v_add_co_u32_e64 v10, s[2:3], 1, v2
	v_cndmask_b32_e32 v0, v9, v0, vcc
	v_cmp_ne_u32_e32 vcc, 0, v3
	v_cndmask_b32_e32 v1, v10, v8, vcc
	v_cmp_ne_u32_e32 vcc, 0, v0
	v_cndmask_b32_e32 v0, v2, v1, vcc
	v_xor_b32_e32 v1, s36, v7
	v_xor_b32_e32 v0, v0, v1
	v_sub_co_u32_e32 v2, vcc, v0, v1
                                        ; implicit-def: $vgpr0_vgpr1
.LBB9_13:                               ;   in Loop: Header=BB9_3 Depth=1
	s_andn2_saveexec_b64 s[2:3], s[34:35]
	s_cbranch_execz .LBB9_15
; %bb.14:                               ;   in Loop: Header=BB9_3 Depth=1
	v_cvt_f32_u32_e32 v1, s33
	s_sub_i32 s4, 0, s33
	v_rcp_iflag_f32_e32 v1, v1
	v_mul_f32_e32 v1, 0x4f7ffffe, v1
	v_cvt_u32_f32_e32 v1, v1
	v_mul_lo_u32 v2, s4, v1
	v_mul_hi_u32 v2, v1, v2
	v_add_u32_e32 v1, v1, v2
	v_mul_hi_u32 v1, v0, v1
	v_mul_lo_u32 v2, v1, s33
	v_add_u32_e32 v3, 1, v1
	v_sub_u32_e32 v0, v0, v2
	v_subrev_u32_e32 v2, s33, v0
	v_cmp_le_u32_e32 vcc, s33, v0
	v_cndmask_b32_e32 v0, v0, v2, vcc
	v_cndmask_b32_e32 v1, v1, v3, vcc
	v_add_u32_e32 v2, 1, v1
	v_cmp_le_u32_e32 vcc, s33, v0
	v_cndmask_b32_e32 v2, v1, v2, vcc
.LBB9_15:                               ;   in Loop: Header=BB9_3 Depth=1
	s_or_b64 exec, exec, s[2:3]
	v_ashrrev_i32_e32 v3, 31, v2
	v_cmp_eq_u64_e32 vcc, s[8:9], v[2:3]
	v_mul_lo_u32 v9, v5, s6
	v_cndmask_b32_e64 v0, 0, 1, vcc
	v_sub_co_u32_e32 v0, vcc, v2, v0
	v_subbrev_co_u32_e32 v1, vcc, 0, v3, vcc
	v_mul_lo_u32 v2, v1, s20
	v_mul_lo_u32 v3, v0, s21
	v_mad_u64_u32 v[0:1], s[2:3], v0, s20, 0
	v_mul_lo_u32 v10, v4, s7
	v_mov_b32_e32 v8, s19
	v_add3_u32 v1, v1, v3, v2
	v_mad_u64_u32 v[2:3], s[2:3], v4, s6, 0
	v_lshlrev_b64 v[0:1], 3, v[0:1]
	s_mov_b64 s[2:3], 0
	v_add_co_u32_e32 v7, vcc, s18, v0
	v_add3_u32 v3, v3, v10, v9
	v_addc_co_u32_e32 v8, vcc, v8, v1, vcc
	v_lshlrev_b64 v[0:1], 3, v[2:3]
	v_mov_b32_e32 v2, s17
	v_add_co_u32_e32 v0, vcc, s16, v0
	v_addc_co_u32_e32 v1, vcc, v2, v1, vcc
	global_load_dwordx2 v[9:10], v[0:1], off
	global_load_dwordx2 v[2:3], v[7:8], off
.LBB9_16:                               ;   Parent Loop BB9_3 Depth=1
                                        ; =>  This Inner Loop Header: Depth=2
	s_waitcnt vmcnt(0)
	v_add_f64 v[0:1], v[2:3], v[9:10]
	global_atomic_cmpswap_x2 v[0:1], v[7:8], v[0:3], off glc
	s_waitcnt vmcnt(0)
	v_cmp_eq_u64_e32 vcc, v[0:1], v[2:3]
	v_mov_b32_e32 v3, v1
	s_or_b64 s[2:3], vcc, s[2:3]
	v_mov_b32_e32 v2, v0
	s_andn2_b64 exec, exec, s[2:3]
	s_cbranch_execnz .LBB9_16
	s_branch .LBB9_2
.LBB9_17:
	s_endpgm
	.section	.rodata,"a",@progbits
	.p2align	6, 0x0
	.amdhsa_kernel _ZN2at4cuda17kernelHistogram1DIdhlLi1ELi2ELin1ELNS0_23CUDAHistogramMemoryTypeE1EZNS0_21CUDA_tensor_histogramIdhLb1EEEbNS_6TensorES4_S4_lNS_14AccumulateTypeIT0_Lb1EE4typeES8_NS0_13TensorArgTypeES9_S9_EUllE_EEvNS0_6detail10TensorInfoIT_T1_EESF_NSC_IKS6_SE_EElS8_S8_SE_T6_
		.amdhsa_group_segment_fixed_size 0
		.amdhsa_private_segment_fixed_size 0
		.amdhsa_kernarg_size 1952
		.amdhsa_user_sgpr_count 6
		.amdhsa_user_sgpr_private_segment_buffer 1
		.amdhsa_user_sgpr_dispatch_ptr 0
		.amdhsa_user_sgpr_queue_ptr 0
		.amdhsa_user_sgpr_kernarg_segment_ptr 1
		.amdhsa_user_sgpr_dispatch_id 0
		.amdhsa_user_sgpr_flat_scratch_init 0
		.amdhsa_user_sgpr_private_segment_size 0
		.amdhsa_uses_dynamic_stack 0
		.amdhsa_system_sgpr_private_segment_wavefront_offset 0
		.amdhsa_system_sgpr_workgroup_id_x 1
		.amdhsa_system_sgpr_workgroup_id_y 0
		.amdhsa_system_sgpr_workgroup_id_z 0
		.amdhsa_system_sgpr_workgroup_info 0
		.amdhsa_system_vgpr_workitem_id 0
		.amdhsa_next_free_vgpr 18
		.amdhsa_next_free_sgpr 52
		.amdhsa_reserve_vcc 1
		.amdhsa_reserve_flat_scratch 0
		.amdhsa_float_round_mode_32 0
		.amdhsa_float_round_mode_16_64 0
		.amdhsa_float_denorm_mode_32 3
		.amdhsa_float_denorm_mode_16_64 3
		.amdhsa_dx10_clamp 1
		.amdhsa_ieee_mode 1
		.amdhsa_fp16_overflow 0
		.amdhsa_exception_fp_ieee_invalid_op 0
		.amdhsa_exception_fp_denorm_src 0
		.amdhsa_exception_fp_ieee_div_zero 0
		.amdhsa_exception_fp_ieee_overflow 0
		.amdhsa_exception_fp_ieee_underflow 0
		.amdhsa_exception_fp_ieee_inexact 0
		.amdhsa_exception_int_div_zero 0
	.end_amdhsa_kernel
	.section	.text._ZN2at4cuda17kernelHistogram1DIdhlLi1ELi2ELin1ELNS0_23CUDAHistogramMemoryTypeE1EZNS0_21CUDA_tensor_histogramIdhLb1EEEbNS_6TensorES4_S4_lNS_14AccumulateTypeIT0_Lb1EE4typeES8_NS0_13TensorArgTypeES9_S9_EUllE_EEvNS0_6detail10TensorInfoIT_T1_EESF_NSC_IKS6_SE_EElS8_S8_SE_T6_,"axG",@progbits,_ZN2at4cuda17kernelHistogram1DIdhlLi1ELi2ELin1ELNS0_23CUDAHistogramMemoryTypeE1EZNS0_21CUDA_tensor_histogramIdhLb1EEEbNS_6TensorES4_S4_lNS_14AccumulateTypeIT0_Lb1EE4typeES8_NS0_13TensorArgTypeES9_S9_EUllE_EEvNS0_6detail10TensorInfoIT_T1_EESF_NSC_IKS6_SE_EElS8_S8_SE_T6_,comdat
.Lfunc_end9:
	.size	_ZN2at4cuda17kernelHistogram1DIdhlLi1ELi2ELin1ELNS0_23CUDAHistogramMemoryTypeE1EZNS0_21CUDA_tensor_histogramIdhLb1EEEbNS_6TensorES4_S4_lNS_14AccumulateTypeIT0_Lb1EE4typeES8_NS0_13TensorArgTypeES9_S9_EUllE_EEvNS0_6detail10TensorInfoIT_T1_EESF_NSC_IKS6_SE_EElS8_S8_SE_T6_, .Lfunc_end9-_ZN2at4cuda17kernelHistogram1DIdhlLi1ELi2ELin1ELNS0_23CUDAHistogramMemoryTypeE1EZNS0_21CUDA_tensor_histogramIdhLb1EEEbNS_6TensorES4_S4_lNS_14AccumulateTypeIT0_Lb1EE4typeES8_NS0_13TensorArgTypeES9_S9_EUllE_EEvNS0_6detail10TensorInfoIT_T1_EESF_NSC_IKS6_SE_EElS8_S8_SE_T6_
                                        ; -- End function
	.set _ZN2at4cuda17kernelHistogram1DIdhlLi1ELi2ELin1ELNS0_23CUDAHistogramMemoryTypeE1EZNS0_21CUDA_tensor_histogramIdhLb1EEEbNS_6TensorES4_S4_lNS_14AccumulateTypeIT0_Lb1EE4typeES8_NS0_13TensorArgTypeES9_S9_EUllE_EEvNS0_6detail10TensorInfoIT_T1_EESF_NSC_IKS6_SE_EElS8_S8_SE_T6_.num_vgpr, 18
	.set _ZN2at4cuda17kernelHistogram1DIdhlLi1ELi2ELin1ELNS0_23CUDAHistogramMemoryTypeE1EZNS0_21CUDA_tensor_histogramIdhLb1EEEbNS_6TensorES4_S4_lNS_14AccumulateTypeIT0_Lb1EE4typeES8_NS0_13TensorArgTypeES9_S9_EUllE_EEvNS0_6detail10TensorInfoIT_T1_EESF_NSC_IKS6_SE_EElS8_S8_SE_T6_.num_agpr, 0
	.set _ZN2at4cuda17kernelHistogram1DIdhlLi1ELi2ELin1ELNS0_23CUDAHistogramMemoryTypeE1EZNS0_21CUDA_tensor_histogramIdhLb1EEEbNS_6TensorES4_S4_lNS_14AccumulateTypeIT0_Lb1EE4typeES8_NS0_13TensorArgTypeES9_S9_EUllE_EEvNS0_6detail10TensorInfoIT_T1_EESF_NSC_IKS6_SE_EElS8_S8_SE_T6_.numbered_sgpr, 52
	.set _ZN2at4cuda17kernelHistogram1DIdhlLi1ELi2ELin1ELNS0_23CUDAHistogramMemoryTypeE1EZNS0_21CUDA_tensor_histogramIdhLb1EEEbNS_6TensorES4_S4_lNS_14AccumulateTypeIT0_Lb1EE4typeES8_NS0_13TensorArgTypeES9_S9_EUllE_EEvNS0_6detail10TensorInfoIT_T1_EESF_NSC_IKS6_SE_EElS8_S8_SE_T6_.num_named_barrier, 0
	.set _ZN2at4cuda17kernelHistogram1DIdhlLi1ELi2ELin1ELNS0_23CUDAHistogramMemoryTypeE1EZNS0_21CUDA_tensor_histogramIdhLb1EEEbNS_6TensorES4_S4_lNS_14AccumulateTypeIT0_Lb1EE4typeES8_NS0_13TensorArgTypeES9_S9_EUllE_EEvNS0_6detail10TensorInfoIT_T1_EESF_NSC_IKS6_SE_EElS8_S8_SE_T6_.private_seg_size, 0
	.set _ZN2at4cuda17kernelHistogram1DIdhlLi1ELi2ELin1ELNS0_23CUDAHistogramMemoryTypeE1EZNS0_21CUDA_tensor_histogramIdhLb1EEEbNS_6TensorES4_S4_lNS_14AccumulateTypeIT0_Lb1EE4typeES8_NS0_13TensorArgTypeES9_S9_EUllE_EEvNS0_6detail10TensorInfoIT_T1_EESF_NSC_IKS6_SE_EElS8_S8_SE_T6_.uses_vcc, 1
	.set _ZN2at4cuda17kernelHistogram1DIdhlLi1ELi2ELin1ELNS0_23CUDAHistogramMemoryTypeE1EZNS0_21CUDA_tensor_histogramIdhLb1EEEbNS_6TensorES4_S4_lNS_14AccumulateTypeIT0_Lb1EE4typeES8_NS0_13TensorArgTypeES9_S9_EUllE_EEvNS0_6detail10TensorInfoIT_T1_EESF_NSC_IKS6_SE_EElS8_S8_SE_T6_.uses_flat_scratch, 0
	.set _ZN2at4cuda17kernelHistogram1DIdhlLi1ELi2ELin1ELNS0_23CUDAHistogramMemoryTypeE1EZNS0_21CUDA_tensor_histogramIdhLb1EEEbNS_6TensorES4_S4_lNS_14AccumulateTypeIT0_Lb1EE4typeES8_NS0_13TensorArgTypeES9_S9_EUllE_EEvNS0_6detail10TensorInfoIT_T1_EESF_NSC_IKS6_SE_EElS8_S8_SE_T6_.has_dyn_sized_stack, 0
	.set _ZN2at4cuda17kernelHistogram1DIdhlLi1ELi2ELin1ELNS0_23CUDAHistogramMemoryTypeE1EZNS0_21CUDA_tensor_histogramIdhLb1EEEbNS_6TensorES4_S4_lNS_14AccumulateTypeIT0_Lb1EE4typeES8_NS0_13TensorArgTypeES9_S9_EUllE_EEvNS0_6detail10TensorInfoIT_T1_EESF_NSC_IKS6_SE_EElS8_S8_SE_T6_.has_recursion, 0
	.set _ZN2at4cuda17kernelHistogram1DIdhlLi1ELi2ELin1ELNS0_23CUDAHistogramMemoryTypeE1EZNS0_21CUDA_tensor_histogramIdhLb1EEEbNS_6TensorES4_S4_lNS_14AccumulateTypeIT0_Lb1EE4typeES8_NS0_13TensorArgTypeES9_S9_EUllE_EEvNS0_6detail10TensorInfoIT_T1_EESF_NSC_IKS6_SE_EElS8_S8_SE_T6_.has_indirect_call, 0
	.section	.AMDGPU.csdata,"",@progbits
; Kernel info:
; codeLenInByte = 2192
; TotalNumSgprs: 56
; NumVgprs: 18
; ScratchSize: 0
; MemoryBound: 0
; FloatMode: 240
; IeeeMode: 1
; LDSByteSize: 0 bytes/workgroup (compile time only)
; SGPRBlocks: 6
; VGPRBlocks: 4
; NumSGPRsForWavesPerEU: 56
; NumVGPRsForWavesPerEU: 18
; Occupancy: 10
; WaveLimiterHint : 1
; COMPUTE_PGM_RSRC2:SCRATCH_EN: 0
; COMPUTE_PGM_RSRC2:USER_SGPR: 6
; COMPUTE_PGM_RSRC2:TRAP_HANDLER: 0
; COMPUTE_PGM_RSRC2:TGID_X_EN: 1
; COMPUTE_PGM_RSRC2:TGID_Y_EN: 0
; COMPUTE_PGM_RSRC2:TGID_Z_EN: 0
; COMPUTE_PGM_RSRC2:TIDIG_COMP_CNT: 0
	.section	.text._ZN2at4cuda17kernelHistogram1DIdhlLi1ELi2ELin1ELNS0_23CUDAHistogramMemoryTypeE0EZNS0_21CUDA_tensor_histogramIdhLb1EEEbNS_6TensorES4_S4_lNS_14AccumulateTypeIT0_Lb1EE4typeES8_NS0_13TensorArgTypeES9_S9_EUllE0_EEvNS0_6detail10TensorInfoIT_T1_EESF_NSC_IKS6_SE_EElS8_S8_SE_T6_,"axG",@progbits,_ZN2at4cuda17kernelHistogram1DIdhlLi1ELi2ELin1ELNS0_23CUDAHistogramMemoryTypeE0EZNS0_21CUDA_tensor_histogramIdhLb1EEEbNS_6TensorES4_S4_lNS_14AccumulateTypeIT0_Lb1EE4typeES8_NS0_13TensorArgTypeES9_S9_EUllE0_EEvNS0_6detail10TensorInfoIT_T1_EESF_NSC_IKS6_SE_EElS8_S8_SE_T6_,comdat
	.protected	_ZN2at4cuda17kernelHistogram1DIdhlLi1ELi2ELin1ELNS0_23CUDAHistogramMemoryTypeE0EZNS0_21CUDA_tensor_histogramIdhLb1EEEbNS_6TensorES4_S4_lNS_14AccumulateTypeIT0_Lb1EE4typeES8_NS0_13TensorArgTypeES9_S9_EUllE0_EEvNS0_6detail10TensorInfoIT_T1_EESF_NSC_IKS6_SE_EElS8_S8_SE_T6_ ; -- Begin function _ZN2at4cuda17kernelHistogram1DIdhlLi1ELi2ELin1ELNS0_23CUDAHistogramMemoryTypeE0EZNS0_21CUDA_tensor_histogramIdhLb1EEEbNS_6TensorES4_S4_lNS_14AccumulateTypeIT0_Lb1EE4typeES8_NS0_13TensorArgTypeES9_S9_EUllE0_EEvNS0_6detail10TensorInfoIT_T1_EESF_NSC_IKS6_SE_EElS8_S8_SE_T6_
	.globl	_ZN2at4cuda17kernelHistogram1DIdhlLi1ELi2ELin1ELNS0_23CUDAHistogramMemoryTypeE0EZNS0_21CUDA_tensor_histogramIdhLb1EEEbNS_6TensorES4_S4_lNS_14AccumulateTypeIT0_Lb1EE4typeES8_NS0_13TensorArgTypeES9_S9_EUllE0_EEvNS0_6detail10TensorInfoIT_T1_EESF_NSC_IKS6_SE_EElS8_S8_SE_T6_
	.p2align	8
	.type	_ZN2at4cuda17kernelHistogram1DIdhlLi1ELi2ELin1ELNS0_23CUDAHistogramMemoryTypeE0EZNS0_21CUDA_tensor_histogramIdhLb1EEEbNS_6TensorES4_S4_lNS_14AccumulateTypeIT0_Lb1EE4typeES8_NS0_13TensorArgTypeES9_S9_EUllE0_EEvNS0_6detail10TensorInfoIT_T1_EESF_NSC_IKS6_SE_EElS8_S8_SE_T6_,@function
_ZN2at4cuda17kernelHistogram1DIdhlLi1ELi2ELin1ELNS0_23CUDAHistogramMemoryTypeE0EZNS0_21CUDA_tensor_histogramIdhLb1EEEbNS_6TensorES4_S4_lNS_14AccumulateTypeIT0_Lb1EE4typeES8_NS0_13TensorArgTypeES9_S9_EUllE0_EEvNS0_6detail10TensorInfoIT_T1_EESF_NSC_IKS6_SE_EElS8_S8_SE_T6_: ; @_ZN2at4cuda17kernelHistogram1DIdhlLi1ELi2ELin1ELNS0_23CUDAHistogramMemoryTypeE0EZNS0_21CUDA_tensor_histogramIdhLb1EEEbNS_6TensorES4_S4_lNS_14AccumulateTypeIT0_Lb1EE4typeES8_NS0_13TensorArgTypeES9_S9_EUllE0_EEvNS0_6detail10TensorInfoIT_T1_EESF_NSC_IKS6_SE_EElS8_S8_SE_T6_
; %bb.0:
	s_load_dwordx4 s[16:19], s[4:5], 0x0
	v_mov_b32_e32 v1, 0
	s_add_u32 s2, s4, 0x508
	s_addc_u32 s3, s5, 0
                                        ; implicit-def: $sgpr10
                                        ; implicit-def: $sgpr7
	s_waitcnt lgkmcnt(0)
	v_cmp_gt_i64_e64 s[0:1], s[18:19], v[0:1]
	v_cmp_le_i64_e32 vcc, s[18:19], v[0:1]
	s_and_saveexec_b64 s[8:9], vcc
	s_xor_b64 s[8:9], exec, s[8:9]
	s_cbranch_execz .LBB10_2
; %bb.1:
	s_load_dword s10, s[2:3], 0xc
	s_waitcnt lgkmcnt(0)
	s_and_b32 s7, s10, 0xffff
.LBB10_2:
	s_or_saveexec_b64 s[8:9], s[8:9]
	s_load_dwordx2 s[20:21], s[4:5], 0xd0
	v_mov_b32_e32 v12, s10
	v_mov_b32_e32 v5, s7
	s_xor_b64 exec, exec, s[8:9]
	s_cbranch_execz .LBB10_6
; %bb.3:
	s_load_dword s7, s[2:3], 0xc
	v_mov_b32_e32 v2, 0
	v_mov_b32_e32 v5, v1
	v_lshl_add_u32 v6, v0, 3, 0
	s_mov_b64 s[10:11], 0
	s_waitcnt lgkmcnt(0)
	s_and_b32 s12, s7, 0xffff
	v_mov_b32_e32 v3, v2
	s_lshl_b32 s13, s12, 3
	v_mov_b32_e32 v4, v0
.LBB10_4:                               ; =>This Inner Loop Header: Depth=1
	v_add_co_u32_e32 v4, vcc, s12, v4
	v_addc_co_u32_e32 v5, vcc, 0, v5, vcc
	v_cmp_le_i64_e32 vcc, s[18:19], v[4:5]
	ds_write_b64 v6, v[2:3]
	s_or_b64 s[10:11], vcc, s[10:11]
	v_add_u32_e32 v6, s13, v6
	s_andn2_b64 exec, exec, s[10:11]
	s_cbranch_execnz .LBB10_4
; %bb.5:
	s_or_b64 exec, exec, s[10:11]
	v_mov_b32_e32 v12, s7
	v_mov_b32_e32 v5, s12
.LBB10_6:
	s_or_b64 exec, exec, s[8:9]
	s_load_dwordx8 s[8:15], s[4:5], 0x4e0
	v_mad_u64_u32 v[2:3], s[6:7], s6, v5, v[0:1]
	v_mov_b32_e32 v4, 0
	v_mov_b32_e32 v3, v4
	s_waitcnt lgkmcnt(0)
	v_cmp_gt_i64_e32 vcc, s[14:15], v[2:3]
	s_barrier
	s_and_saveexec_b64 s[6:7], vcc
	s_cbranch_execz .LBB10_23
; %bb.7:
	s_load_dword s26, s[4:5], 0x4d8
	s_load_dwordx2 s[24:25], s[4:5], 0x340
	s_add_u32 s28, s4, 0x340
	s_load_dword s27, s[2:3], 0x0
	s_load_dwordx2 s[22:23], s[4:5], 0x410
	s_addc_u32 s29, s5, 0
	s_waitcnt lgkmcnt(0)
	s_cmp_gt_i32 s26, 1
	s_cselect_b64 s[2:3], -1, 0
	s_sub_u32 s33, s12, s10
	s_subb_u32 s44, s13, s11
	v_mul_lo_u32 v13, s27, v5
	s_mov_b32 s27, 0
	s_add_i32 s45, s26, 1
	s_add_i32 s26, s26, -1
	s_lshl_b64 s[4:5], s[26:27], 3
	s_add_u32 s4, s28, s4
	s_addc_u32 s5, s29, s5
	s_add_u32 s28, s4, 8
	v_cndmask_b32_e64 v5, 0, 1, s[2:3]
	s_addc_u32 s29, s5, 0
	s_mov_b64 s[30:31], 0
	v_cmp_ne_u32_e64 s[2:3], 1, v5
	s_branch .LBB10_9
.LBB10_8:                               ;   in Loop: Header=BB10_9 Depth=1
	s_or_b64 exec, exec, s[34:35]
	v_add_co_u32_e32 v2, vcc, v2, v13
	v_addc_co_u32_e32 v3, vcc, 0, v3, vcc
	v_cmp_le_i64_e32 vcc, s[14:15], v[2:3]
	s_or_b64 s[30:31], vcc, s[30:31]
	s_andn2_b64 exec, exec, s[30:31]
	s_cbranch_execz .LBB10_23
.LBB10_9:                               ; =>This Loop Header: Depth=1
                                        ;     Child Loop BB10_10 Depth 2
                                        ;     Child Loop BB10_22 Depth 2
	v_mov_b32_e32 v6, 0
	v_mov_b32_e32 v9, v3
	;; [unrolled: 1-line block ×4, first 2 shown]
	s_and_b64 vcc, exec, s[2:3]
	s_mov_b64 s[34:35], s[28:29]
	s_mov_b32 s26, s45
	v_mov_b32_e32 v8, v2
	v_mov_b32_e32 v10, v2
	s_cbranch_vccnz .LBB10_16
.LBB10_10:                              ;   Parent Loop BB10_9 Depth=1
                                        ; =>  This Inner Loop Header: Depth=2
	s_load_dwordx2 s[36:37], s[34:35], 0x0
                                        ; implicit-def: $vgpr10_vgpr11
	s_waitcnt lgkmcnt(0)
	v_or_b32_e32 v5, s37, v9
	v_cmp_ne_u64_e32 vcc, 0, v[4:5]
	s_and_saveexec_b64 s[4:5], vcc
	s_xor_b64 s[38:39], exec, s[4:5]
	s_cbranch_execz .LBB10_12
; %bb.11:                               ;   in Loop: Header=BB10_10 Depth=2
	s_ashr_i32 s40, s37, 31
	s_add_u32 s4, s36, s40
	s_mov_b32 s41, s40
	s_addc_u32 s5, s37, s40
	s_xor_b64 s[42:43], s[4:5], s[40:41]
	v_cvt_f32_u32_e32 v5, s42
	v_cvt_f32_u32_e32 v10, s43
	s_sub_u32 s41, 0, s42
	s_subb_u32 s46, 0, s43
	v_mac_f32_e32 v5, 0x4f800000, v10
	v_rcp_f32_e32 v5, v5
	v_mul_f32_e32 v5, 0x5f7ffffc, v5
	v_mul_f32_e32 v10, 0x2f800000, v5
	v_trunc_f32_e32 v10, v10
	v_mac_f32_e32 v5, 0xcf800000, v10
	v_cvt_u32_f32_e32 v10, v10
	v_cvt_u32_f32_e32 v5, v5
	v_readfirstlane_b32 s47, v10
	v_readfirstlane_b32 s4, v5
	s_mul_i32 s5, s41, s47
	s_mul_hi_u32 s49, s41, s4
	s_mul_i32 s48, s46, s4
	s_add_i32 s5, s49, s5
	s_add_i32 s5, s5, s48
	s_mul_i32 s50, s41, s4
	s_mul_i32 s49, s4, s5
	s_mul_hi_u32 s51, s4, s50
	s_mul_hi_u32 s48, s4, s5
	s_add_u32 s49, s51, s49
	s_addc_u32 s48, 0, s48
	s_mul_hi_u32 s52, s47, s50
	s_mul_i32 s50, s47, s50
	s_add_u32 s49, s49, s50
	s_mul_hi_u32 s51, s47, s5
	s_addc_u32 s48, s48, s52
	s_addc_u32 s49, s51, 0
	s_mul_i32 s5, s47, s5
	s_add_u32 s5, s48, s5
	s_addc_u32 s48, 0, s49
	s_add_u32 s49, s4, s5
	s_cselect_b64 s[4:5], -1, 0
	s_cmp_lg_u64 s[4:5], 0
	s_addc_u32 s47, s47, s48
	s_mul_i32 s4, s41, s47
	s_mul_hi_u32 s5, s41, s49
	s_add_i32 s4, s5, s4
	s_mul_i32 s46, s46, s49
	s_add_i32 s4, s4, s46
	s_mul_i32 s41, s41, s49
	s_mul_hi_u32 s46, s47, s41
	s_mul_i32 s48, s47, s41
	s_mul_i32 s51, s49, s4
	s_mul_hi_u32 s41, s49, s41
	s_mul_hi_u32 s50, s49, s4
	s_add_u32 s41, s41, s51
	s_addc_u32 s50, 0, s50
	s_add_u32 s41, s41, s48
	s_mul_hi_u32 s5, s47, s4
	s_addc_u32 s41, s50, s46
	s_addc_u32 s5, s5, 0
	s_mul_i32 s4, s47, s4
	s_add_u32 s4, s41, s4
	s_addc_u32 s41, 0, s5
	s_add_u32 s46, s49, s4
	s_cselect_b64 s[4:5], -1, 0
	v_ashrrev_i32_e32 v5, 31, v9
	s_cmp_lg_u64 s[4:5], 0
	v_add_co_u32_e32 v10, vcc, v8, v5
	s_addc_u32 s41, s47, s41
	v_xor_b32_e32 v16, v10, v5
	v_mad_u64_u32 v[10:11], s[4:5], v16, s41, 0
	v_mul_hi_u32 v15, v16, s46
	v_addc_co_u32_e32 v14, vcc, v9, v5, vcc
	v_xor_b32_e32 v17, v14, v5
	v_add_co_u32_e32 v18, vcc, v15, v10
	v_addc_co_u32_e32 v19, vcc, 0, v11, vcc
	v_mad_u64_u32 v[10:11], s[4:5], v17, s46, 0
	v_mad_u64_u32 v[14:15], s[4:5], v17, s41, 0
	v_add_co_u32_e32 v10, vcc, v18, v10
	v_addc_co_u32_e32 v10, vcc, v19, v11, vcc
	v_addc_co_u32_e32 v11, vcc, 0, v15, vcc
	v_add_co_u32_e32 v14, vcc, v10, v14
	v_addc_co_u32_e32 v15, vcc, 0, v11, vcc
	v_mul_lo_u32 v18, s43, v14
	v_mul_lo_u32 v19, s42, v15
	v_mad_u64_u32 v[10:11], s[4:5], s42, v14, 0
	v_xor_b32_e32 v5, s40, v5
	v_add3_u32 v11, v11, v19, v18
	v_sub_u32_e32 v18, v17, v11
	v_mov_b32_e32 v19, s43
	v_sub_co_u32_e32 v10, vcc, v16, v10
	v_subb_co_u32_e64 v16, s[4:5], v18, v19, vcc
	v_subrev_co_u32_e64 v18, s[4:5], s42, v10
	v_subbrev_co_u32_e64 v16, s[4:5], 0, v16, s[4:5]
	v_cmp_le_u32_e64 s[4:5], s43, v16
	v_cndmask_b32_e64 v19, 0, -1, s[4:5]
	v_cmp_le_u32_e64 s[4:5], s42, v18
	v_cndmask_b32_e64 v18, 0, -1, s[4:5]
	v_cmp_eq_u32_e64 s[4:5], s43, v16
	v_cndmask_b32_e64 v16, v19, v18, s[4:5]
	v_add_co_u32_e64 v18, s[4:5], 2, v14
	v_subb_co_u32_e32 v11, vcc, v17, v11, vcc
	v_addc_co_u32_e64 v19, s[4:5], 0, v15, s[4:5]
	v_cmp_le_u32_e32 vcc, s43, v11
	v_add_co_u32_e64 v20, s[4:5], 1, v14
	v_cndmask_b32_e64 v17, 0, -1, vcc
	v_cmp_le_u32_e32 vcc, s42, v10
	v_addc_co_u32_e64 v21, s[4:5], 0, v15, s[4:5]
	v_cndmask_b32_e64 v10, 0, -1, vcc
	v_cmp_eq_u32_e32 vcc, s43, v11
	v_cmp_ne_u32_e64 s[4:5], 0, v16
	v_cndmask_b32_e32 v10, v17, v10, vcc
	v_cndmask_b32_e64 v16, v21, v19, s[4:5]
	v_cmp_ne_u32_e32 vcc, 0, v10
	v_cndmask_b32_e64 v11, v20, v18, s[4:5]
	v_cndmask_b32_e32 v10, v15, v16, vcc
	v_cndmask_b32_e32 v11, v14, v11, vcc
	v_xor_b32_e32 v14, v10, v5
	v_xor_b32_e32 v10, v11, v5
	v_sub_co_u32_e32 v10, vcc, v10, v5
	v_subb_co_u32_e32 v11, vcc, v14, v5, vcc
.LBB10_12:                              ;   in Loop: Header=BB10_10 Depth=2
	s_andn2_saveexec_b64 s[4:5], s[38:39]
	s_cbranch_execz .LBB10_14
; %bb.13:                               ;   in Loop: Header=BB10_10 Depth=2
	v_cvt_f32_u32_e32 v5, s36
	s_sub_i32 s38, 0, s36
	v_rcp_iflag_f32_e32 v5, v5
	v_mul_f32_e32 v5, 0x4f7ffffe, v5
	v_cvt_u32_f32_e32 v5, v5
	v_mul_lo_u32 v10, s38, v5
	v_mul_hi_u32 v10, v5, v10
	v_add_u32_e32 v5, v5, v10
	v_mul_hi_u32 v5, v8, v5
	v_mul_lo_u32 v10, v5, s36
	v_add_u32_e32 v11, 1, v5
	v_sub_u32_e32 v10, v8, v10
	v_subrev_u32_e32 v14, s36, v10
	v_cmp_le_u32_e32 vcc, s36, v10
	v_cndmask_b32_e32 v10, v10, v14, vcc
	v_cndmask_b32_e32 v5, v5, v11, vcc
	v_add_u32_e32 v11, 1, v5
	v_cmp_le_u32_e32 vcc, s36, v10
	v_cndmask_b32_e32 v10, v5, v11, vcc
	v_mov_b32_e32 v11, v4
.LBB10_14:                              ;   in Loop: Header=BB10_10 Depth=2
	s_or_b64 exec, exec, s[4:5]
	v_mul_lo_u32 v5, v11, s36
	v_mul_lo_u32 v16, v10, s37
	v_mad_u64_u32 v[14:15], s[4:5], v10, s36, 0
	s_load_dwordx2 s[4:5], s[34:35], 0xc8
	s_add_i32 s26, s26, -1
	v_add3_u32 v5, v15, v16, v5
	v_sub_co_u32_e32 v8, vcc, v8, v14
	v_subb_co_u32_e32 v5, vcc, v9, v5, vcc
	s_waitcnt lgkmcnt(0)
	v_mul_lo_u32 v5, s4, v5
	v_mul_lo_u32 v9, s5, v8
	v_mad_u64_u32 v[6:7], s[4:5], s4, v8, v[6:7]
	s_add_u32 s34, s34, -8
	s_addc_u32 s35, s35, -1
	s_cmp_gt_u32 s26, 2
	v_add3_u32 v7, v9, v7, v5
	s_cbranch_scc0 .LBB10_16
; %bb.15:                               ;   in Loop: Header=BB10_10 Depth=2
	v_mov_b32_e32 v8, v10
	v_mov_b32_e32 v9, v11
	s_branch .LBB10_10
.LBB10_16:                              ;   in Loop: Header=BB10_9 Depth=1
	v_mov_b32_e32 v8, s24
	v_mov_b32_e32 v9, s25
	v_mul_lo_u32 v5, s22, v11
	v_mul_lo_u32 v11, s23, v10
	v_mad_u64_u32 v[8:9], s[4:5], s22, v10, v[8:9]
	v_add3_u32 v9, v11, v9, v5
	v_add_co_u32_e32 v5, vcc, v8, v6
	v_addc_co_u32_e32 v6, vcc, v9, v7, vcc
	global_load_ubyte v5, v[5:6], off
	v_mov_b32_e32 v6, s27
	s_waitcnt vmcnt(0)
	v_and_b32_e32 v5, 0xffff, v5
	v_cmp_le_i64_e32 vcc, s[10:11], v[5:6]
	v_cmp_ge_i64_e64 s[4:5], s[12:13], v[5:6]
	s_and_b64 s[4:5], vcc, s[4:5]
	s_and_saveexec_b64 s[34:35], s[4:5]
	s_cbranch_execz .LBB10_8
; %bb.17:                               ;   in Loop: Header=BB10_9 Depth=1
	v_mov_b32_e32 v6, s11
	v_subrev_co_u32_e32 v5, vcc, s10, v5
	v_subb_co_u32_e32 v6, vcc, 0, v6, vcc
	v_mul_lo_u32 v8, v6, s8
	v_mul_lo_u32 v9, v5, s9
	v_mad_u64_u32 v[6:7], s[4:5], v5, s8, 0
	v_add3_u32 v7, v7, v9, v8
	v_or_b32_e32 v5, s44, v7
	v_cmp_ne_u64_e32 vcc, 0, v[4:5]
                                        ; implicit-def: $vgpr8_vgpr9
	s_and_saveexec_b64 s[4:5], vcc
	s_xor_b64 s[36:37], exec, s[4:5]
	s_cbranch_execz .LBB10_19
; %bb.18:                               ;   in Loop: Header=BB10_9 Depth=1
	s_ashr_i32 s38, s44, 31
	s_add_u32 s4, s33, s38
	s_mov_b32 s39, s38
	s_addc_u32 s5, s44, s38
	s_xor_b64 s[40:41], s[4:5], s[38:39]
	v_cvt_f32_u32_e32 v5, s40
	v_cvt_f32_u32_e32 v8, s41
	s_sub_u32 s26, 0, s40
	s_subb_u32 s39, 0, s41
	v_ashrrev_i32_e32 v9, 31, v7
	v_mac_f32_e32 v5, 0x4f800000, v8
	v_rcp_f32_e32 v5, v5
	v_mul_f32_e32 v5, 0x5f7ffffc, v5
	v_mul_f32_e32 v8, 0x2f800000, v5
	v_trunc_f32_e32 v8, v8
	v_mac_f32_e32 v5, 0xcf800000, v8
	v_cvt_u32_f32_e32 v8, v8
	v_cvt_u32_f32_e32 v5, v5
	v_readfirstlane_b32 s42, v8
	v_readfirstlane_b32 s4, v5
	s_mul_i32 s5, s26, s42
	s_mul_hi_u32 s46, s26, s4
	s_mul_i32 s43, s39, s4
	s_add_i32 s5, s46, s5
	s_add_i32 s5, s5, s43
	s_mul_i32 s47, s26, s4
	s_mul_i32 s46, s4, s5
	s_mul_hi_u32 s48, s4, s47
	s_mul_hi_u32 s43, s4, s5
	s_add_u32 s46, s48, s46
	s_addc_u32 s43, 0, s43
	s_mul_hi_u32 s49, s42, s47
	s_mul_i32 s47, s42, s47
	s_add_u32 s46, s46, s47
	s_mul_hi_u32 s48, s42, s5
	s_addc_u32 s43, s43, s49
	s_addc_u32 s46, s48, 0
	s_mul_i32 s5, s42, s5
	s_add_u32 s5, s43, s5
	s_addc_u32 s43, 0, s46
	s_add_u32 s46, s4, s5
	s_cselect_b64 s[4:5], -1, 0
	s_cmp_lg_u64 s[4:5], 0
	s_addc_u32 s42, s42, s43
	s_mul_i32 s4, s26, s42
	s_mul_hi_u32 s5, s26, s46
	s_add_i32 s4, s5, s4
	s_mul_i32 s39, s39, s46
	s_add_i32 s4, s4, s39
	s_mul_i32 s26, s26, s46
	s_mul_hi_u32 s39, s42, s26
	s_mul_i32 s43, s42, s26
	s_mul_i32 s48, s46, s4
	s_mul_hi_u32 s26, s46, s26
	s_mul_hi_u32 s47, s46, s4
	s_add_u32 s26, s26, s48
	s_addc_u32 s47, 0, s47
	s_add_u32 s26, s26, s43
	s_mul_hi_u32 s5, s42, s4
	s_addc_u32 s26, s47, s39
	s_addc_u32 s5, s5, 0
	s_mul_i32 s4, s42, s4
	s_add_u32 s4, s26, s4
	s_addc_u32 s26, 0, s5
	s_add_u32 s39, s46, s4
	s_cselect_b64 s[4:5], -1, 0
	s_cmp_lg_u64 s[4:5], 0
	v_add_co_u32_e32 v5, vcc, v6, v9
	s_addc_u32 s26, s42, s26
	v_xor_b32_e32 v10, v5, v9
	v_mad_u64_u32 v[5:6], s[4:5], v10, s26, 0
	v_mul_hi_u32 v8, v10, s39
	v_addc_co_u32_e32 v7, vcc, v7, v9, vcc
	v_xor_b32_e32 v11, v7, v9
	v_add_co_u32_e32 v14, vcc, v8, v5
	v_addc_co_u32_e32 v15, vcc, 0, v6, vcc
	v_mad_u64_u32 v[5:6], s[4:5], v11, s39, 0
	v_mad_u64_u32 v[7:8], s[4:5], v11, s26, 0
	v_add_co_u32_e32 v5, vcc, v14, v5
	v_addc_co_u32_e32 v5, vcc, v15, v6, vcc
	v_addc_co_u32_e32 v6, vcc, 0, v8, vcc
	v_add_co_u32_e32 v7, vcc, v5, v7
	v_addc_co_u32_e32 v5, vcc, 0, v6, vcc
	v_mul_lo_u32 v8, s41, v7
	v_mul_lo_u32 v14, s40, v5
	v_mad_u64_u32 v[5:6], s[4:5], s40, v7, 0
	v_add3_u32 v6, v6, v14, v8
	v_sub_u32_e32 v8, v11, v6
	v_mov_b32_e32 v14, s41
	v_sub_co_u32_e32 v5, vcc, v10, v5
	v_subb_co_u32_e64 v8, s[4:5], v8, v14, vcc
	v_subrev_co_u32_e64 v10, s[4:5], s40, v5
	v_subbrev_co_u32_e64 v8, s[4:5], 0, v8, s[4:5]
	v_cmp_le_u32_e64 s[4:5], s41, v8
	v_subb_co_u32_e32 v6, vcc, v11, v6, vcc
	v_cndmask_b32_e64 v14, 0, -1, s[4:5]
	v_cmp_le_u32_e64 s[4:5], s40, v10
	v_cmp_le_u32_e32 vcc, s41, v6
	v_cndmask_b32_e64 v10, 0, -1, s[4:5]
	v_cmp_eq_u32_e64 s[4:5], s41, v8
	v_cndmask_b32_e64 v11, 0, -1, vcc
	v_cmp_le_u32_e32 vcc, s40, v5
	v_cndmask_b32_e64 v8, v14, v10, s[4:5]
	v_cndmask_b32_e64 v5, 0, -1, vcc
	v_cmp_eq_u32_e32 vcc, s41, v6
	v_add_co_u32_e64 v10, s[4:5], 2, v7
	v_add_co_u32_e64 v14, s[4:5], 1, v7
	v_cndmask_b32_e32 v5, v11, v5, vcc
	v_cmp_ne_u32_e32 vcc, 0, v8
	v_cndmask_b32_e32 v6, v14, v10, vcc
	v_cmp_ne_u32_e32 vcc, 0, v5
	v_cndmask_b32_e32 v5, v7, v6, vcc
	v_xor_b32_e32 v6, s38, v9
	v_xor_b32_e32 v5, v5, v6
	v_sub_co_u32_e32 v8, vcc, v5, v6
                                        ; implicit-def: $vgpr6_vgpr7
.LBB10_19:                              ;   in Loop: Header=BB10_9 Depth=1
	s_andn2_saveexec_b64 s[4:5], s[36:37]
	s_cbranch_execz .LBB10_21
; %bb.20:                               ;   in Loop: Header=BB10_9 Depth=1
	v_cvt_f32_u32_e32 v5, s33
	s_sub_i32 s26, 0, s33
	v_rcp_iflag_f32_e32 v5, v5
	v_mul_f32_e32 v5, 0x4f7ffffe, v5
	v_cvt_u32_f32_e32 v5, v5
	v_mul_lo_u32 v7, s26, v5
	v_mul_hi_u32 v7, v5, v7
	v_add_u32_e32 v5, v5, v7
	v_mul_hi_u32 v5, v6, v5
	v_mul_lo_u32 v7, v5, s33
	v_add_u32_e32 v8, 1, v5
	v_sub_u32_e32 v6, v6, v7
	v_subrev_u32_e32 v7, s33, v6
	v_cmp_le_u32_e32 vcc, s33, v6
	v_cndmask_b32_e32 v6, v6, v7, vcc
	v_cndmask_b32_e32 v5, v5, v8, vcc
	v_add_u32_e32 v7, 1, v5
	v_cmp_le_u32_e32 vcc, s33, v6
	v_cndmask_b32_e32 v8, v5, v7, vcc
.LBB10_21:                              ;   in Loop: Header=BB10_9 Depth=1
	s_or_b64 exec, exec, s[4:5]
	v_ashrrev_i32_e32 v9, 31, v8
	v_cmp_eq_u64_e32 vcc, s[8:9], v[8:9]
	s_mov_b64 s[4:5], 0
	v_subbrev_co_u32_e32 v5, vcc, 0, v8, vcc
	v_lshl_add_u32 v7, v5, 3, 0
	ds_read_b64 v[5:6], v7
.LBB10_22:                              ;   Parent Loop BB10_9 Depth=1
                                        ; =>  This Inner Loop Header: Depth=2
	s_waitcnt lgkmcnt(0)
	v_add_f64 v[8:9], v[5:6], 1.0
	ds_cmpst_rtn_b64 v[8:9], v7, v[5:6], v[8:9]
	s_waitcnt lgkmcnt(0)
	v_cmp_eq_u64_e32 vcc, v[8:9], v[5:6]
	v_mov_b32_e32 v5, v8
	s_or_b64 s[4:5], vcc, s[4:5]
	v_mov_b32_e32 v6, v9
	s_andn2_b64 exec, exec, s[4:5]
	s_cbranch_execnz .LBB10_22
	s_branch .LBB10_8
.LBB10_23:
	s_or_b64 exec, exec, s[6:7]
; %bb.24:
	s_barrier
	s_and_saveexec_b64 s[2:3], s[0:1]
	s_cbranch_execz .LBB10_29
; %bb.25:
	v_and_b32_e32 v10, 0xffff, v12
	s_mov_b64 s[0:1], 0
	v_mov_b32_e32 v11, s17
.LBB10_26:                              ; =>This Loop Header: Depth=1
                                        ;     Child Loop BB10_27 Depth 2
	v_mul_lo_u32 v4, v1, s20
	v_mul_lo_u32 v5, v0, s21
	v_mad_u64_u32 v[2:3], s[2:3], v0, s20, 0
	s_mov_b64 s[2:3], 0
	v_add3_u32 v3, v3, v5, v4
	v_lshlrev_b64 v[2:3], 3, v[2:3]
	v_add_co_u32_e32 v6, vcc, s16, v2
	v_addc_co_u32_e32 v7, vcc, v11, v3, vcc
	global_load_dwordx2 v[4:5], v[6:7], off
	v_lshl_add_u32 v2, v0, 3, 0
	ds_read_b64 v[8:9], v2
.LBB10_27:                              ;   Parent Loop BB10_26 Depth=1
                                        ; =>  This Inner Loop Header: Depth=2
	s_waitcnt vmcnt(0) lgkmcnt(0)
	v_add_f64 v[2:3], v[4:5], v[8:9]
	global_atomic_cmpswap_x2 v[2:3], v[6:7], v[2:5], off glc
	s_waitcnt vmcnt(0)
	v_cmp_eq_u64_e32 vcc, v[2:3], v[4:5]
	v_mov_b32_e32 v5, v3
	s_or_b64 s[2:3], vcc, s[2:3]
	v_mov_b32_e32 v4, v2
	s_andn2_b64 exec, exec, s[2:3]
	s_cbranch_execnz .LBB10_27
; %bb.28:                               ;   in Loop: Header=BB10_26 Depth=1
	s_or_b64 exec, exec, s[2:3]
	v_add_co_u32_e32 v0, vcc, v0, v10
	v_addc_co_u32_e32 v1, vcc, 0, v1, vcc
	v_cmp_le_i64_e32 vcc, s[18:19], v[0:1]
	s_or_b64 s[0:1], vcc, s[0:1]
	s_andn2_b64 exec, exec, s[0:1]
	s_cbranch_execnz .LBB10_26
.LBB10_29:
	s_endpgm
	.section	.rodata,"a",@progbits
	.p2align	6, 0x0
	.amdhsa_kernel _ZN2at4cuda17kernelHistogram1DIdhlLi1ELi2ELin1ELNS0_23CUDAHistogramMemoryTypeE0EZNS0_21CUDA_tensor_histogramIdhLb1EEEbNS_6TensorES4_S4_lNS_14AccumulateTypeIT0_Lb1EE4typeES8_NS0_13TensorArgTypeES9_S9_EUllE0_EEvNS0_6detail10TensorInfoIT_T1_EESF_NSC_IKS6_SE_EElS8_S8_SE_T6_
		.amdhsa_group_segment_fixed_size 0
		.amdhsa_private_segment_fixed_size 0
		.amdhsa_kernarg_size 1544
		.amdhsa_user_sgpr_count 6
		.amdhsa_user_sgpr_private_segment_buffer 1
		.amdhsa_user_sgpr_dispatch_ptr 0
		.amdhsa_user_sgpr_queue_ptr 0
		.amdhsa_user_sgpr_kernarg_segment_ptr 1
		.amdhsa_user_sgpr_dispatch_id 0
		.amdhsa_user_sgpr_flat_scratch_init 0
		.amdhsa_user_sgpr_private_segment_size 0
		.amdhsa_uses_dynamic_stack 0
		.amdhsa_system_sgpr_private_segment_wavefront_offset 0
		.amdhsa_system_sgpr_workgroup_id_x 1
		.amdhsa_system_sgpr_workgroup_id_y 0
		.amdhsa_system_sgpr_workgroup_id_z 0
		.amdhsa_system_sgpr_workgroup_info 0
		.amdhsa_system_vgpr_workitem_id 0
		.amdhsa_next_free_vgpr 22
		.amdhsa_next_free_sgpr 53
		.amdhsa_reserve_vcc 1
		.amdhsa_reserve_flat_scratch 0
		.amdhsa_float_round_mode_32 0
		.amdhsa_float_round_mode_16_64 0
		.amdhsa_float_denorm_mode_32 3
		.amdhsa_float_denorm_mode_16_64 3
		.amdhsa_dx10_clamp 1
		.amdhsa_ieee_mode 1
		.amdhsa_fp16_overflow 0
		.amdhsa_exception_fp_ieee_invalid_op 0
		.amdhsa_exception_fp_denorm_src 0
		.amdhsa_exception_fp_ieee_div_zero 0
		.amdhsa_exception_fp_ieee_overflow 0
		.amdhsa_exception_fp_ieee_underflow 0
		.amdhsa_exception_fp_ieee_inexact 0
		.amdhsa_exception_int_div_zero 0
	.end_amdhsa_kernel
	.section	.text._ZN2at4cuda17kernelHistogram1DIdhlLi1ELi2ELin1ELNS0_23CUDAHistogramMemoryTypeE0EZNS0_21CUDA_tensor_histogramIdhLb1EEEbNS_6TensorES4_S4_lNS_14AccumulateTypeIT0_Lb1EE4typeES8_NS0_13TensorArgTypeES9_S9_EUllE0_EEvNS0_6detail10TensorInfoIT_T1_EESF_NSC_IKS6_SE_EElS8_S8_SE_T6_,"axG",@progbits,_ZN2at4cuda17kernelHistogram1DIdhlLi1ELi2ELin1ELNS0_23CUDAHistogramMemoryTypeE0EZNS0_21CUDA_tensor_histogramIdhLb1EEEbNS_6TensorES4_S4_lNS_14AccumulateTypeIT0_Lb1EE4typeES8_NS0_13TensorArgTypeES9_S9_EUllE0_EEvNS0_6detail10TensorInfoIT_T1_EESF_NSC_IKS6_SE_EElS8_S8_SE_T6_,comdat
.Lfunc_end10:
	.size	_ZN2at4cuda17kernelHistogram1DIdhlLi1ELi2ELin1ELNS0_23CUDAHistogramMemoryTypeE0EZNS0_21CUDA_tensor_histogramIdhLb1EEEbNS_6TensorES4_S4_lNS_14AccumulateTypeIT0_Lb1EE4typeES8_NS0_13TensorArgTypeES9_S9_EUllE0_EEvNS0_6detail10TensorInfoIT_T1_EESF_NSC_IKS6_SE_EElS8_S8_SE_T6_, .Lfunc_end10-_ZN2at4cuda17kernelHistogram1DIdhlLi1ELi2ELin1ELNS0_23CUDAHistogramMemoryTypeE0EZNS0_21CUDA_tensor_histogramIdhLb1EEEbNS_6TensorES4_S4_lNS_14AccumulateTypeIT0_Lb1EE4typeES8_NS0_13TensorArgTypeES9_S9_EUllE0_EEvNS0_6detail10TensorInfoIT_T1_EESF_NSC_IKS6_SE_EElS8_S8_SE_T6_
                                        ; -- End function
	.set _ZN2at4cuda17kernelHistogram1DIdhlLi1ELi2ELin1ELNS0_23CUDAHistogramMemoryTypeE0EZNS0_21CUDA_tensor_histogramIdhLb1EEEbNS_6TensorES4_S4_lNS_14AccumulateTypeIT0_Lb1EE4typeES8_NS0_13TensorArgTypeES9_S9_EUllE0_EEvNS0_6detail10TensorInfoIT_T1_EESF_NSC_IKS6_SE_EElS8_S8_SE_T6_.num_vgpr, 22
	.set _ZN2at4cuda17kernelHistogram1DIdhlLi1ELi2ELin1ELNS0_23CUDAHistogramMemoryTypeE0EZNS0_21CUDA_tensor_histogramIdhLb1EEEbNS_6TensorES4_S4_lNS_14AccumulateTypeIT0_Lb1EE4typeES8_NS0_13TensorArgTypeES9_S9_EUllE0_EEvNS0_6detail10TensorInfoIT_T1_EESF_NSC_IKS6_SE_EElS8_S8_SE_T6_.num_agpr, 0
	.set _ZN2at4cuda17kernelHistogram1DIdhlLi1ELi2ELin1ELNS0_23CUDAHistogramMemoryTypeE0EZNS0_21CUDA_tensor_histogramIdhLb1EEEbNS_6TensorES4_S4_lNS_14AccumulateTypeIT0_Lb1EE4typeES8_NS0_13TensorArgTypeES9_S9_EUllE0_EEvNS0_6detail10TensorInfoIT_T1_EESF_NSC_IKS6_SE_EElS8_S8_SE_T6_.numbered_sgpr, 53
	.set _ZN2at4cuda17kernelHistogram1DIdhlLi1ELi2ELin1ELNS0_23CUDAHistogramMemoryTypeE0EZNS0_21CUDA_tensor_histogramIdhLb1EEEbNS_6TensorES4_S4_lNS_14AccumulateTypeIT0_Lb1EE4typeES8_NS0_13TensorArgTypeES9_S9_EUllE0_EEvNS0_6detail10TensorInfoIT_T1_EESF_NSC_IKS6_SE_EElS8_S8_SE_T6_.num_named_barrier, 0
	.set _ZN2at4cuda17kernelHistogram1DIdhlLi1ELi2ELin1ELNS0_23CUDAHistogramMemoryTypeE0EZNS0_21CUDA_tensor_histogramIdhLb1EEEbNS_6TensorES4_S4_lNS_14AccumulateTypeIT0_Lb1EE4typeES8_NS0_13TensorArgTypeES9_S9_EUllE0_EEvNS0_6detail10TensorInfoIT_T1_EESF_NSC_IKS6_SE_EElS8_S8_SE_T6_.private_seg_size, 0
	.set _ZN2at4cuda17kernelHistogram1DIdhlLi1ELi2ELin1ELNS0_23CUDAHistogramMemoryTypeE0EZNS0_21CUDA_tensor_histogramIdhLb1EEEbNS_6TensorES4_S4_lNS_14AccumulateTypeIT0_Lb1EE4typeES8_NS0_13TensorArgTypeES9_S9_EUllE0_EEvNS0_6detail10TensorInfoIT_T1_EESF_NSC_IKS6_SE_EElS8_S8_SE_T6_.uses_vcc, 1
	.set _ZN2at4cuda17kernelHistogram1DIdhlLi1ELi2ELin1ELNS0_23CUDAHistogramMemoryTypeE0EZNS0_21CUDA_tensor_histogramIdhLb1EEEbNS_6TensorES4_S4_lNS_14AccumulateTypeIT0_Lb1EE4typeES8_NS0_13TensorArgTypeES9_S9_EUllE0_EEvNS0_6detail10TensorInfoIT_T1_EESF_NSC_IKS6_SE_EElS8_S8_SE_T6_.uses_flat_scratch, 0
	.set _ZN2at4cuda17kernelHistogram1DIdhlLi1ELi2ELin1ELNS0_23CUDAHistogramMemoryTypeE0EZNS0_21CUDA_tensor_histogramIdhLb1EEEbNS_6TensorES4_S4_lNS_14AccumulateTypeIT0_Lb1EE4typeES8_NS0_13TensorArgTypeES9_S9_EUllE0_EEvNS0_6detail10TensorInfoIT_T1_EESF_NSC_IKS6_SE_EElS8_S8_SE_T6_.has_dyn_sized_stack, 0
	.set _ZN2at4cuda17kernelHistogram1DIdhlLi1ELi2ELin1ELNS0_23CUDAHistogramMemoryTypeE0EZNS0_21CUDA_tensor_histogramIdhLb1EEEbNS_6TensorES4_S4_lNS_14AccumulateTypeIT0_Lb1EE4typeES8_NS0_13TensorArgTypeES9_S9_EUllE0_EEvNS0_6detail10TensorInfoIT_T1_EESF_NSC_IKS6_SE_EElS8_S8_SE_T6_.has_recursion, 0
	.set _ZN2at4cuda17kernelHistogram1DIdhlLi1ELi2ELin1ELNS0_23CUDAHistogramMemoryTypeE0EZNS0_21CUDA_tensor_histogramIdhLb1EEEbNS_6TensorES4_S4_lNS_14AccumulateTypeIT0_Lb1EE4typeES8_NS0_13TensorArgTypeES9_S9_EUllE0_EEvNS0_6detail10TensorInfoIT_T1_EESF_NSC_IKS6_SE_EElS8_S8_SE_T6_.has_indirect_call, 0
	.section	.AMDGPU.csdata,"",@progbits
; Kernel info:
; codeLenInByte = 2408
; TotalNumSgprs: 57
; NumVgprs: 22
; ScratchSize: 0
; MemoryBound: 0
; FloatMode: 240
; IeeeMode: 1
; LDSByteSize: 0 bytes/workgroup (compile time only)
; SGPRBlocks: 7
; VGPRBlocks: 5
; NumSGPRsForWavesPerEU: 57
; NumVGPRsForWavesPerEU: 22
; Occupancy: 10
; WaveLimiterHint : 1
; COMPUTE_PGM_RSRC2:SCRATCH_EN: 0
; COMPUTE_PGM_RSRC2:USER_SGPR: 6
; COMPUTE_PGM_RSRC2:TRAP_HANDLER: 0
; COMPUTE_PGM_RSRC2:TGID_X_EN: 1
; COMPUTE_PGM_RSRC2:TGID_Y_EN: 0
; COMPUTE_PGM_RSRC2:TGID_Z_EN: 0
; COMPUTE_PGM_RSRC2:TIDIG_COMP_CNT: 0
	.section	.text._ZN2at4cuda17kernelHistogram1DIdhlLi1ELi2ELin1ELNS0_23CUDAHistogramMemoryTypeE1EZNS0_21CUDA_tensor_histogramIdhLb1EEEbNS_6TensorES4_S4_lNS_14AccumulateTypeIT0_Lb1EE4typeES8_NS0_13TensorArgTypeES9_S9_EUllE0_EEvNS0_6detail10TensorInfoIT_T1_EESF_NSC_IKS6_SE_EElS8_S8_SE_T6_,"axG",@progbits,_ZN2at4cuda17kernelHistogram1DIdhlLi1ELi2ELin1ELNS0_23CUDAHistogramMemoryTypeE1EZNS0_21CUDA_tensor_histogramIdhLb1EEEbNS_6TensorES4_S4_lNS_14AccumulateTypeIT0_Lb1EE4typeES8_NS0_13TensorArgTypeES9_S9_EUllE0_EEvNS0_6detail10TensorInfoIT_T1_EESF_NSC_IKS6_SE_EElS8_S8_SE_T6_,comdat
	.protected	_ZN2at4cuda17kernelHistogram1DIdhlLi1ELi2ELin1ELNS0_23CUDAHistogramMemoryTypeE1EZNS0_21CUDA_tensor_histogramIdhLb1EEEbNS_6TensorES4_S4_lNS_14AccumulateTypeIT0_Lb1EE4typeES8_NS0_13TensorArgTypeES9_S9_EUllE0_EEvNS0_6detail10TensorInfoIT_T1_EESF_NSC_IKS6_SE_EElS8_S8_SE_T6_ ; -- Begin function _ZN2at4cuda17kernelHistogram1DIdhlLi1ELi2ELin1ELNS0_23CUDAHistogramMemoryTypeE1EZNS0_21CUDA_tensor_histogramIdhLb1EEEbNS_6TensorES4_S4_lNS_14AccumulateTypeIT0_Lb1EE4typeES8_NS0_13TensorArgTypeES9_S9_EUllE0_EEvNS0_6detail10TensorInfoIT_T1_EESF_NSC_IKS6_SE_EElS8_S8_SE_T6_
	.globl	_ZN2at4cuda17kernelHistogram1DIdhlLi1ELi2ELin1ELNS0_23CUDAHistogramMemoryTypeE1EZNS0_21CUDA_tensor_histogramIdhLb1EEEbNS_6TensorES4_S4_lNS_14AccumulateTypeIT0_Lb1EE4typeES8_NS0_13TensorArgTypeES9_S9_EUllE0_EEvNS0_6detail10TensorInfoIT_T1_EESF_NSC_IKS6_SE_EElS8_S8_SE_T6_
	.p2align	8
	.type	_ZN2at4cuda17kernelHistogram1DIdhlLi1ELi2ELin1ELNS0_23CUDAHistogramMemoryTypeE1EZNS0_21CUDA_tensor_histogramIdhLb1EEEbNS_6TensorES4_S4_lNS_14AccumulateTypeIT0_Lb1EE4typeES8_NS0_13TensorArgTypeES9_S9_EUllE0_EEvNS0_6detail10TensorInfoIT_T1_EESF_NSC_IKS6_SE_EElS8_S8_SE_T6_,@function
_ZN2at4cuda17kernelHistogram1DIdhlLi1ELi2ELin1ELNS0_23CUDAHistogramMemoryTypeE1EZNS0_21CUDA_tensor_histogramIdhLb1EEEbNS_6TensorES4_S4_lNS_14AccumulateTypeIT0_Lb1EE4typeES8_NS0_13TensorArgTypeES9_S9_EUllE0_EEvNS0_6detail10TensorInfoIT_T1_EESF_NSC_IKS6_SE_EElS8_S8_SE_T6_: ; @_ZN2at4cuda17kernelHistogram1DIdhlLi1ELi2ELin1ELNS0_23CUDAHistogramMemoryTypeE1EZNS0_21CUDA_tensor_histogramIdhLb1EEEbNS_6TensorES4_S4_lNS_14AccumulateTypeIT0_Lb1EE4typeES8_NS0_13TensorArgTypeES9_S9_EUllE0_EEvNS0_6detail10TensorInfoIT_T1_EESF_NSC_IKS6_SE_EElS8_S8_SE_T6_
; %bb.0:
	s_load_dword s2, s[4:5], 0x514
	s_load_dwordx8 s[8:15], s[4:5], 0x4e0
	s_add_u32 s0, s4, 0x508
	s_addc_u32 s1, s5, 0
	v_mov_b32_e32 v6, 0
	s_waitcnt lgkmcnt(0)
	s_and_b32 s2, s2, 0xffff
	s_mul_i32 s6, s6, s2
	v_add_u32_e32 v4, s6, v0
	v_mov_b32_e32 v5, v6
	v_cmp_gt_i64_e32 vcc, s[14:15], v[4:5]
	s_and_saveexec_b64 s[6:7], vcc
	s_cbranch_execz .LBB11_17
; %bb.1:
	s_load_dword s3, s[4:5], 0x4d8
	s_add_u32 s22, s4, 0x340
	s_load_dword s23, s[0:1], 0x0
	s_addc_u32 s24, s5, 0
	s_load_dwordx2 s[6:7], s[4:5], 0x0
	s_load_dwordx2 s[16:17], s[4:5], 0xd0
	;; [unrolled: 1-line block ×4, first 2 shown]
	s_waitcnt lgkmcnt(0)
	s_cmp_gt_i32 s3, 1
	s_cselect_b64 s[0:1], -1, 0
	s_sub_u32 s33, s12, s10
	s_subb_u32 s38, s13, s11
	s_mov_b32 s5, 0
	s_add_i32 s4, s3, -1
	s_mul_i32 s39, s23, s2
	s_add_i32 s40, s3, 1
	s_lshl_b64 s[2:3], s[4:5], 3
	s_add_u32 s2, s22, s2
	s_addc_u32 s3, s24, s3
	s_add_u32 s22, s2, 8
	v_cndmask_b32_e64 v0, 0, 1, s[0:1]
	s_addc_u32 s23, s3, 0
	s_mov_b64 s[24:25], 0
	v_cmp_ne_u32_e64 s[0:1], 1, v0
	s_branch .LBB11_3
.LBB11_2:                               ;   in Loop: Header=BB11_3 Depth=1
	s_or_b64 exec, exec, s[26:27]
	v_add_co_u32_e32 v4, vcc, s39, v4
	v_addc_co_u32_e32 v5, vcc, 0, v5, vcc
	v_cmp_le_i64_e32 vcc, s[14:15], v[4:5]
	s_or_b64 s[24:25], vcc, s[24:25]
	s_andn2_b64 exec, exec, s[24:25]
	s_cbranch_execz .LBB11_17
.LBB11_3:                               ; =>This Loop Header: Depth=1
                                        ;     Child Loop BB11_4 Depth 2
                                        ;     Child Loop BB11_16 Depth 2
	v_mov_b32_e32 v0, 0
	v_mov_b32_e32 v2, v4
	;; [unrolled: 1-line block ×4, first 2 shown]
	s_and_b64 vcc, exec, s[0:1]
	s_mov_b64 s[26:27], s[22:23]
	s_mov_b32 s4, s40
	v_mov_b32_e32 v3, v5
	v_mov_b32_e32 v7, v4
	s_cbranch_vccnz .LBB11_10
.LBB11_4:                               ;   Parent Loop BB11_3 Depth=1
                                        ; =>  This Inner Loop Header: Depth=2
	s_load_dwordx2 s[28:29], s[26:27], 0x0
	s_waitcnt lgkmcnt(0)
	v_or_b32_e32 v7, s29, v3
	v_cmp_ne_u64_e32 vcc, 0, v[6:7]
                                        ; implicit-def: $vgpr7_vgpr8
	s_and_saveexec_b64 s[2:3], vcc
	s_xor_b64 s[30:31], exec, s[2:3]
	s_cbranch_execz .LBB11_6
; %bb.5:                                ;   in Loop: Header=BB11_4 Depth=2
	s_ashr_i32 s34, s29, 31
	s_add_u32 s2, s28, s34
	s_mov_b32 s35, s34
	s_addc_u32 s3, s29, s34
	s_xor_b64 s[36:37], s[2:3], s[34:35]
	v_cvt_f32_u32_e32 v7, s36
	v_cvt_f32_u32_e32 v8, s37
	s_sub_u32 s35, 0, s36
	s_subb_u32 s41, 0, s37
	v_ashrrev_i32_e32 v11, 31, v3
	v_mac_f32_e32 v7, 0x4f800000, v8
	v_rcp_f32_e32 v7, v7
	v_mul_f32_e32 v7, 0x5f7ffffc, v7
	v_mul_f32_e32 v8, 0x2f800000, v7
	v_trunc_f32_e32 v8, v8
	v_mac_f32_e32 v7, 0xcf800000, v8
	v_cvt_u32_f32_e32 v8, v8
	v_cvt_u32_f32_e32 v7, v7
	v_readfirstlane_b32 s42, v8
	v_readfirstlane_b32 s2, v7
	s_mul_i32 s3, s35, s42
	s_mul_hi_u32 s44, s35, s2
	s_mul_i32 s43, s41, s2
	s_add_i32 s3, s44, s3
	s_add_i32 s3, s3, s43
	s_mul_i32 s45, s35, s2
	s_mul_i32 s44, s2, s3
	s_mul_hi_u32 s46, s2, s45
	s_mul_hi_u32 s43, s2, s3
	s_add_u32 s44, s46, s44
	s_addc_u32 s43, 0, s43
	s_mul_hi_u32 s47, s42, s45
	s_mul_i32 s45, s42, s45
	s_add_u32 s44, s44, s45
	s_mul_hi_u32 s46, s42, s3
	s_addc_u32 s43, s43, s47
	s_addc_u32 s44, s46, 0
	s_mul_i32 s3, s42, s3
	s_add_u32 s3, s43, s3
	s_addc_u32 s43, 0, s44
	s_add_u32 s44, s2, s3
	s_cselect_b64 s[2:3], -1, 0
	s_cmp_lg_u64 s[2:3], 0
	s_addc_u32 s42, s42, s43
	s_mul_i32 s2, s35, s42
	s_mul_hi_u32 s3, s35, s44
	s_add_i32 s2, s3, s2
	s_mul_i32 s41, s41, s44
	s_add_i32 s2, s2, s41
	s_mul_i32 s35, s35, s44
	s_mul_hi_u32 s41, s42, s35
	s_mul_i32 s43, s42, s35
	s_mul_i32 s46, s44, s2
	s_mul_hi_u32 s35, s44, s35
	s_mul_hi_u32 s45, s44, s2
	s_add_u32 s35, s35, s46
	s_addc_u32 s45, 0, s45
	s_add_u32 s35, s35, s43
	s_mul_hi_u32 s3, s42, s2
	s_addc_u32 s35, s45, s41
	s_addc_u32 s3, s3, 0
	s_mul_i32 s2, s42, s2
	s_add_u32 s2, s35, s2
	s_addc_u32 s35, 0, s3
	s_add_u32 s41, s44, s2
	s_cselect_b64 s[2:3], -1, 0
	s_cmp_lg_u64 s[2:3], 0
	v_add_co_u32_e32 v7, vcc, v2, v11
	s_addc_u32 s35, s42, s35
	v_xor_b32_e32 v12, v7, v11
	v_mad_u64_u32 v[7:8], s[2:3], v12, s35, 0
	v_mul_hi_u32 v10, v12, s41
	v_addc_co_u32_e32 v9, vcc, v3, v11, vcc
	v_xor_b32_e32 v13, v9, v11
	v_add_co_u32_e32 v14, vcc, v10, v7
	v_addc_co_u32_e32 v15, vcc, 0, v8, vcc
	v_mad_u64_u32 v[7:8], s[2:3], v13, s41, 0
	v_mad_u64_u32 v[9:10], s[2:3], v13, s35, 0
	v_add_co_u32_e32 v7, vcc, v14, v7
	v_addc_co_u32_e32 v7, vcc, v15, v8, vcc
	v_addc_co_u32_e32 v8, vcc, 0, v10, vcc
	v_add_co_u32_e32 v9, vcc, v7, v9
	v_addc_co_u32_e32 v10, vcc, 0, v8, vcc
	v_mul_lo_u32 v14, s37, v9
	v_mul_lo_u32 v15, s36, v10
	v_mad_u64_u32 v[7:8], s[2:3], s36, v9, 0
	v_add3_u32 v8, v8, v15, v14
	v_sub_u32_e32 v14, v13, v8
	v_mov_b32_e32 v15, s37
	v_sub_co_u32_e32 v7, vcc, v12, v7
	v_subb_co_u32_e64 v12, s[2:3], v14, v15, vcc
	v_subrev_co_u32_e64 v14, s[2:3], s36, v7
	v_subbrev_co_u32_e64 v12, s[2:3], 0, v12, s[2:3]
	v_cmp_le_u32_e64 s[2:3], s37, v12
	v_cndmask_b32_e64 v15, 0, -1, s[2:3]
	v_cmp_le_u32_e64 s[2:3], s36, v14
	v_cndmask_b32_e64 v14, 0, -1, s[2:3]
	v_cmp_eq_u32_e64 s[2:3], s37, v12
	v_cndmask_b32_e64 v12, v15, v14, s[2:3]
	v_add_co_u32_e64 v14, s[2:3], 2, v9
	v_subb_co_u32_e32 v8, vcc, v13, v8, vcc
	v_addc_co_u32_e64 v15, s[2:3], 0, v10, s[2:3]
	v_cmp_le_u32_e32 vcc, s37, v8
	v_add_co_u32_e64 v16, s[2:3], 1, v9
	v_cndmask_b32_e64 v13, 0, -1, vcc
	v_cmp_le_u32_e32 vcc, s36, v7
	v_addc_co_u32_e64 v17, s[2:3], 0, v10, s[2:3]
	v_cndmask_b32_e64 v7, 0, -1, vcc
	v_cmp_eq_u32_e32 vcc, s37, v8
	v_cmp_ne_u32_e64 s[2:3], 0, v12
	v_cndmask_b32_e32 v7, v13, v7, vcc
	v_cndmask_b32_e64 v12, v17, v15, s[2:3]
	v_cmp_ne_u32_e32 vcc, 0, v7
	v_cndmask_b32_e64 v8, v16, v14, s[2:3]
	v_cndmask_b32_e32 v7, v10, v12, vcc
	v_cndmask_b32_e32 v8, v9, v8, vcc
	v_xor_b32_e32 v9, s34, v11
	v_xor_b32_e32 v10, v7, v9
	;; [unrolled: 1-line block ×3, first 2 shown]
	v_sub_co_u32_e32 v7, vcc, v7, v9
	v_subb_co_u32_e32 v8, vcc, v10, v9, vcc
.LBB11_6:                               ;   in Loop: Header=BB11_4 Depth=2
	s_andn2_saveexec_b64 s[2:3], s[30:31]
	s_cbranch_execz .LBB11_8
; %bb.7:                                ;   in Loop: Header=BB11_4 Depth=2
	v_cvt_f32_u32_e32 v7, s28
	s_sub_i32 s30, 0, s28
	v_rcp_iflag_f32_e32 v7, v7
	v_mul_f32_e32 v7, 0x4f7ffffe, v7
	v_cvt_u32_f32_e32 v7, v7
	v_mul_lo_u32 v8, s30, v7
	v_mul_hi_u32 v8, v7, v8
	v_add_u32_e32 v7, v7, v8
	v_mul_hi_u32 v7, v2, v7
	v_mul_lo_u32 v8, v7, s28
	v_add_u32_e32 v9, 1, v7
	v_sub_u32_e32 v8, v2, v8
	v_subrev_u32_e32 v10, s28, v8
	v_cmp_le_u32_e32 vcc, s28, v8
	v_cndmask_b32_e32 v8, v8, v10, vcc
	v_cndmask_b32_e32 v7, v7, v9, vcc
	v_add_u32_e32 v9, 1, v7
	v_cmp_le_u32_e32 vcc, s28, v8
	v_cndmask_b32_e32 v7, v7, v9, vcc
	v_mov_b32_e32 v8, v6
.LBB11_8:                               ;   in Loop: Header=BB11_4 Depth=2
	s_or_b64 exec, exec, s[2:3]
	v_mul_lo_u32 v11, v8, s28
	v_mul_lo_u32 v12, v7, s29
	v_mad_u64_u32 v[9:10], s[2:3], v7, s28, 0
	s_load_dwordx2 s[2:3], s[26:27], 0xc8
	s_add_i32 s4, s4, -1
	v_add3_u32 v10, v10, v12, v11
	v_sub_co_u32_e32 v2, vcc, v2, v9
	v_subb_co_u32_e32 v3, vcc, v3, v10, vcc
	s_waitcnt lgkmcnt(0)
	v_mul_lo_u32 v3, s2, v3
	v_mul_lo_u32 v9, s3, v2
	v_mad_u64_u32 v[0:1], s[2:3], s2, v2, v[0:1]
	s_add_u32 s26, s26, -8
	s_addc_u32 s27, s27, -1
	s_cmp_gt_u32 s4, 2
	v_add3_u32 v1, v9, v1, v3
	s_cbranch_scc0 .LBB11_10
; %bb.9:                                ;   in Loop: Header=BB11_4 Depth=2
	v_mov_b32_e32 v2, v7
	v_mov_b32_e32 v3, v8
	s_branch .LBB11_4
.LBB11_10:                              ;   in Loop: Header=BB11_3 Depth=1
	v_mov_b32_e32 v2, s20
	v_mov_b32_e32 v3, s21
	v_mul_lo_u32 v8, s18, v8
	v_mul_lo_u32 v9, s19, v7
	v_mad_u64_u32 v[2:3], s[2:3], s18, v7, v[2:3]
	v_add3_u32 v3, v9, v3, v8
	v_add_co_u32_e32 v0, vcc, v2, v0
	v_addc_co_u32_e32 v1, vcc, v3, v1, vcc
	global_load_ubyte v0, v[0:1], off
	v_mov_b32_e32 v1, s5
	s_waitcnt vmcnt(0)
	v_and_b32_e32 v0, 0xffff, v0
	v_cmp_le_i64_e32 vcc, s[10:11], v[0:1]
	v_cmp_ge_i64_e64 s[2:3], s[12:13], v[0:1]
	s_and_b64 s[2:3], vcc, s[2:3]
	s_and_saveexec_b64 s[26:27], s[2:3]
	s_cbranch_execz .LBB11_2
; %bb.11:                               ;   in Loop: Header=BB11_3 Depth=1
	v_mov_b32_e32 v1, s11
	v_subrev_co_u32_e32 v0, vcc, s10, v0
	v_subb_co_u32_e32 v1, vcc, 0, v1, vcc
	v_mul_lo_u32 v2, v1, s8
	v_mul_lo_u32 v3, v0, s9
	v_mad_u64_u32 v[0:1], s[2:3], v0, s8, 0
	v_add3_u32 v1, v1, v3, v2
	v_or_b32_e32 v7, s38, v1
	v_cmp_ne_u64_e32 vcc, 0, v[6:7]
                                        ; implicit-def: $vgpr2_vgpr3
	s_and_saveexec_b64 s[2:3], vcc
	s_xor_b64 s[28:29], exec, s[2:3]
	s_cbranch_execz .LBB11_13
; %bb.12:                               ;   in Loop: Header=BB11_3 Depth=1
	s_ashr_i32 s30, s38, 31
	s_add_u32 s2, s33, s30
	s_mov_b32 s31, s30
	s_addc_u32 s3, s38, s30
	s_xor_b64 s[34:35], s[2:3], s[30:31]
	v_cvt_f32_u32_e32 v2, s34
	v_cvt_f32_u32_e32 v3, s35
	s_sub_u32 s4, 0, s34
	s_subb_u32 s31, 0, s35
	v_ashrrev_i32_e32 v7, 31, v1
	v_mac_f32_e32 v2, 0x4f800000, v3
	v_rcp_f32_e32 v2, v2
	v_add_co_u32_e32 v0, vcc, v0, v7
	v_xor_b32_e32 v8, v0, v7
	v_mul_f32_e32 v2, 0x5f7ffffc, v2
	v_mul_f32_e32 v3, 0x2f800000, v2
	v_trunc_f32_e32 v3, v3
	v_mac_f32_e32 v2, 0xcf800000, v3
	v_cvt_u32_f32_e32 v3, v3
	v_cvt_u32_f32_e32 v2, v2
	v_readfirstlane_b32 s36, v3
	v_readfirstlane_b32 s2, v2
	s_mul_i32 s3, s4, s36
	s_mul_hi_u32 s41, s4, s2
	s_mul_i32 s37, s31, s2
	s_add_i32 s3, s41, s3
	s_add_i32 s3, s3, s37
	s_mul_i32 s42, s4, s2
	s_mul_i32 s41, s2, s3
	s_mul_hi_u32 s43, s2, s42
	s_mul_hi_u32 s37, s2, s3
	s_add_u32 s41, s43, s41
	s_addc_u32 s37, 0, s37
	s_mul_hi_u32 s44, s36, s42
	s_mul_i32 s42, s36, s42
	s_add_u32 s41, s41, s42
	s_mul_hi_u32 s43, s36, s3
	s_addc_u32 s37, s37, s44
	s_addc_u32 s41, s43, 0
	s_mul_i32 s3, s36, s3
	s_add_u32 s3, s37, s3
	s_addc_u32 s37, 0, s41
	s_add_u32 s41, s2, s3
	s_cselect_b64 s[2:3], -1, 0
	s_cmp_lg_u64 s[2:3], 0
	s_addc_u32 s36, s36, s37
	s_mul_i32 s2, s4, s36
	s_mul_hi_u32 s3, s4, s41
	s_add_i32 s2, s3, s2
	s_mul_i32 s31, s31, s41
	s_add_i32 s2, s2, s31
	s_mul_i32 s4, s4, s41
	s_mul_hi_u32 s31, s36, s4
	s_mul_i32 s37, s36, s4
	s_mul_i32 s43, s41, s2
	s_mul_hi_u32 s4, s41, s4
	s_mul_hi_u32 s42, s41, s2
	s_add_u32 s4, s4, s43
	s_addc_u32 s42, 0, s42
	s_add_u32 s4, s4, s37
	s_mul_hi_u32 s3, s36, s2
	s_addc_u32 s4, s42, s31
	s_addc_u32 s3, s3, 0
	s_mul_i32 s2, s36, s2
	s_add_u32 s2, s4, s2
	s_addc_u32 s4, 0, s3
	s_add_u32 s31, s41, s2
	s_cselect_b64 s[2:3], -1, 0
	s_cmp_lg_u64 s[2:3], 0
	s_addc_u32 s4, s36, s4
	v_addc_co_u32_e32 v2, vcc, v1, v7, vcc
	v_mad_u64_u32 v[0:1], s[2:3], v8, s4, 0
	v_mul_hi_u32 v3, v8, s31
	v_xor_b32_e32 v9, v2, v7
	v_add_co_u32_e32 v10, vcc, v3, v0
	v_addc_co_u32_e32 v11, vcc, 0, v1, vcc
	v_mad_u64_u32 v[0:1], s[2:3], v9, s31, 0
	v_mad_u64_u32 v[2:3], s[2:3], v9, s4, 0
	v_add_co_u32_e32 v0, vcc, v10, v0
	v_addc_co_u32_e32 v0, vcc, v11, v1, vcc
	v_addc_co_u32_e32 v1, vcc, 0, v3, vcc
	v_add_co_u32_e32 v2, vcc, v0, v2
	v_addc_co_u32_e32 v0, vcc, 0, v1, vcc
	v_mul_lo_u32 v3, s35, v2
	v_mul_lo_u32 v10, s34, v0
	v_mad_u64_u32 v[0:1], s[2:3], s34, v2, 0
	v_add3_u32 v1, v1, v10, v3
	v_sub_u32_e32 v3, v9, v1
	v_mov_b32_e32 v10, s35
	v_sub_co_u32_e32 v0, vcc, v8, v0
	v_subb_co_u32_e64 v3, s[2:3], v3, v10, vcc
	v_subrev_co_u32_e64 v8, s[2:3], s34, v0
	v_subbrev_co_u32_e64 v3, s[2:3], 0, v3, s[2:3]
	v_cmp_le_u32_e64 s[2:3], s35, v3
	v_subb_co_u32_e32 v1, vcc, v9, v1, vcc
	v_cndmask_b32_e64 v10, 0, -1, s[2:3]
	v_cmp_le_u32_e64 s[2:3], s34, v8
	v_cmp_le_u32_e32 vcc, s35, v1
	v_cndmask_b32_e64 v8, 0, -1, s[2:3]
	v_cmp_eq_u32_e64 s[2:3], s35, v3
	v_cndmask_b32_e64 v9, 0, -1, vcc
	v_cmp_le_u32_e32 vcc, s34, v0
	v_cndmask_b32_e64 v3, v10, v8, s[2:3]
	v_cndmask_b32_e64 v0, 0, -1, vcc
	v_cmp_eq_u32_e32 vcc, s35, v1
	v_add_co_u32_e64 v8, s[2:3], 2, v2
	v_add_co_u32_e64 v10, s[2:3], 1, v2
	v_cndmask_b32_e32 v0, v9, v0, vcc
	v_cmp_ne_u32_e32 vcc, 0, v3
	v_cndmask_b32_e32 v1, v10, v8, vcc
	v_cmp_ne_u32_e32 vcc, 0, v0
	v_cndmask_b32_e32 v0, v2, v1, vcc
	v_xor_b32_e32 v1, s30, v7
	v_xor_b32_e32 v0, v0, v1
	v_sub_co_u32_e32 v2, vcc, v0, v1
                                        ; implicit-def: $vgpr0_vgpr1
.LBB11_13:                              ;   in Loop: Header=BB11_3 Depth=1
	s_andn2_saveexec_b64 s[2:3], s[28:29]
	s_cbranch_execz .LBB11_15
; %bb.14:                               ;   in Loop: Header=BB11_3 Depth=1
	v_cvt_f32_u32_e32 v1, s33
	s_sub_i32 s4, 0, s33
	v_rcp_iflag_f32_e32 v1, v1
	v_mul_f32_e32 v1, 0x4f7ffffe, v1
	v_cvt_u32_f32_e32 v1, v1
	v_mul_lo_u32 v2, s4, v1
	v_mul_hi_u32 v2, v1, v2
	v_add_u32_e32 v1, v1, v2
	v_mul_hi_u32 v1, v0, v1
	v_mul_lo_u32 v2, v1, s33
	v_add_u32_e32 v3, 1, v1
	v_sub_u32_e32 v0, v0, v2
	v_subrev_u32_e32 v2, s33, v0
	v_cmp_le_u32_e32 vcc, s33, v0
	v_cndmask_b32_e32 v0, v0, v2, vcc
	v_cndmask_b32_e32 v1, v1, v3, vcc
	v_add_u32_e32 v2, 1, v1
	v_cmp_le_u32_e32 vcc, s33, v0
	v_cndmask_b32_e32 v2, v1, v2, vcc
.LBB11_15:                              ;   in Loop: Header=BB11_3 Depth=1
	s_or_b64 exec, exec, s[2:3]
	v_ashrrev_i32_e32 v3, 31, v2
	v_cmp_eq_u64_e32 vcc, s[8:9], v[2:3]
	v_cndmask_b32_e64 v0, 0, 1, vcc
	v_sub_co_u32_e32 v0, vcc, v2, v0
	v_subbrev_co_u32_e32 v1, vcc, 0, v3, vcc
	v_mul_lo_u32 v2, v1, s16
	v_mul_lo_u32 v3, v0, s17
	v_mad_u64_u32 v[0:1], s[2:3], v0, s16, 0
	s_mov_b64 s[2:3], 0
	v_add3_u32 v1, v1, v3, v2
	v_lshlrev_b64 v[0:1], 3, v[0:1]
	v_mov_b32_e32 v2, s7
	v_add_co_u32_e32 v7, vcc, s6, v0
	v_addc_co_u32_e32 v8, vcc, v2, v1, vcc
	global_load_dwordx2 v[2:3], v[7:8], off
.LBB11_16:                              ;   Parent Loop BB11_3 Depth=1
                                        ; =>  This Inner Loop Header: Depth=2
	s_waitcnt vmcnt(0)
	v_add_f64 v[0:1], v[2:3], 1.0
	global_atomic_cmpswap_x2 v[0:1], v[7:8], v[0:3], off glc
	s_waitcnt vmcnt(0)
	v_cmp_eq_u64_e32 vcc, v[0:1], v[2:3]
	v_mov_b32_e32 v3, v1
	s_or_b64 s[2:3], vcc, s[2:3]
	v_mov_b32_e32 v2, v0
	s_andn2_b64 exec, exec, s[2:3]
	s_cbranch_execnz .LBB11_16
	s_branch .LBB11_2
.LBB11_17:
	s_endpgm
	.section	.rodata,"a",@progbits
	.p2align	6, 0x0
	.amdhsa_kernel _ZN2at4cuda17kernelHistogram1DIdhlLi1ELi2ELin1ELNS0_23CUDAHistogramMemoryTypeE1EZNS0_21CUDA_tensor_histogramIdhLb1EEEbNS_6TensorES4_S4_lNS_14AccumulateTypeIT0_Lb1EE4typeES8_NS0_13TensorArgTypeES9_S9_EUllE0_EEvNS0_6detail10TensorInfoIT_T1_EESF_NSC_IKS6_SE_EElS8_S8_SE_T6_
		.amdhsa_group_segment_fixed_size 0
		.amdhsa_private_segment_fixed_size 0
		.amdhsa_kernarg_size 1544
		.amdhsa_user_sgpr_count 6
		.amdhsa_user_sgpr_private_segment_buffer 1
		.amdhsa_user_sgpr_dispatch_ptr 0
		.amdhsa_user_sgpr_queue_ptr 0
		.amdhsa_user_sgpr_kernarg_segment_ptr 1
		.amdhsa_user_sgpr_dispatch_id 0
		.amdhsa_user_sgpr_flat_scratch_init 0
		.amdhsa_user_sgpr_private_segment_size 0
		.amdhsa_uses_dynamic_stack 0
		.amdhsa_system_sgpr_private_segment_wavefront_offset 0
		.amdhsa_system_sgpr_workgroup_id_x 1
		.amdhsa_system_sgpr_workgroup_id_y 0
		.amdhsa_system_sgpr_workgroup_id_z 0
		.amdhsa_system_sgpr_workgroup_info 0
		.amdhsa_system_vgpr_workitem_id 0
		.amdhsa_next_free_vgpr 18
		.amdhsa_next_free_sgpr 48
		.amdhsa_reserve_vcc 1
		.amdhsa_reserve_flat_scratch 0
		.amdhsa_float_round_mode_32 0
		.amdhsa_float_round_mode_16_64 0
		.amdhsa_float_denorm_mode_32 3
		.amdhsa_float_denorm_mode_16_64 3
		.amdhsa_dx10_clamp 1
		.amdhsa_ieee_mode 1
		.amdhsa_fp16_overflow 0
		.amdhsa_exception_fp_ieee_invalid_op 0
		.amdhsa_exception_fp_denorm_src 0
		.amdhsa_exception_fp_ieee_div_zero 0
		.amdhsa_exception_fp_ieee_overflow 0
		.amdhsa_exception_fp_ieee_underflow 0
		.amdhsa_exception_fp_ieee_inexact 0
		.amdhsa_exception_int_div_zero 0
	.end_amdhsa_kernel
	.section	.text._ZN2at4cuda17kernelHistogram1DIdhlLi1ELi2ELin1ELNS0_23CUDAHistogramMemoryTypeE1EZNS0_21CUDA_tensor_histogramIdhLb1EEEbNS_6TensorES4_S4_lNS_14AccumulateTypeIT0_Lb1EE4typeES8_NS0_13TensorArgTypeES9_S9_EUllE0_EEvNS0_6detail10TensorInfoIT_T1_EESF_NSC_IKS6_SE_EElS8_S8_SE_T6_,"axG",@progbits,_ZN2at4cuda17kernelHistogram1DIdhlLi1ELi2ELin1ELNS0_23CUDAHistogramMemoryTypeE1EZNS0_21CUDA_tensor_histogramIdhLb1EEEbNS_6TensorES4_S4_lNS_14AccumulateTypeIT0_Lb1EE4typeES8_NS0_13TensorArgTypeES9_S9_EUllE0_EEvNS0_6detail10TensorInfoIT_T1_EESF_NSC_IKS6_SE_EElS8_S8_SE_T6_,comdat
.Lfunc_end11:
	.size	_ZN2at4cuda17kernelHistogram1DIdhlLi1ELi2ELin1ELNS0_23CUDAHistogramMemoryTypeE1EZNS0_21CUDA_tensor_histogramIdhLb1EEEbNS_6TensorES4_S4_lNS_14AccumulateTypeIT0_Lb1EE4typeES8_NS0_13TensorArgTypeES9_S9_EUllE0_EEvNS0_6detail10TensorInfoIT_T1_EESF_NSC_IKS6_SE_EElS8_S8_SE_T6_, .Lfunc_end11-_ZN2at4cuda17kernelHistogram1DIdhlLi1ELi2ELin1ELNS0_23CUDAHistogramMemoryTypeE1EZNS0_21CUDA_tensor_histogramIdhLb1EEEbNS_6TensorES4_S4_lNS_14AccumulateTypeIT0_Lb1EE4typeES8_NS0_13TensorArgTypeES9_S9_EUllE0_EEvNS0_6detail10TensorInfoIT_T1_EESF_NSC_IKS6_SE_EElS8_S8_SE_T6_
                                        ; -- End function
	.set _ZN2at4cuda17kernelHistogram1DIdhlLi1ELi2ELin1ELNS0_23CUDAHistogramMemoryTypeE1EZNS0_21CUDA_tensor_histogramIdhLb1EEEbNS_6TensorES4_S4_lNS_14AccumulateTypeIT0_Lb1EE4typeES8_NS0_13TensorArgTypeES9_S9_EUllE0_EEvNS0_6detail10TensorInfoIT_T1_EESF_NSC_IKS6_SE_EElS8_S8_SE_T6_.num_vgpr, 18
	.set _ZN2at4cuda17kernelHistogram1DIdhlLi1ELi2ELin1ELNS0_23CUDAHistogramMemoryTypeE1EZNS0_21CUDA_tensor_histogramIdhLb1EEEbNS_6TensorES4_S4_lNS_14AccumulateTypeIT0_Lb1EE4typeES8_NS0_13TensorArgTypeES9_S9_EUllE0_EEvNS0_6detail10TensorInfoIT_T1_EESF_NSC_IKS6_SE_EElS8_S8_SE_T6_.num_agpr, 0
	.set _ZN2at4cuda17kernelHistogram1DIdhlLi1ELi2ELin1ELNS0_23CUDAHistogramMemoryTypeE1EZNS0_21CUDA_tensor_histogramIdhLb1EEEbNS_6TensorES4_S4_lNS_14AccumulateTypeIT0_Lb1EE4typeES8_NS0_13TensorArgTypeES9_S9_EUllE0_EEvNS0_6detail10TensorInfoIT_T1_EESF_NSC_IKS6_SE_EElS8_S8_SE_T6_.numbered_sgpr, 48
	.set _ZN2at4cuda17kernelHistogram1DIdhlLi1ELi2ELin1ELNS0_23CUDAHistogramMemoryTypeE1EZNS0_21CUDA_tensor_histogramIdhLb1EEEbNS_6TensorES4_S4_lNS_14AccumulateTypeIT0_Lb1EE4typeES8_NS0_13TensorArgTypeES9_S9_EUllE0_EEvNS0_6detail10TensorInfoIT_T1_EESF_NSC_IKS6_SE_EElS8_S8_SE_T6_.num_named_barrier, 0
	.set _ZN2at4cuda17kernelHistogram1DIdhlLi1ELi2ELin1ELNS0_23CUDAHistogramMemoryTypeE1EZNS0_21CUDA_tensor_histogramIdhLb1EEEbNS_6TensorES4_S4_lNS_14AccumulateTypeIT0_Lb1EE4typeES8_NS0_13TensorArgTypeES9_S9_EUllE0_EEvNS0_6detail10TensorInfoIT_T1_EESF_NSC_IKS6_SE_EElS8_S8_SE_T6_.private_seg_size, 0
	.set _ZN2at4cuda17kernelHistogram1DIdhlLi1ELi2ELin1ELNS0_23CUDAHistogramMemoryTypeE1EZNS0_21CUDA_tensor_histogramIdhLb1EEEbNS_6TensorES4_S4_lNS_14AccumulateTypeIT0_Lb1EE4typeES8_NS0_13TensorArgTypeES9_S9_EUllE0_EEvNS0_6detail10TensorInfoIT_T1_EESF_NSC_IKS6_SE_EElS8_S8_SE_T6_.uses_vcc, 1
	.set _ZN2at4cuda17kernelHistogram1DIdhlLi1ELi2ELin1ELNS0_23CUDAHistogramMemoryTypeE1EZNS0_21CUDA_tensor_histogramIdhLb1EEEbNS_6TensorES4_S4_lNS_14AccumulateTypeIT0_Lb1EE4typeES8_NS0_13TensorArgTypeES9_S9_EUllE0_EEvNS0_6detail10TensorInfoIT_T1_EESF_NSC_IKS6_SE_EElS8_S8_SE_T6_.uses_flat_scratch, 0
	.set _ZN2at4cuda17kernelHistogram1DIdhlLi1ELi2ELin1ELNS0_23CUDAHistogramMemoryTypeE1EZNS0_21CUDA_tensor_histogramIdhLb1EEEbNS_6TensorES4_S4_lNS_14AccumulateTypeIT0_Lb1EE4typeES8_NS0_13TensorArgTypeES9_S9_EUllE0_EEvNS0_6detail10TensorInfoIT_T1_EESF_NSC_IKS6_SE_EElS8_S8_SE_T6_.has_dyn_sized_stack, 0
	.set _ZN2at4cuda17kernelHistogram1DIdhlLi1ELi2ELin1ELNS0_23CUDAHistogramMemoryTypeE1EZNS0_21CUDA_tensor_histogramIdhLb1EEEbNS_6TensorES4_S4_lNS_14AccumulateTypeIT0_Lb1EE4typeES8_NS0_13TensorArgTypeES9_S9_EUllE0_EEvNS0_6detail10TensorInfoIT_T1_EESF_NSC_IKS6_SE_EElS8_S8_SE_T6_.has_recursion, 0
	.set _ZN2at4cuda17kernelHistogram1DIdhlLi1ELi2ELin1ELNS0_23CUDAHistogramMemoryTypeE1EZNS0_21CUDA_tensor_histogramIdhLb1EEEbNS_6TensorES4_S4_lNS_14AccumulateTypeIT0_Lb1EE4typeES8_NS0_13TensorArgTypeES9_S9_EUllE0_EEvNS0_6detail10TensorInfoIT_T1_EESF_NSC_IKS6_SE_EElS8_S8_SE_T6_.has_indirect_call, 0
	.section	.AMDGPU.csdata,"",@progbits
; Kernel info:
; codeLenInByte = 2112
; TotalNumSgprs: 52
; NumVgprs: 18
; ScratchSize: 0
; MemoryBound: 0
; FloatMode: 240
; IeeeMode: 1
; LDSByteSize: 0 bytes/workgroup (compile time only)
; SGPRBlocks: 6
; VGPRBlocks: 4
; NumSGPRsForWavesPerEU: 52
; NumVGPRsForWavesPerEU: 18
; Occupancy: 10
; WaveLimiterHint : 1
; COMPUTE_PGM_RSRC2:SCRATCH_EN: 0
; COMPUTE_PGM_RSRC2:USER_SGPR: 6
; COMPUTE_PGM_RSRC2:TRAP_HANDLER: 0
; COMPUTE_PGM_RSRC2:TGID_X_EN: 1
; COMPUTE_PGM_RSRC2:TGID_Y_EN: 0
; COMPUTE_PGM_RSRC2:TGID_Z_EN: 0
; COMPUTE_PGM_RSRC2:TIDIG_COMP_CNT: 0
	.section	.text._ZN2at4cuda17kernelHistogram1DIfalLi1ELi2ELin1ELNS0_23CUDAHistogramMemoryTypeE0EZNS0_21CUDA_tensor_histogramIfaLb1EEEbNS_6TensorES4_S4_lNS_14AccumulateTypeIT0_Lb1EE4typeES8_NS0_13TensorArgTypeES9_S9_EUllE_EEvNS0_6detail10TensorInfoIT_T1_EESF_NSC_IKS6_SE_EElS8_S8_SE_T6_,"axG",@progbits,_ZN2at4cuda17kernelHistogram1DIfalLi1ELi2ELin1ELNS0_23CUDAHistogramMemoryTypeE0EZNS0_21CUDA_tensor_histogramIfaLb1EEEbNS_6TensorES4_S4_lNS_14AccumulateTypeIT0_Lb1EE4typeES8_NS0_13TensorArgTypeES9_S9_EUllE_EEvNS0_6detail10TensorInfoIT_T1_EESF_NSC_IKS6_SE_EElS8_S8_SE_T6_,comdat
	.protected	_ZN2at4cuda17kernelHistogram1DIfalLi1ELi2ELin1ELNS0_23CUDAHistogramMemoryTypeE0EZNS0_21CUDA_tensor_histogramIfaLb1EEEbNS_6TensorES4_S4_lNS_14AccumulateTypeIT0_Lb1EE4typeES8_NS0_13TensorArgTypeES9_S9_EUllE_EEvNS0_6detail10TensorInfoIT_T1_EESF_NSC_IKS6_SE_EElS8_S8_SE_T6_ ; -- Begin function _ZN2at4cuda17kernelHistogram1DIfalLi1ELi2ELin1ELNS0_23CUDAHistogramMemoryTypeE0EZNS0_21CUDA_tensor_histogramIfaLb1EEEbNS_6TensorES4_S4_lNS_14AccumulateTypeIT0_Lb1EE4typeES8_NS0_13TensorArgTypeES9_S9_EUllE_EEvNS0_6detail10TensorInfoIT_T1_EESF_NSC_IKS6_SE_EElS8_S8_SE_T6_
	.globl	_ZN2at4cuda17kernelHistogram1DIfalLi1ELi2ELin1ELNS0_23CUDAHistogramMemoryTypeE0EZNS0_21CUDA_tensor_histogramIfaLb1EEEbNS_6TensorES4_S4_lNS_14AccumulateTypeIT0_Lb1EE4typeES8_NS0_13TensorArgTypeES9_S9_EUllE_EEvNS0_6detail10TensorInfoIT_T1_EESF_NSC_IKS6_SE_EElS8_S8_SE_T6_
	.p2align	8
	.type	_ZN2at4cuda17kernelHistogram1DIfalLi1ELi2ELin1ELNS0_23CUDAHistogramMemoryTypeE0EZNS0_21CUDA_tensor_histogramIfaLb1EEEbNS_6TensorES4_S4_lNS_14AccumulateTypeIT0_Lb1EE4typeES8_NS0_13TensorArgTypeES9_S9_EUllE_EEvNS0_6detail10TensorInfoIT_T1_EESF_NSC_IKS6_SE_EElS8_S8_SE_T6_,@function
_ZN2at4cuda17kernelHistogram1DIfalLi1ELi2ELin1ELNS0_23CUDAHistogramMemoryTypeE0EZNS0_21CUDA_tensor_histogramIfaLb1EEEbNS_6TensorES4_S4_lNS_14AccumulateTypeIT0_Lb1EE4typeES8_NS0_13TensorArgTypeES9_S9_EUllE_EEvNS0_6detail10TensorInfoIT_T1_EESF_NSC_IKS6_SE_EElS8_S8_SE_T6_: ; @_ZN2at4cuda17kernelHistogram1DIfalLi1ELi2ELin1ELNS0_23CUDAHistogramMemoryTypeE0EZNS0_21CUDA_tensor_histogramIfaLb1EEEbNS_6TensorES4_S4_lNS_14AccumulateTypeIT0_Lb1EE4typeES8_NS0_13TensorArgTypeES9_S9_EUllE_EEvNS0_6detail10TensorInfoIT_T1_EESF_NSC_IKS6_SE_EElS8_S8_SE_T6_
; %bb.0:
	s_load_dwordx4 s[16:19], s[4:5], 0x0
	s_load_dwordx2 s[22:23], s[4:5], 0x500
	s_load_dwordx8 s[8:15], s[4:5], 0x4e0
	v_mov_b32_e32 v1, 0
	s_add_u32 s2, s4, 0x6a0
	s_waitcnt lgkmcnt(0)
	v_cmp_gt_i64_e64 s[0:1], s[18:19], v[0:1]
	v_cmp_le_i64_e32 vcc, s[18:19], v[0:1]
	s_addc_u32 s3, s5, 0
                                        ; implicit-def: $sgpr28
                                        ; implicit-def: $sgpr7
	s_and_saveexec_b64 s[20:21], vcc
	s_xor_b64 s[20:21], exec, s[20:21]
	s_cbranch_execz .LBB12_2
; %bb.1:
	s_load_dword s28, s[2:3], 0xc
	s_waitcnt lgkmcnt(0)
	s_and_b32 s7, s28, 0xffff
.LBB12_2:
	s_or_saveexec_b64 s[26:27], s[20:21]
	s_load_dwordx2 s[20:21], s[4:5], 0xd0
	s_load_dwordx2 s[24:25], s[4:5], 0x5d0
	v_mov_b32_e32 v12, s28
	v_mov_b32_e32 v5, s7
	s_xor_b64 exec, exec, s[26:27]
	s_cbranch_execz .LBB12_6
; %bb.3:
	s_load_dword s7, s[2:3], 0xc
	v_mov_b32_e32 v3, v1
	v_lshl_add_u32 v4, v0, 2, 0
	s_mov_b64 s[28:29], 0
	v_mov_b32_e32 v5, 0
	s_waitcnt lgkmcnt(0)
	s_and_b32 s30, s7, 0xffff
	s_lshl_b32 s31, s30, 2
	v_mov_b32_e32 v2, v0
.LBB12_4:                               ; =>This Inner Loop Header: Depth=1
	v_add_co_u32_e32 v2, vcc, s30, v2
	v_addc_co_u32_e32 v3, vcc, 0, v3, vcc
	v_cmp_le_i64_e32 vcc, s[18:19], v[2:3]
	ds_write_b32 v4, v5
	s_or_b64 s[28:29], vcc, s[28:29]
	v_add_u32_e32 v4, s31, v4
	s_andn2_b64 exec, exec, s[28:29]
	s_cbranch_execnz .LBB12_4
; %bb.5:
	s_or_b64 exec, exec, s[28:29]
	v_mov_b32_e32 v12, s7
	v_mov_b32_e32 v5, s30
.LBB12_6:
	s_or_b64 exec, exec, s[26:27]
	v_mad_u64_u32 v[2:3], s[6:7], s6, v5, v[0:1]
	v_mov_b32_e32 v4, 0
	v_mov_b32_e32 v3, v4
	v_cmp_gt_i64_e32 vcc, s[14:15], v[2:3]
	s_waitcnt lgkmcnt(0)
	s_barrier
	s_and_saveexec_b64 s[6:7], vcc
	s_cbranch_execz .LBB12_22
; %bb.7:
	s_load_dword s30, s[4:5], 0x4d8
	s_load_dwordx2 s[28:29], s[4:5], 0x340
	s_add_u32 s31, s4, 0x340
	s_addc_u32 s35, s5, 0
	s_load_dword s34, s[2:3], 0x0
	s_load_dwordx2 s[26:27], s[4:5], 0x410
	s_waitcnt lgkmcnt(0)
	s_cmp_gt_i32 s30, 1
	s_cselect_b64 s[2:3], -1, 0
	s_sub_u32 s33, s12, s10
	s_subb_u32 s46, s13, s11
	s_mov_b32 s5, 0
	s_add_i32 s4, s30, -1
	s_add_i32 s47, s30, 1
	s_lshl_b64 s[4:5], s[4:5], 3
	v_mul_lo_u32 v13, s34, v5
	s_add_u32 s4, s31, s4
	s_addc_u32 s5, s35, s5
	s_add_u32 s30, s4, 8
	v_cndmask_b32_e64 v5, 0, 1, s[2:3]
	s_addc_u32 s31, s5, 0
	s_mov_b64 s[34:35], 0
	v_cmp_ne_u32_e64 s[2:3], 1, v5
	s_branch .LBB12_10
.LBB12_8:                               ;   in Loop: Header=BB12_10 Depth=1
	s_or_b64 exec, exec, s[4:5]
	v_mul_lo_u32 v7, v3, s24
	v_mul_lo_u32 v9, v2, s25
	v_mad_u64_u32 v[5:6], s[4:5], v2, s24, 0
	v_add3_u32 v6, v6, v9, v7
	v_lshlrev_b64 v[5:6], 2, v[5:6]
	v_mov_b32_e32 v7, s23
	v_add_co_u32_e32 v5, vcc, s22, v5
	v_addc_co_u32_e32 v6, vcc, v7, v6, vcc
	global_load_dword v5, v[5:6], off
	v_ashrrev_i32_e32 v9, 31, v8
	v_cmp_eq_u64_e32 vcc, s[8:9], v[8:9]
	v_subbrev_co_u32_e32 v6, vcc, 0, v8, vcc
	v_lshl_add_u32 v6, v6, 2, 0
	s_waitcnt vmcnt(0)
	ds_add_f32 v6, v5
.LBB12_9:                               ;   in Loop: Header=BB12_10 Depth=1
	s_or_b64 exec, exec, s[36:37]
	v_add_co_u32_e32 v2, vcc, v2, v13
	v_addc_co_u32_e32 v3, vcc, 0, v3, vcc
	v_cmp_le_i64_e32 vcc, s[14:15], v[2:3]
	s_or_b64 s[34:35], vcc, s[34:35]
	s_andn2_b64 exec, exec, s[34:35]
	s_cbranch_execz .LBB12_22
.LBB12_10:                              ; =>This Loop Header: Depth=1
                                        ;     Child Loop BB12_11 Depth 2
	v_mov_b32_e32 v6, 0
	v_mov_b32_e32 v9, v3
	;; [unrolled: 1-line block ×4, first 2 shown]
	s_and_b64 vcc, exec, s[2:3]
	s_mov_b64 s[36:37], s[30:31]
	s_mov_b32 s48, s47
	v_mov_b32_e32 v8, v2
	v_mov_b32_e32 v10, v2
	s_cbranch_vccnz .LBB12_17
.LBB12_11:                              ;   Parent Loop BB12_10 Depth=1
                                        ; =>  This Inner Loop Header: Depth=2
	s_load_dwordx2 s[38:39], s[36:37], 0x0
                                        ; implicit-def: $vgpr10_vgpr11
	s_waitcnt lgkmcnt(0)
	v_or_b32_e32 v5, s39, v9
	v_cmp_ne_u64_e32 vcc, 0, v[4:5]
	s_and_saveexec_b64 s[4:5], vcc
	s_xor_b64 s[40:41], exec, s[4:5]
	s_cbranch_execz .LBB12_13
; %bb.12:                               ;   in Loop: Header=BB12_11 Depth=2
	s_ashr_i32 s42, s39, 31
	s_add_u32 s4, s38, s42
	s_mov_b32 s43, s42
	s_addc_u32 s5, s39, s42
	s_xor_b64 s[44:45], s[4:5], s[42:43]
	v_cvt_f32_u32_e32 v5, s44
	v_cvt_f32_u32_e32 v10, s45
	s_sub_u32 s43, 0, s44
	s_subb_u32 s49, 0, s45
	v_mac_f32_e32 v5, 0x4f800000, v10
	v_rcp_f32_e32 v5, v5
	v_mul_f32_e32 v5, 0x5f7ffffc, v5
	v_mul_f32_e32 v10, 0x2f800000, v5
	v_trunc_f32_e32 v10, v10
	v_mac_f32_e32 v5, 0xcf800000, v10
	v_cvt_u32_f32_e32 v10, v10
	v_cvt_u32_f32_e32 v5, v5
	v_readfirstlane_b32 s50, v10
	v_readfirstlane_b32 s4, v5
	s_mul_i32 s5, s43, s50
	s_mul_hi_u32 s52, s43, s4
	s_mul_i32 s51, s49, s4
	s_add_i32 s5, s52, s5
	s_add_i32 s5, s5, s51
	s_mul_i32 s53, s43, s4
	s_mul_i32 s52, s4, s5
	s_mul_hi_u32 s54, s4, s53
	s_mul_hi_u32 s51, s4, s5
	s_add_u32 s52, s54, s52
	s_addc_u32 s51, 0, s51
	s_mul_hi_u32 s55, s50, s53
	s_mul_i32 s53, s50, s53
	s_add_u32 s52, s52, s53
	s_mul_hi_u32 s54, s50, s5
	s_addc_u32 s51, s51, s55
	s_addc_u32 s52, s54, 0
	s_mul_i32 s5, s50, s5
	s_add_u32 s5, s51, s5
	s_addc_u32 s51, 0, s52
	s_add_u32 s52, s4, s5
	s_cselect_b64 s[4:5], -1, 0
	s_cmp_lg_u64 s[4:5], 0
	s_addc_u32 s50, s50, s51
	s_mul_i32 s4, s43, s50
	s_mul_hi_u32 s5, s43, s52
	s_add_i32 s4, s5, s4
	s_mul_i32 s49, s49, s52
	s_add_i32 s4, s4, s49
	s_mul_i32 s43, s43, s52
	s_mul_hi_u32 s49, s50, s43
	s_mul_i32 s51, s50, s43
	s_mul_i32 s54, s52, s4
	s_mul_hi_u32 s43, s52, s43
	s_mul_hi_u32 s53, s52, s4
	s_add_u32 s43, s43, s54
	s_addc_u32 s53, 0, s53
	s_add_u32 s43, s43, s51
	s_mul_hi_u32 s5, s50, s4
	s_addc_u32 s43, s53, s49
	s_addc_u32 s5, s5, 0
	s_mul_i32 s4, s50, s4
	s_add_u32 s4, s43, s4
	s_addc_u32 s43, 0, s5
	s_add_u32 s49, s52, s4
	s_cselect_b64 s[4:5], -1, 0
	v_ashrrev_i32_e32 v5, 31, v9
	s_cmp_lg_u64 s[4:5], 0
	v_add_co_u32_e32 v10, vcc, v8, v5
	s_addc_u32 s43, s50, s43
	v_xor_b32_e32 v16, v10, v5
	v_mad_u64_u32 v[10:11], s[4:5], v16, s43, 0
	v_mul_hi_u32 v15, v16, s49
	v_addc_co_u32_e32 v14, vcc, v9, v5, vcc
	v_xor_b32_e32 v17, v14, v5
	v_add_co_u32_e32 v18, vcc, v15, v10
	v_addc_co_u32_e32 v19, vcc, 0, v11, vcc
	v_mad_u64_u32 v[10:11], s[4:5], v17, s49, 0
	v_mad_u64_u32 v[14:15], s[4:5], v17, s43, 0
	v_add_co_u32_e32 v10, vcc, v18, v10
	v_addc_co_u32_e32 v10, vcc, v19, v11, vcc
	v_addc_co_u32_e32 v11, vcc, 0, v15, vcc
	v_add_co_u32_e32 v14, vcc, v10, v14
	v_addc_co_u32_e32 v15, vcc, 0, v11, vcc
	v_mul_lo_u32 v18, s45, v14
	v_mul_lo_u32 v19, s44, v15
	v_mad_u64_u32 v[10:11], s[4:5], s44, v14, 0
	v_xor_b32_e32 v5, s42, v5
	v_add3_u32 v11, v11, v19, v18
	v_sub_u32_e32 v18, v17, v11
	v_mov_b32_e32 v19, s45
	v_sub_co_u32_e32 v10, vcc, v16, v10
	v_subb_co_u32_e64 v16, s[4:5], v18, v19, vcc
	v_subrev_co_u32_e64 v18, s[4:5], s44, v10
	v_subbrev_co_u32_e64 v16, s[4:5], 0, v16, s[4:5]
	v_cmp_le_u32_e64 s[4:5], s45, v16
	v_cndmask_b32_e64 v19, 0, -1, s[4:5]
	v_cmp_le_u32_e64 s[4:5], s44, v18
	v_cndmask_b32_e64 v18, 0, -1, s[4:5]
	v_cmp_eq_u32_e64 s[4:5], s45, v16
	v_cndmask_b32_e64 v16, v19, v18, s[4:5]
	v_add_co_u32_e64 v18, s[4:5], 2, v14
	v_subb_co_u32_e32 v11, vcc, v17, v11, vcc
	v_addc_co_u32_e64 v19, s[4:5], 0, v15, s[4:5]
	v_cmp_le_u32_e32 vcc, s45, v11
	v_add_co_u32_e64 v20, s[4:5], 1, v14
	v_cndmask_b32_e64 v17, 0, -1, vcc
	v_cmp_le_u32_e32 vcc, s44, v10
	v_addc_co_u32_e64 v21, s[4:5], 0, v15, s[4:5]
	v_cndmask_b32_e64 v10, 0, -1, vcc
	v_cmp_eq_u32_e32 vcc, s45, v11
	v_cmp_ne_u32_e64 s[4:5], 0, v16
	v_cndmask_b32_e32 v10, v17, v10, vcc
	v_cndmask_b32_e64 v16, v21, v19, s[4:5]
	v_cmp_ne_u32_e32 vcc, 0, v10
	v_cndmask_b32_e64 v11, v20, v18, s[4:5]
	v_cndmask_b32_e32 v10, v15, v16, vcc
	v_cndmask_b32_e32 v11, v14, v11, vcc
	v_xor_b32_e32 v14, v10, v5
	v_xor_b32_e32 v10, v11, v5
	v_sub_co_u32_e32 v10, vcc, v10, v5
	v_subb_co_u32_e32 v11, vcc, v14, v5, vcc
.LBB12_13:                              ;   in Loop: Header=BB12_11 Depth=2
	s_andn2_saveexec_b64 s[4:5], s[40:41]
	s_cbranch_execz .LBB12_15
; %bb.14:                               ;   in Loop: Header=BB12_11 Depth=2
	v_cvt_f32_u32_e32 v5, s38
	s_sub_i32 s40, 0, s38
	v_rcp_iflag_f32_e32 v5, v5
	v_mul_f32_e32 v5, 0x4f7ffffe, v5
	v_cvt_u32_f32_e32 v5, v5
	v_mul_lo_u32 v10, s40, v5
	v_mul_hi_u32 v10, v5, v10
	v_add_u32_e32 v5, v5, v10
	v_mul_hi_u32 v5, v8, v5
	v_mul_lo_u32 v10, v5, s38
	v_add_u32_e32 v11, 1, v5
	v_sub_u32_e32 v10, v8, v10
	v_subrev_u32_e32 v14, s38, v10
	v_cmp_le_u32_e32 vcc, s38, v10
	v_cndmask_b32_e32 v10, v10, v14, vcc
	v_cndmask_b32_e32 v5, v5, v11, vcc
	v_add_u32_e32 v11, 1, v5
	v_cmp_le_u32_e32 vcc, s38, v10
	v_cndmask_b32_e32 v10, v5, v11, vcc
	v_mov_b32_e32 v11, v4
.LBB12_15:                              ;   in Loop: Header=BB12_11 Depth=2
	s_or_b64 exec, exec, s[4:5]
	v_mul_lo_u32 v5, v11, s38
	v_mul_lo_u32 v16, v10, s39
	v_mad_u64_u32 v[14:15], s[4:5], v10, s38, 0
	s_load_dwordx2 s[4:5], s[36:37], 0xc8
	s_add_i32 s48, s48, -1
	v_add3_u32 v5, v15, v16, v5
	v_sub_co_u32_e32 v8, vcc, v8, v14
	v_subb_co_u32_e32 v5, vcc, v9, v5, vcc
	s_waitcnt lgkmcnt(0)
	v_mul_lo_u32 v5, s4, v5
	v_mul_lo_u32 v9, s5, v8
	v_mad_u64_u32 v[6:7], s[4:5], s4, v8, v[6:7]
	s_add_u32 s36, s36, -8
	s_addc_u32 s37, s37, -1
	s_cmp_gt_u32 s48, 2
	v_add3_u32 v7, v9, v7, v5
	s_cbranch_scc0 .LBB12_17
; %bb.16:                               ;   in Loop: Header=BB12_11 Depth=2
	v_mov_b32_e32 v8, v10
	v_mov_b32_e32 v9, v11
	s_branch .LBB12_11
.LBB12_17:                              ;   in Loop: Header=BB12_10 Depth=1
	v_mov_b32_e32 v8, s28
	v_mov_b32_e32 v9, s29
	v_mul_lo_u32 v5, s26, v11
	v_mul_lo_u32 v11, s27, v10
	v_mad_u64_u32 v[8:9], s[4:5], s26, v10, v[8:9]
	v_add3_u32 v9, v11, v9, v5
	v_add_co_u32_e32 v5, vcc, v8, v6
	v_addc_co_u32_e32 v6, vcc, v9, v7, vcc
	global_load_sbyte v5, v[5:6], off
	s_waitcnt vmcnt(0)
	v_bfe_i32 v5, v5, 0, 16
	v_ashrrev_i32_e32 v6, 31, v5
	v_cmp_le_i64_e32 vcc, s[10:11], v[5:6]
	v_cmp_ge_i64_e64 s[4:5], s[12:13], v[5:6]
	s_and_b64 s[4:5], vcc, s[4:5]
	s_and_saveexec_b64 s[36:37], s[4:5]
	s_cbranch_execz .LBB12_9
; %bb.18:                               ;   in Loop: Header=BB12_10 Depth=1
	v_mov_b32_e32 v7, s11
	v_subrev_co_u32_e32 v5, vcc, s10, v5
	v_subb_co_u32_e32 v6, vcc, v6, v7, vcc
	v_mul_lo_u32 v8, v6, s8
	v_mul_lo_u32 v9, v5, s9
	v_mad_u64_u32 v[6:7], s[4:5], v5, s8, 0
	v_add3_u32 v7, v7, v9, v8
	v_or_b32_e32 v5, s46, v7
	v_cmp_ne_u64_e32 vcc, 0, v[4:5]
                                        ; implicit-def: $vgpr8_vgpr9
	s_and_saveexec_b64 s[4:5], vcc
	s_xor_b64 s[38:39], exec, s[4:5]
	s_cbranch_execz .LBB12_20
; %bb.19:                               ;   in Loop: Header=BB12_10 Depth=1
	s_ashr_i32 s40, s46, 31
	s_add_u32 s4, s33, s40
	s_mov_b32 s41, s40
	s_addc_u32 s5, s46, s40
	s_xor_b64 s[42:43], s[4:5], s[40:41]
	v_cvt_f32_u32_e32 v5, s42
	v_cvt_f32_u32_e32 v8, s43
	s_sub_u32 s41, 0, s42
	s_subb_u32 s44, 0, s43
	v_ashrrev_i32_e32 v9, 31, v7
	v_mac_f32_e32 v5, 0x4f800000, v8
	v_rcp_f32_e32 v5, v5
	v_mul_f32_e32 v5, 0x5f7ffffc, v5
	v_mul_f32_e32 v8, 0x2f800000, v5
	v_trunc_f32_e32 v8, v8
	v_mac_f32_e32 v5, 0xcf800000, v8
	v_cvt_u32_f32_e32 v8, v8
	v_cvt_u32_f32_e32 v5, v5
	v_readfirstlane_b32 s45, v8
	v_readfirstlane_b32 s4, v5
	s_mul_i32 s5, s41, s45
	s_mul_hi_u32 s49, s41, s4
	s_mul_i32 s48, s44, s4
	s_add_i32 s5, s49, s5
	s_add_i32 s5, s5, s48
	s_mul_i32 s50, s41, s4
	s_mul_i32 s49, s4, s5
	s_mul_hi_u32 s51, s4, s50
	s_mul_hi_u32 s48, s4, s5
	s_add_u32 s49, s51, s49
	s_addc_u32 s48, 0, s48
	s_mul_hi_u32 s52, s45, s50
	s_mul_i32 s50, s45, s50
	s_add_u32 s49, s49, s50
	s_mul_hi_u32 s51, s45, s5
	s_addc_u32 s48, s48, s52
	s_addc_u32 s49, s51, 0
	s_mul_i32 s5, s45, s5
	s_add_u32 s5, s48, s5
	s_addc_u32 s48, 0, s49
	s_add_u32 s49, s4, s5
	s_cselect_b64 s[4:5], -1, 0
	s_cmp_lg_u64 s[4:5], 0
	s_addc_u32 s45, s45, s48
	s_mul_i32 s4, s41, s45
	s_mul_hi_u32 s5, s41, s49
	s_add_i32 s4, s5, s4
	s_mul_i32 s44, s44, s49
	s_add_i32 s4, s4, s44
	s_mul_i32 s41, s41, s49
	s_mul_hi_u32 s44, s45, s41
	s_mul_i32 s48, s45, s41
	s_mul_i32 s51, s49, s4
	s_mul_hi_u32 s41, s49, s41
	s_mul_hi_u32 s50, s49, s4
	s_add_u32 s41, s41, s51
	s_addc_u32 s50, 0, s50
	s_add_u32 s41, s41, s48
	s_mul_hi_u32 s5, s45, s4
	s_addc_u32 s41, s50, s44
	s_addc_u32 s5, s5, 0
	s_mul_i32 s4, s45, s4
	s_add_u32 s4, s41, s4
	s_addc_u32 s41, 0, s5
	s_add_u32 s44, s49, s4
	s_cselect_b64 s[4:5], -1, 0
	s_cmp_lg_u64 s[4:5], 0
	v_add_co_u32_e32 v5, vcc, v6, v9
	s_addc_u32 s41, s45, s41
	v_xor_b32_e32 v10, v5, v9
	v_mad_u64_u32 v[5:6], s[4:5], v10, s41, 0
	v_mul_hi_u32 v8, v10, s44
	v_addc_co_u32_e32 v7, vcc, v7, v9, vcc
	v_xor_b32_e32 v11, v7, v9
	v_add_co_u32_e32 v14, vcc, v8, v5
	v_addc_co_u32_e32 v15, vcc, 0, v6, vcc
	v_mad_u64_u32 v[5:6], s[4:5], v11, s44, 0
	v_mad_u64_u32 v[7:8], s[4:5], v11, s41, 0
	v_add_co_u32_e32 v5, vcc, v14, v5
	v_addc_co_u32_e32 v5, vcc, v15, v6, vcc
	v_addc_co_u32_e32 v6, vcc, 0, v8, vcc
	v_add_co_u32_e32 v7, vcc, v5, v7
	v_addc_co_u32_e32 v5, vcc, 0, v6, vcc
	v_mul_lo_u32 v8, s43, v7
	v_mul_lo_u32 v14, s42, v5
	v_mad_u64_u32 v[5:6], s[4:5], s42, v7, 0
	v_add3_u32 v6, v6, v14, v8
	v_sub_u32_e32 v8, v11, v6
	v_mov_b32_e32 v14, s43
	v_sub_co_u32_e32 v5, vcc, v10, v5
	v_subb_co_u32_e64 v8, s[4:5], v8, v14, vcc
	v_subrev_co_u32_e64 v10, s[4:5], s42, v5
	v_subbrev_co_u32_e64 v8, s[4:5], 0, v8, s[4:5]
	v_cmp_le_u32_e64 s[4:5], s43, v8
	v_subb_co_u32_e32 v6, vcc, v11, v6, vcc
	v_cndmask_b32_e64 v14, 0, -1, s[4:5]
	v_cmp_le_u32_e64 s[4:5], s42, v10
	v_cmp_le_u32_e32 vcc, s43, v6
	v_cndmask_b32_e64 v10, 0, -1, s[4:5]
	v_cmp_eq_u32_e64 s[4:5], s43, v8
	v_cndmask_b32_e64 v11, 0, -1, vcc
	v_cmp_le_u32_e32 vcc, s42, v5
	v_cndmask_b32_e64 v8, v14, v10, s[4:5]
	v_cndmask_b32_e64 v5, 0, -1, vcc
	v_cmp_eq_u32_e32 vcc, s43, v6
	v_add_co_u32_e64 v10, s[4:5], 2, v7
	v_add_co_u32_e64 v14, s[4:5], 1, v7
	v_cndmask_b32_e32 v5, v11, v5, vcc
	v_cmp_ne_u32_e32 vcc, 0, v8
	v_cndmask_b32_e32 v6, v14, v10, vcc
	v_cmp_ne_u32_e32 vcc, 0, v5
	v_cndmask_b32_e32 v5, v7, v6, vcc
	v_xor_b32_e32 v6, s40, v9
	v_xor_b32_e32 v5, v5, v6
	v_sub_co_u32_e32 v8, vcc, v5, v6
                                        ; implicit-def: $vgpr6_vgpr7
.LBB12_20:                              ;   in Loop: Header=BB12_10 Depth=1
	s_andn2_saveexec_b64 s[4:5], s[38:39]
	s_cbranch_execz .LBB12_8
; %bb.21:                               ;   in Loop: Header=BB12_10 Depth=1
	v_cvt_f32_u32_e32 v5, s33
	s_sub_i32 s38, 0, s33
	v_rcp_iflag_f32_e32 v5, v5
	v_mul_f32_e32 v5, 0x4f7ffffe, v5
	v_cvt_u32_f32_e32 v5, v5
	v_mul_lo_u32 v7, s38, v5
	v_mul_hi_u32 v7, v5, v7
	v_add_u32_e32 v5, v5, v7
	v_mul_hi_u32 v5, v6, v5
	v_mul_lo_u32 v7, v5, s33
	v_add_u32_e32 v8, 1, v5
	v_sub_u32_e32 v6, v6, v7
	v_subrev_u32_e32 v7, s33, v6
	v_cmp_le_u32_e32 vcc, s33, v6
	v_cndmask_b32_e32 v6, v6, v7, vcc
	v_cndmask_b32_e32 v5, v5, v8, vcc
	v_add_u32_e32 v7, 1, v5
	v_cmp_le_u32_e32 vcc, s33, v6
	v_cndmask_b32_e32 v8, v5, v7, vcc
	s_branch .LBB12_8
.LBB12_22:
	s_or_b64 exec, exec, s[6:7]
; %bb.23:
	s_waitcnt lgkmcnt(0)
	s_barrier
	s_and_saveexec_b64 s[2:3], s[0:1]
	s_cbranch_execz .LBB12_28
; %bb.24:
	v_and_b32_e32 v6, 0xffff, v12
	s_mov_b64 s[0:1], 0
	v_mov_b32_e32 v7, s17
.LBB12_25:                              ; =>This Loop Header: Depth=1
                                        ;     Child Loop BB12_26 Depth 2
	v_mul_lo_u32 v4, v1, s20
	v_mul_lo_u32 v5, v0, s21
	v_mad_u64_u32 v[2:3], s[2:3], v0, s20, 0
	s_mov_b64 s[2:3], 0
	v_add3_u32 v3, v3, v5, v4
	v_lshlrev_b64 v[2:3], 2, v[2:3]
	v_lshl_add_u32 v4, v0, 2, 0
	v_add_co_u32_e32 v2, vcc, s16, v2
	v_addc_co_u32_e32 v3, vcc, v7, v3, vcc
	global_load_dword v5, v[2:3], off
	ds_read_b32 v8, v4
.LBB12_26:                              ;   Parent Loop BB12_25 Depth=1
                                        ; =>  This Inner Loop Header: Depth=2
	s_waitcnt vmcnt(0) lgkmcnt(0)
	v_add_f32_e32 v4, v5, v8
	global_atomic_cmpswap v4, v[2:3], v[4:5], off glc
	s_waitcnt vmcnt(0)
	v_cmp_eq_u32_e32 vcc, v4, v5
	s_or_b64 s[2:3], vcc, s[2:3]
	v_mov_b32_e32 v5, v4
	s_andn2_b64 exec, exec, s[2:3]
	s_cbranch_execnz .LBB12_26
; %bb.27:                               ;   in Loop: Header=BB12_25 Depth=1
	s_or_b64 exec, exec, s[2:3]
	v_add_co_u32_e32 v0, vcc, v0, v6
	v_addc_co_u32_e32 v1, vcc, 0, v1, vcc
	v_cmp_le_i64_e32 vcc, s[18:19], v[0:1]
	s_or_b64 s[0:1], vcc, s[0:1]
	s_andn2_b64 exec, exec, s[0:1]
	s_cbranch_execnz .LBB12_25
.LBB12_28:
	s_endpgm
	.section	.rodata,"a",@progbits
	.p2align	6, 0x0
	.amdhsa_kernel _ZN2at4cuda17kernelHistogram1DIfalLi1ELi2ELin1ELNS0_23CUDAHistogramMemoryTypeE0EZNS0_21CUDA_tensor_histogramIfaLb1EEEbNS_6TensorES4_S4_lNS_14AccumulateTypeIT0_Lb1EE4typeES8_NS0_13TensorArgTypeES9_S9_EUllE_EEvNS0_6detail10TensorInfoIT_T1_EESF_NSC_IKS6_SE_EElS8_S8_SE_T6_
		.amdhsa_group_segment_fixed_size 0
		.amdhsa_private_segment_fixed_size 0
		.amdhsa_kernarg_size 1952
		.amdhsa_user_sgpr_count 6
		.amdhsa_user_sgpr_private_segment_buffer 1
		.amdhsa_user_sgpr_dispatch_ptr 0
		.amdhsa_user_sgpr_queue_ptr 0
		.amdhsa_user_sgpr_kernarg_segment_ptr 1
		.amdhsa_user_sgpr_dispatch_id 0
		.amdhsa_user_sgpr_flat_scratch_init 0
		.amdhsa_user_sgpr_private_segment_size 0
		.amdhsa_uses_dynamic_stack 0
		.amdhsa_system_sgpr_private_segment_wavefront_offset 0
		.amdhsa_system_sgpr_workgroup_id_x 1
		.amdhsa_system_sgpr_workgroup_id_y 0
		.amdhsa_system_sgpr_workgroup_id_z 0
		.amdhsa_system_sgpr_workgroup_info 0
		.amdhsa_system_vgpr_workitem_id 0
		.amdhsa_next_free_vgpr 22
		.amdhsa_next_free_sgpr 56
		.amdhsa_reserve_vcc 1
		.amdhsa_reserve_flat_scratch 0
		.amdhsa_float_round_mode_32 0
		.amdhsa_float_round_mode_16_64 0
		.amdhsa_float_denorm_mode_32 3
		.amdhsa_float_denorm_mode_16_64 3
		.amdhsa_dx10_clamp 1
		.amdhsa_ieee_mode 1
		.amdhsa_fp16_overflow 0
		.amdhsa_exception_fp_ieee_invalid_op 0
		.amdhsa_exception_fp_denorm_src 0
		.amdhsa_exception_fp_ieee_div_zero 0
		.amdhsa_exception_fp_ieee_overflow 0
		.amdhsa_exception_fp_ieee_underflow 0
		.amdhsa_exception_fp_ieee_inexact 0
		.amdhsa_exception_int_div_zero 0
	.end_amdhsa_kernel
	.section	.text._ZN2at4cuda17kernelHistogram1DIfalLi1ELi2ELin1ELNS0_23CUDAHistogramMemoryTypeE0EZNS0_21CUDA_tensor_histogramIfaLb1EEEbNS_6TensorES4_S4_lNS_14AccumulateTypeIT0_Lb1EE4typeES8_NS0_13TensorArgTypeES9_S9_EUllE_EEvNS0_6detail10TensorInfoIT_T1_EESF_NSC_IKS6_SE_EElS8_S8_SE_T6_,"axG",@progbits,_ZN2at4cuda17kernelHistogram1DIfalLi1ELi2ELin1ELNS0_23CUDAHistogramMemoryTypeE0EZNS0_21CUDA_tensor_histogramIfaLb1EEEbNS_6TensorES4_S4_lNS_14AccumulateTypeIT0_Lb1EE4typeES8_NS0_13TensorArgTypeES9_S9_EUllE_EEvNS0_6detail10TensorInfoIT_T1_EESF_NSC_IKS6_SE_EElS8_S8_SE_T6_,comdat
.Lfunc_end12:
	.size	_ZN2at4cuda17kernelHistogram1DIfalLi1ELi2ELin1ELNS0_23CUDAHistogramMemoryTypeE0EZNS0_21CUDA_tensor_histogramIfaLb1EEEbNS_6TensorES4_S4_lNS_14AccumulateTypeIT0_Lb1EE4typeES8_NS0_13TensorArgTypeES9_S9_EUllE_EEvNS0_6detail10TensorInfoIT_T1_EESF_NSC_IKS6_SE_EElS8_S8_SE_T6_, .Lfunc_end12-_ZN2at4cuda17kernelHistogram1DIfalLi1ELi2ELin1ELNS0_23CUDAHistogramMemoryTypeE0EZNS0_21CUDA_tensor_histogramIfaLb1EEEbNS_6TensorES4_S4_lNS_14AccumulateTypeIT0_Lb1EE4typeES8_NS0_13TensorArgTypeES9_S9_EUllE_EEvNS0_6detail10TensorInfoIT_T1_EESF_NSC_IKS6_SE_EElS8_S8_SE_T6_
                                        ; -- End function
	.set _ZN2at4cuda17kernelHistogram1DIfalLi1ELi2ELin1ELNS0_23CUDAHistogramMemoryTypeE0EZNS0_21CUDA_tensor_histogramIfaLb1EEEbNS_6TensorES4_S4_lNS_14AccumulateTypeIT0_Lb1EE4typeES8_NS0_13TensorArgTypeES9_S9_EUllE_EEvNS0_6detail10TensorInfoIT_T1_EESF_NSC_IKS6_SE_EElS8_S8_SE_T6_.num_vgpr, 22
	.set _ZN2at4cuda17kernelHistogram1DIfalLi1ELi2ELin1ELNS0_23CUDAHistogramMemoryTypeE0EZNS0_21CUDA_tensor_histogramIfaLb1EEEbNS_6TensorES4_S4_lNS_14AccumulateTypeIT0_Lb1EE4typeES8_NS0_13TensorArgTypeES9_S9_EUllE_EEvNS0_6detail10TensorInfoIT_T1_EESF_NSC_IKS6_SE_EElS8_S8_SE_T6_.num_agpr, 0
	.set _ZN2at4cuda17kernelHistogram1DIfalLi1ELi2ELin1ELNS0_23CUDAHistogramMemoryTypeE0EZNS0_21CUDA_tensor_histogramIfaLb1EEEbNS_6TensorES4_S4_lNS_14AccumulateTypeIT0_Lb1EE4typeES8_NS0_13TensorArgTypeES9_S9_EUllE_EEvNS0_6detail10TensorInfoIT_T1_EESF_NSC_IKS6_SE_EElS8_S8_SE_T6_.numbered_sgpr, 56
	.set _ZN2at4cuda17kernelHistogram1DIfalLi1ELi2ELin1ELNS0_23CUDAHistogramMemoryTypeE0EZNS0_21CUDA_tensor_histogramIfaLb1EEEbNS_6TensorES4_S4_lNS_14AccumulateTypeIT0_Lb1EE4typeES8_NS0_13TensorArgTypeES9_S9_EUllE_EEvNS0_6detail10TensorInfoIT_T1_EESF_NSC_IKS6_SE_EElS8_S8_SE_T6_.num_named_barrier, 0
	.set _ZN2at4cuda17kernelHistogram1DIfalLi1ELi2ELin1ELNS0_23CUDAHistogramMemoryTypeE0EZNS0_21CUDA_tensor_histogramIfaLb1EEEbNS_6TensorES4_S4_lNS_14AccumulateTypeIT0_Lb1EE4typeES8_NS0_13TensorArgTypeES9_S9_EUllE_EEvNS0_6detail10TensorInfoIT_T1_EESF_NSC_IKS6_SE_EElS8_S8_SE_T6_.private_seg_size, 0
	.set _ZN2at4cuda17kernelHistogram1DIfalLi1ELi2ELin1ELNS0_23CUDAHistogramMemoryTypeE0EZNS0_21CUDA_tensor_histogramIfaLb1EEEbNS_6TensorES4_S4_lNS_14AccumulateTypeIT0_Lb1EE4typeES8_NS0_13TensorArgTypeES9_S9_EUllE_EEvNS0_6detail10TensorInfoIT_T1_EESF_NSC_IKS6_SE_EElS8_S8_SE_T6_.uses_vcc, 1
	.set _ZN2at4cuda17kernelHistogram1DIfalLi1ELi2ELin1ELNS0_23CUDAHistogramMemoryTypeE0EZNS0_21CUDA_tensor_histogramIfaLb1EEEbNS_6TensorES4_S4_lNS_14AccumulateTypeIT0_Lb1EE4typeES8_NS0_13TensorArgTypeES9_S9_EUllE_EEvNS0_6detail10TensorInfoIT_T1_EESF_NSC_IKS6_SE_EElS8_S8_SE_T6_.uses_flat_scratch, 0
	.set _ZN2at4cuda17kernelHistogram1DIfalLi1ELi2ELin1ELNS0_23CUDAHistogramMemoryTypeE0EZNS0_21CUDA_tensor_histogramIfaLb1EEEbNS_6TensorES4_S4_lNS_14AccumulateTypeIT0_Lb1EE4typeES8_NS0_13TensorArgTypeES9_S9_EUllE_EEvNS0_6detail10TensorInfoIT_T1_EESF_NSC_IKS6_SE_EElS8_S8_SE_T6_.has_dyn_sized_stack, 0
	.set _ZN2at4cuda17kernelHistogram1DIfalLi1ELi2ELin1ELNS0_23CUDAHistogramMemoryTypeE0EZNS0_21CUDA_tensor_histogramIfaLb1EEEbNS_6TensorES4_S4_lNS_14AccumulateTypeIT0_Lb1EE4typeES8_NS0_13TensorArgTypeES9_S9_EUllE_EEvNS0_6detail10TensorInfoIT_T1_EESF_NSC_IKS6_SE_EElS8_S8_SE_T6_.has_recursion, 0
	.set _ZN2at4cuda17kernelHistogram1DIfalLi1ELi2ELin1ELNS0_23CUDAHistogramMemoryTypeE0EZNS0_21CUDA_tensor_histogramIfaLb1EEEbNS_6TensorES4_S4_lNS_14AccumulateTypeIT0_Lb1EE4typeES8_NS0_13TensorArgTypeES9_S9_EUllE_EEvNS0_6detail10TensorInfoIT_T1_EESF_NSC_IKS6_SE_EElS8_S8_SE_T6_.has_indirect_call, 0
	.section	.AMDGPU.csdata,"",@progbits
; Kernel info:
; codeLenInByte = 2428
; TotalNumSgprs: 60
; NumVgprs: 22
; ScratchSize: 0
; MemoryBound: 0
; FloatMode: 240
; IeeeMode: 1
; LDSByteSize: 0 bytes/workgroup (compile time only)
; SGPRBlocks: 7
; VGPRBlocks: 5
; NumSGPRsForWavesPerEU: 60
; NumVGPRsForWavesPerEU: 22
; Occupancy: 10
; WaveLimiterHint : 1
; COMPUTE_PGM_RSRC2:SCRATCH_EN: 0
; COMPUTE_PGM_RSRC2:USER_SGPR: 6
; COMPUTE_PGM_RSRC2:TRAP_HANDLER: 0
; COMPUTE_PGM_RSRC2:TGID_X_EN: 1
; COMPUTE_PGM_RSRC2:TGID_Y_EN: 0
; COMPUTE_PGM_RSRC2:TGID_Z_EN: 0
; COMPUTE_PGM_RSRC2:TIDIG_COMP_CNT: 0
	.section	.text._ZN2at4cuda17kernelHistogram1DIfalLi1ELi2ELin1ELNS0_23CUDAHistogramMemoryTypeE1EZNS0_21CUDA_tensor_histogramIfaLb1EEEbNS_6TensorES4_S4_lNS_14AccumulateTypeIT0_Lb1EE4typeES8_NS0_13TensorArgTypeES9_S9_EUllE_EEvNS0_6detail10TensorInfoIT_T1_EESF_NSC_IKS6_SE_EElS8_S8_SE_T6_,"axG",@progbits,_ZN2at4cuda17kernelHistogram1DIfalLi1ELi2ELin1ELNS0_23CUDAHistogramMemoryTypeE1EZNS0_21CUDA_tensor_histogramIfaLb1EEEbNS_6TensorES4_S4_lNS_14AccumulateTypeIT0_Lb1EE4typeES8_NS0_13TensorArgTypeES9_S9_EUllE_EEvNS0_6detail10TensorInfoIT_T1_EESF_NSC_IKS6_SE_EElS8_S8_SE_T6_,comdat
	.protected	_ZN2at4cuda17kernelHistogram1DIfalLi1ELi2ELin1ELNS0_23CUDAHistogramMemoryTypeE1EZNS0_21CUDA_tensor_histogramIfaLb1EEEbNS_6TensorES4_S4_lNS_14AccumulateTypeIT0_Lb1EE4typeES8_NS0_13TensorArgTypeES9_S9_EUllE_EEvNS0_6detail10TensorInfoIT_T1_EESF_NSC_IKS6_SE_EElS8_S8_SE_T6_ ; -- Begin function _ZN2at4cuda17kernelHistogram1DIfalLi1ELi2ELin1ELNS0_23CUDAHistogramMemoryTypeE1EZNS0_21CUDA_tensor_histogramIfaLb1EEEbNS_6TensorES4_S4_lNS_14AccumulateTypeIT0_Lb1EE4typeES8_NS0_13TensorArgTypeES9_S9_EUllE_EEvNS0_6detail10TensorInfoIT_T1_EESF_NSC_IKS6_SE_EElS8_S8_SE_T6_
	.globl	_ZN2at4cuda17kernelHistogram1DIfalLi1ELi2ELin1ELNS0_23CUDAHistogramMemoryTypeE1EZNS0_21CUDA_tensor_histogramIfaLb1EEEbNS_6TensorES4_S4_lNS_14AccumulateTypeIT0_Lb1EE4typeES8_NS0_13TensorArgTypeES9_S9_EUllE_EEvNS0_6detail10TensorInfoIT_T1_EESF_NSC_IKS6_SE_EElS8_S8_SE_T6_
	.p2align	8
	.type	_ZN2at4cuda17kernelHistogram1DIfalLi1ELi2ELin1ELNS0_23CUDAHistogramMemoryTypeE1EZNS0_21CUDA_tensor_histogramIfaLb1EEEbNS_6TensorES4_S4_lNS_14AccumulateTypeIT0_Lb1EE4typeES8_NS0_13TensorArgTypeES9_S9_EUllE_EEvNS0_6detail10TensorInfoIT_T1_EESF_NSC_IKS6_SE_EElS8_S8_SE_T6_,@function
_ZN2at4cuda17kernelHistogram1DIfalLi1ELi2ELin1ELNS0_23CUDAHistogramMemoryTypeE1EZNS0_21CUDA_tensor_histogramIfaLb1EEEbNS_6TensorES4_S4_lNS_14AccumulateTypeIT0_Lb1EE4typeES8_NS0_13TensorArgTypeES9_S9_EUllE_EEvNS0_6detail10TensorInfoIT_T1_EESF_NSC_IKS6_SE_EElS8_S8_SE_T6_: ; @_ZN2at4cuda17kernelHistogram1DIfalLi1ELi2ELin1ELNS0_23CUDAHistogramMemoryTypeE1EZNS0_21CUDA_tensor_histogramIfaLb1EEEbNS_6TensorES4_S4_lNS_14AccumulateTypeIT0_Lb1EE4typeES8_NS0_13TensorArgTypeES9_S9_EUllE_EEvNS0_6detail10TensorInfoIT_T1_EESF_NSC_IKS6_SE_EElS8_S8_SE_T6_
; %bb.0:
	s_load_dword s2, s[4:5], 0x6ac
	s_load_dwordx8 s[8:15], s[4:5], 0x4e0
	s_add_u32 s0, s4, 0x6a0
	s_addc_u32 s1, s5, 0
	v_mov_b32_e32 v2, 0
	s_waitcnt lgkmcnt(0)
	s_and_b32 s2, s2, 0xffff
	s_mul_i32 s6, s6, s2
	v_add_u32_e32 v0, s6, v0
	v_mov_b32_e32 v1, v2
	v_cmp_gt_i64_e32 vcc, s[14:15], v[0:1]
	s_and_saveexec_b64 s[6:7], vcc
	s_cbranch_execz .LBB13_17
; %bb.1:
	s_load_dwordx2 s[6:7], s[4:5], 0x5d0
	s_load_dword s26, s[4:5], 0x4d8
	s_load_dwordx2 s[16:17], s[4:5], 0x500
	s_load_dword s3, s[0:1], 0x0
	s_add_u32 s27, s4, 0x340
	s_addc_u32 s28, s5, 0
	s_waitcnt lgkmcnt(0)
	s_cmp_gt_i32 s26, 1
	s_cselect_b64 s[0:1], -1, 0
	s_load_dwordx2 s[18:19], s[4:5], 0x0
	s_load_dwordx2 s[20:21], s[4:5], 0xd0
	;; [unrolled: 1-line block ×4, first 2 shown]
	s_sub_u32 s33, s12, s10
	s_subb_u32 s40, s13, s11
	s_mul_i32 s41, s3, s2
	s_mov_b32 s3, 0
	s_add_i32 s2, s26, -1
	s_add_i32 s42, s26, 1
	s_lshl_b64 s[2:3], s[2:3], 3
	s_add_u32 s2, s27, s2
	s_addc_u32 s3, s28, s3
	s_add_u32 s4, s2, 8
	v_cndmask_b32_e64 v3, 0, 1, s[0:1]
	s_addc_u32 s5, s3, 0
	s_mov_b64 s[26:27], 0
	v_cmp_ne_u32_e64 s[0:1], 1, v3
	s_branch .LBB13_3
.LBB13_2:                               ;   in Loop: Header=BB13_3 Depth=1
	s_or_b64 exec, exec, s[28:29]
	v_add_co_u32_e32 v0, vcc, s41, v0
	v_addc_co_u32_e32 v1, vcc, 0, v1, vcc
	v_cmp_le_i64_e32 vcc, s[14:15], v[0:1]
	s_or_b64 s[26:27], vcc, s[26:27]
	s_andn2_b64 exec, exec, s[26:27]
	s_cbranch_execz .LBB13_17
.LBB13_3:                               ; =>This Loop Header: Depth=1
                                        ;     Child Loop BB13_4 Depth 2
                                        ;     Child Loop BB13_16 Depth 2
	v_mov_b32_e32 v4, 0
	v_mov_b32_e32 v7, v1
	;; [unrolled: 1-line block ×4, first 2 shown]
	s_and_b64 vcc, exec, s[0:1]
	s_mov_b64 s[28:29], s[4:5]
	s_mov_b32 s43, s42
	v_mov_b32_e32 v6, v0
	v_mov_b32_e32 v8, v0
	s_cbranch_vccnz .LBB13_10
.LBB13_4:                               ;   Parent Loop BB13_3 Depth=1
                                        ; =>  This Inner Loop Header: Depth=2
	s_load_dwordx2 s[30:31], s[28:29], 0x0
                                        ; implicit-def: $vgpr8_vgpr9
	s_waitcnt lgkmcnt(0)
	v_or_b32_e32 v3, s31, v7
	v_cmp_ne_u64_e32 vcc, 0, v[2:3]
	s_and_saveexec_b64 s[2:3], vcc
	s_xor_b64 s[34:35], exec, s[2:3]
	s_cbranch_execz .LBB13_6
; %bb.5:                                ;   in Loop: Header=BB13_4 Depth=2
	s_ashr_i32 s36, s31, 31
	s_add_u32 s2, s30, s36
	s_mov_b32 s37, s36
	s_addc_u32 s3, s31, s36
	s_xor_b64 s[38:39], s[2:3], s[36:37]
	v_cvt_f32_u32_e32 v3, s38
	v_cvt_f32_u32_e32 v8, s39
	s_sub_u32 s37, 0, s38
	s_subb_u32 s44, 0, s39
	v_mac_f32_e32 v3, 0x4f800000, v8
	v_rcp_f32_e32 v3, v3
	v_mul_f32_e32 v3, 0x5f7ffffc, v3
	v_mul_f32_e32 v8, 0x2f800000, v3
	v_trunc_f32_e32 v8, v8
	v_mac_f32_e32 v3, 0xcf800000, v8
	v_cvt_u32_f32_e32 v8, v8
	v_cvt_u32_f32_e32 v3, v3
	v_readfirstlane_b32 s45, v8
	v_readfirstlane_b32 s2, v3
	s_mul_i32 s3, s37, s45
	s_mul_hi_u32 s47, s37, s2
	s_mul_i32 s46, s44, s2
	s_add_i32 s3, s47, s3
	s_add_i32 s3, s3, s46
	s_mul_i32 s48, s37, s2
	s_mul_i32 s47, s2, s3
	s_mul_hi_u32 s49, s2, s48
	s_mul_hi_u32 s46, s2, s3
	s_add_u32 s47, s49, s47
	s_addc_u32 s46, 0, s46
	s_mul_hi_u32 s50, s45, s48
	s_mul_i32 s48, s45, s48
	s_add_u32 s47, s47, s48
	s_mul_hi_u32 s49, s45, s3
	s_addc_u32 s46, s46, s50
	s_addc_u32 s47, s49, 0
	s_mul_i32 s3, s45, s3
	s_add_u32 s3, s46, s3
	s_addc_u32 s46, 0, s47
	s_add_u32 s47, s2, s3
	s_cselect_b64 s[2:3], -1, 0
	s_cmp_lg_u64 s[2:3], 0
	s_addc_u32 s45, s45, s46
	s_mul_i32 s2, s37, s45
	s_mul_hi_u32 s3, s37, s47
	s_add_i32 s2, s3, s2
	s_mul_i32 s44, s44, s47
	s_add_i32 s2, s2, s44
	s_mul_i32 s37, s37, s47
	s_mul_hi_u32 s44, s45, s37
	s_mul_i32 s46, s45, s37
	s_mul_i32 s49, s47, s2
	s_mul_hi_u32 s37, s47, s37
	s_mul_hi_u32 s48, s47, s2
	s_add_u32 s37, s37, s49
	s_addc_u32 s48, 0, s48
	s_add_u32 s37, s37, s46
	s_mul_hi_u32 s3, s45, s2
	s_addc_u32 s37, s48, s44
	s_addc_u32 s3, s3, 0
	s_mul_i32 s2, s45, s2
	s_add_u32 s2, s37, s2
	s_addc_u32 s37, 0, s3
	s_add_u32 s44, s47, s2
	s_cselect_b64 s[2:3], -1, 0
	v_ashrrev_i32_e32 v3, 31, v7
	s_cmp_lg_u64 s[2:3], 0
	v_add_co_u32_e32 v8, vcc, v6, v3
	s_addc_u32 s37, s45, s37
	v_xor_b32_e32 v12, v8, v3
	v_mad_u64_u32 v[8:9], s[2:3], v12, s37, 0
	v_mul_hi_u32 v11, v12, s44
	v_addc_co_u32_e32 v10, vcc, v7, v3, vcc
	v_xor_b32_e32 v13, v10, v3
	v_add_co_u32_e32 v14, vcc, v11, v8
	v_addc_co_u32_e32 v15, vcc, 0, v9, vcc
	v_mad_u64_u32 v[8:9], s[2:3], v13, s44, 0
	v_mad_u64_u32 v[10:11], s[2:3], v13, s37, 0
	v_add_co_u32_e32 v8, vcc, v14, v8
	v_addc_co_u32_e32 v8, vcc, v15, v9, vcc
	v_addc_co_u32_e32 v9, vcc, 0, v11, vcc
	v_add_co_u32_e32 v10, vcc, v8, v10
	v_addc_co_u32_e32 v11, vcc, 0, v9, vcc
	v_mul_lo_u32 v14, s39, v10
	v_mul_lo_u32 v15, s38, v11
	v_mad_u64_u32 v[8:9], s[2:3], s38, v10, 0
	v_xor_b32_e32 v3, s36, v3
	v_add3_u32 v9, v9, v15, v14
	v_sub_u32_e32 v14, v13, v9
	v_mov_b32_e32 v15, s39
	v_sub_co_u32_e32 v8, vcc, v12, v8
	v_subb_co_u32_e64 v12, s[2:3], v14, v15, vcc
	v_subrev_co_u32_e64 v14, s[2:3], s38, v8
	v_subbrev_co_u32_e64 v12, s[2:3], 0, v12, s[2:3]
	v_cmp_le_u32_e64 s[2:3], s39, v12
	v_cndmask_b32_e64 v15, 0, -1, s[2:3]
	v_cmp_le_u32_e64 s[2:3], s38, v14
	v_cndmask_b32_e64 v14, 0, -1, s[2:3]
	v_cmp_eq_u32_e64 s[2:3], s39, v12
	v_cndmask_b32_e64 v12, v15, v14, s[2:3]
	v_add_co_u32_e64 v14, s[2:3], 2, v10
	v_subb_co_u32_e32 v9, vcc, v13, v9, vcc
	v_addc_co_u32_e64 v15, s[2:3], 0, v11, s[2:3]
	v_cmp_le_u32_e32 vcc, s39, v9
	v_add_co_u32_e64 v16, s[2:3], 1, v10
	v_cndmask_b32_e64 v13, 0, -1, vcc
	v_cmp_le_u32_e32 vcc, s38, v8
	v_addc_co_u32_e64 v17, s[2:3], 0, v11, s[2:3]
	v_cndmask_b32_e64 v8, 0, -1, vcc
	v_cmp_eq_u32_e32 vcc, s39, v9
	v_cmp_ne_u32_e64 s[2:3], 0, v12
	v_cndmask_b32_e32 v8, v13, v8, vcc
	v_cndmask_b32_e64 v12, v17, v15, s[2:3]
	v_cmp_ne_u32_e32 vcc, 0, v8
	v_cndmask_b32_e64 v9, v16, v14, s[2:3]
	v_cndmask_b32_e32 v8, v11, v12, vcc
	v_cndmask_b32_e32 v9, v10, v9, vcc
	v_xor_b32_e32 v10, v8, v3
	v_xor_b32_e32 v8, v9, v3
	v_sub_co_u32_e32 v8, vcc, v8, v3
	v_subb_co_u32_e32 v9, vcc, v10, v3, vcc
.LBB13_6:                               ;   in Loop: Header=BB13_4 Depth=2
	s_andn2_saveexec_b64 s[2:3], s[34:35]
	s_cbranch_execz .LBB13_8
; %bb.7:                                ;   in Loop: Header=BB13_4 Depth=2
	v_cvt_f32_u32_e32 v3, s30
	s_sub_i32 s34, 0, s30
	v_rcp_iflag_f32_e32 v3, v3
	v_mul_f32_e32 v3, 0x4f7ffffe, v3
	v_cvt_u32_f32_e32 v3, v3
	v_mul_lo_u32 v8, s34, v3
	v_mul_hi_u32 v8, v3, v8
	v_add_u32_e32 v3, v3, v8
	v_mul_hi_u32 v3, v6, v3
	v_mul_lo_u32 v8, v3, s30
	v_add_u32_e32 v9, 1, v3
	v_sub_u32_e32 v8, v6, v8
	v_subrev_u32_e32 v10, s30, v8
	v_cmp_le_u32_e32 vcc, s30, v8
	v_cndmask_b32_e32 v8, v8, v10, vcc
	v_cndmask_b32_e32 v3, v3, v9, vcc
	v_add_u32_e32 v9, 1, v3
	v_cmp_le_u32_e32 vcc, s30, v8
	v_cndmask_b32_e32 v8, v3, v9, vcc
	v_mov_b32_e32 v9, v2
.LBB13_8:                               ;   in Loop: Header=BB13_4 Depth=2
	s_or_b64 exec, exec, s[2:3]
	v_mul_lo_u32 v3, v9, s30
	v_mul_lo_u32 v12, v8, s31
	v_mad_u64_u32 v[10:11], s[2:3], v8, s30, 0
	s_load_dwordx2 s[2:3], s[28:29], 0xc8
	s_add_i32 s43, s43, -1
	v_add3_u32 v3, v11, v12, v3
	v_sub_co_u32_e32 v6, vcc, v6, v10
	v_subb_co_u32_e32 v3, vcc, v7, v3, vcc
	s_waitcnt lgkmcnt(0)
	v_mul_lo_u32 v3, s2, v3
	v_mul_lo_u32 v7, s3, v6
	v_mad_u64_u32 v[4:5], s[2:3], s2, v6, v[4:5]
	s_add_u32 s28, s28, -8
	s_addc_u32 s29, s29, -1
	s_cmp_gt_u32 s43, 2
	v_add3_u32 v5, v7, v5, v3
	s_cbranch_scc0 .LBB13_10
; %bb.9:                                ;   in Loop: Header=BB13_4 Depth=2
	v_mov_b32_e32 v6, v8
	v_mov_b32_e32 v7, v9
	s_branch .LBB13_4
.LBB13_10:                              ;   in Loop: Header=BB13_3 Depth=1
	s_waitcnt lgkmcnt(0)
	v_mov_b32_e32 v6, s24
	v_mov_b32_e32 v7, s25
	v_mul_lo_u32 v3, s22, v9
	v_mul_lo_u32 v9, s23, v8
	v_mad_u64_u32 v[6:7], s[2:3], s22, v8, v[6:7]
	v_add3_u32 v7, v9, v7, v3
	v_add_co_u32_e32 v3, vcc, v6, v4
	v_addc_co_u32_e32 v4, vcc, v7, v5, vcc
	global_load_sbyte v3, v[3:4], off
	s_waitcnt vmcnt(0)
	v_bfe_i32 v3, v3, 0, 16
	v_ashrrev_i32_e32 v4, 31, v3
	v_cmp_le_i64_e32 vcc, s[10:11], v[3:4]
	v_cmp_ge_i64_e64 s[2:3], s[12:13], v[3:4]
	s_and_b64 s[2:3], vcc, s[2:3]
	s_and_saveexec_b64 s[28:29], s[2:3]
	s_cbranch_execz .LBB13_2
; %bb.11:                               ;   in Loop: Header=BB13_3 Depth=1
	v_mov_b32_e32 v5, s11
	v_subrev_co_u32_e32 v3, vcc, s10, v3
	v_subb_co_u32_e32 v4, vcc, v4, v5, vcc
	v_mul_lo_u32 v6, v4, s8
	v_mul_lo_u32 v7, v3, s9
	v_mad_u64_u32 v[4:5], s[2:3], v3, s8, 0
	v_add3_u32 v5, v5, v7, v6
	v_or_b32_e32 v3, s40, v5
	v_cmp_ne_u64_e32 vcc, 0, v[2:3]
                                        ; implicit-def: $vgpr6_vgpr7
	s_and_saveexec_b64 s[2:3], vcc
	s_xor_b64 s[30:31], exec, s[2:3]
	s_cbranch_execz .LBB13_13
; %bb.12:                               ;   in Loop: Header=BB13_3 Depth=1
	s_ashr_i32 s34, s40, 31
	s_add_u32 s2, s33, s34
	s_mov_b32 s35, s34
	s_addc_u32 s3, s40, s34
	s_xor_b64 s[36:37], s[2:3], s[34:35]
	v_cvt_f32_u32_e32 v3, s36
	v_cvt_f32_u32_e32 v6, s37
	s_sub_u32 s35, 0, s36
	s_subb_u32 s38, 0, s37
	v_ashrrev_i32_e32 v7, 31, v5
	v_mac_f32_e32 v3, 0x4f800000, v6
	v_rcp_f32_e32 v3, v3
	v_mul_f32_e32 v3, 0x5f7ffffc, v3
	v_mul_f32_e32 v6, 0x2f800000, v3
	v_trunc_f32_e32 v6, v6
	v_mac_f32_e32 v3, 0xcf800000, v6
	v_cvt_u32_f32_e32 v6, v6
	v_cvt_u32_f32_e32 v3, v3
	v_readfirstlane_b32 s39, v6
	v_readfirstlane_b32 s2, v3
	s_mul_i32 s3, s35, s39
	s_mul_hi_u32 s44, s35, s2
	s_mul_i32 s43, s38, s2
	s_add_i32 s3, s44, s3
	s_add_i32 s3, s3, s43
	s_mul_i32 s45, s35, s2
	s_mul_i32 s44, s2, s3
	s_mul_hi_u32 s46, s2, s45
	s_mul_hi_u32 s43, s2, s3
	s_add_u32 s44, s46, s44
	s_addc_u32 s43, 0, s43
	s_mul_hi_u32 s47, s39, s45
	s_mul_i32 s45, s39, s45
	s_add_u32 s44, s44, s45
	s_mul_hi_u32 s46, s39, s3
	s_addc_u32 s43, s43, s47
	s_addc_u32 s44, s46, 0
	s_mul_i32 s3, s39, s3
	s_add_u32 s3, s43, s3
	s_addc_u32 s43, 0, s44
	s_add_u32 s44, s2, s3
	s_cselect_b64 s[2:3], -1, 0
	s_cmp_lg_u64 s[2:3], 0
	s_addc_u32 s39, s39, s43
	s_mul_i32 s2, s35, s39
	s_mul_hi_u32 s3, s35, s44
	s_add_i32 s2, s3, s2
	s_mul_i32 s38, s38, s44
	s_add_i32 s2, s2, s38
	s_mul_i32 s35, s35, s44
	s_mul_hi_u32 s38, s39, s35
	s_mul_i32 s43, s39, s35
	s_mul_i32 s46, s44, s2
	s_mul_hi_u32 s35, s44, s35
	s_mul_hi_u32 s45, s44, s2
	s_add_u32 s35, s35, s46
	s_addc_u32 s45, 0, s45
	s_add_u32 s35, s35, s43
	s_mul_hi_u32 s3, s39, s2
	s_addc_u32 s35, s45, s38
	s_addc_u32 s3, s3, 0
	s_mul_i32 s2, s39, s2
	s_add_u32 s2, s35, s2
	s_addc_u32 s35, 0, s3
	s_add_u32 s38, s44, s2
	s_cselect_b64 s[2:3], -1, 0
	s_cmp_lg_u64 s[2:3], 0
	v_add_co_u32_e32 v3, vcc, v4, v7
	s_addc_u32 s35, s39, s35
	v_xor_b32_e32 v8, v3, v7
	v_mad_u64_u32 v[3:4], s[2:3], v8, s35, 0
	v_mul_hi_u32 v6, v8, s38
	v_addc_co_u32_e32 v5, vcc, v5, v7, vcc
	v_xor_b32_e32 v9, v5, v7
	v_add_co_u32_e32 v10, vcc, v6, v3
	v_addc_co_u32_e32 v11, vcc, 0, v4, vcc
	v_mad_u64_u32 v[3:4], s[2:3], v9, s38, 0
	v_mad_u64_u32 v[5:6], s[2:3], v9, s35, 0
	v_add_co_u32_e32 v3, vcc, v10, v3
	v_addc_co_u32_e32 v3, vcc, v11, v4, vcc
	v_addc_co_u32_e32 v4, vcc, 0, v6, vcc
	v_add_co_u32_e32 v5, vcc, v3, v5
	v_addc_co_u32_e32 v3, vcc, 0, v4, vcc
	v_mul_lo_u32 v6, s37, v5
	v_mul_lo_u32 v10, s36, v3
	v_mad_u64_u32 v[3:4], s[2:3], s36, v5, 0
	v_add3_u32 v4, v4, v10, v6
	v_sub_u32_e32 v6, v9, v4
	v_mov_b32_e32 v10, s37
	v_sub_co_u32_e32 v3, vcc, v8, v3
	v_subb_co_u32_e64 v6, s[2:3], v6, v10, vcc
	v_subrev_co_u32_e64 v8, s[2:3], s36, v3
	v_subbrev_co_u32_e64 v6, s[2:3], 0, v6, s[2:3]
	v_cmp_le_u32_e64 s[2:3], s37, v6
	v_subb_co_u32_e32 v4, vcc, v9, v4, vcc
	v_cndmask_b32_e64 v10, 0, -1, s[2:3]
	v_cmp_le_u32_e64 s[2:3], s36, v8
	v_cmp_le_u32_e32 vcc, s37, v4
	v_cndmask_b32_e64 v8, 0, -1, s[2:3]
	v_cmp_eq_u32_e64 s[2:3], s37, v6
	v_cndmask_b32_e64 v9, 0, -1, vcc
	v_cmp_le_u32_e32 vcc, s36, v3
	v_cndmask_b32_e64 v6, v10, v8, s[2:3]
	v_cndmask_b32_e64 v3, 0, -1, vcc
	v_cmp_eq_u32_e32 vcc, s37, v4
	v_add_co_u32_e64 v8, s[2:3], 2, v5
	v_add_co_u32_e64 v10, s[2:3], 1, v5
	v_cndmask_b32_e32 v3, v9, v3, vcc
	v_cmp_ne_u32_e32 vcc, 0, v6
	v_cndmask_b32_e32 v4, v10, v8, vcc
	v_cmp_ne_u32_e32 vcc, 0, v3
	v_cndmask_b32_e32 v3, v5, v4, vcc
	v_xor_b32_e32 v4, s34, v7
	v_xor_b32_e32 v3, v3, v4
	v_sub_co_u32_e32 v6, vcc, v3, v4
                                        ; implicit-def: $vgpr4_vgpr5
.LBB13_13:                              ;   in Loop: Header=BB13_3 Depth=1
	s_andn2_saveexec_b64 s[2:3], s[30:31]
	s_cbranch_execz .LBB13_15
; %bb.14:                               ;   in Loop: Header=BB13_3 Depth=1
	v_cvt_f32_u32_e32 v3, s33
	s_sub_i32 s30, 0, s33
	v_rcp_iflag_f32_e32 v3, v3
	v_mul_f32_e32 v3, 0x4f7ffffe, v3
	v_cvt_u32_f32_e32 v3, v3
	v_mul_lo_u32 v5, s30, v3
	v_mul_hi_u32 v5, v3, v5
	v_add_u32_e32 v3, v3, v5
	v_mul_hi_u32 v3, v4, v3
	v_mul_lo_u32 v5, v3, s33
	v_add_u32_e32 v6, 1, v3
	v_sub_u32_e32 v4, v4, v5
	v_subrev_u32_e32 v5, s33, v4
	v_cmp_le_u32_e32 vcc, s33, v4
	v_cndmask_b32_e32 v4, v4, v5, vcc
	v_cndmask_b32_e32 v3, v3, v6, vcc
	v_add_u32_e32 v5, 1, v3
	v_cmp_le_u32_e32 vcc, s33, v4
	v_cndmask_b32_e32 v6, v3, v5, vcc
.LBB13_15:                              ;   in Loop: Header=BB13_3 Depth=1
	s_or_b64 exec, exec, s[2:3]
	v_ashrrev_i32_e32 v7, 31, v6
	v_cmp_eq_u64_e32 vcc, s[8:9], v[6:7]
	v_mul_lo_u32 v8, v1, s6
	v_cndmask_b32_e64 v3, 0, 1, vcc
	v_sub_co_u32_e32 v3, vcc, v6, v3
	v_subbrev_co_u32_e32 v4, vcc, 0, v7, vcc
	v_mul_lo_u32 v5, v4, s20
	v_mul_lo_u32 v6, v3, s21
	v_mad_u64_u32 v[3:4], s[2:3], v3, s20, 0
	v_mul_lo_u32 v9, v0, s7
	v_mov_b32_e32 v7, s19
	v_add3_u32 v4, v4, v6, v5
	v_mad_u64_u32 v[5:6], s[2:3], v0, s6, 0
	v_lshlrev_b64 v[3:4], 2, v[3:4]
	s_mov_b64 s[2:3], 0
	v_add3_u32 v6, v6, v9, v8
	v_add_co_u32_e32 v3, vcc, s18, v3
	v_lshlrev_b64 v[5:6], 2, v[5:6]
	v_addc_co_u32_e32 v4, vcc, v7, v4, vcc
	v_mov_b32_e32 v7, s17
	v_add_co_u32_e32 v8, vcc, s16, v5
	v_addc_co_u32_e32 v9, vcc, v7, v6, vcc
	global_load_dword v7, v[8:9], off
	global_load_dword v6, v[3:4], off
.LBB13_16:                              ;   Parent Loop BB13_3 Depth=1
                                        ; =>  This Inner Loop Header: Depth=2
	s_waitcnt vmcnt(0)
	v_add_f32_e32 v5, v6, v7
	global_atomic_cmpswap v5, v[3:4], v[5:6], off glc
	s_waitcnt vmcnt(0)
	v_cmp_eq_u32_e32 vcc, v5, v6
	s_or_b64 s[2:3], vcc, s[2:3]
	v_mov_b32_e32 v6, v5
	s_andn2_b64 exec, exec, s[2:3]
	s_cbranch_execnz .LBB13_16
	s_branch .LBB13_2
.LBB13_17:
	s_endpgm
	.section	.rodata,"a",@progbits
	.p2align	6, 0x0
	.amdhsa_kernel _ZN2at4cuda17kernelHistogram1DIfalLi1ELi2ELin1ELNS0_23CUDAHistogramMemoryTypeE1EZNS0_21CUDA_tensor_histogramIfaLb1EEEbNS_6TensorES4_S4_lNS_14AccumulateTypeIT0_Lb1EE4typeES8_NS0_13TensorArgTypeES9_S9_EUllE_EEvNS0_6detail10TensorInfoIT_T1_EESF_NSC_IKS6_SE_EElS8_S8_SE_T6_
		.amdhsa_group_segment_fixed_size 0
		.amdhsa_private_segment_fixed_size 0
		.amdhsa_kernarg_size 1952
		.amdhsa_user_sgpr_count 6
		.amdhsa_user_sgpr_private_segment_buffer 1
		.amdhsa_user_sgpr_dispatch_ptr 0
		.amdhsa_user_sgpr_queue_ptr 0
		.amdhsa_user_sgpr_kernarg_segment_ptr 1
		.amdhsa_user_sgpr_dispatch_id 0
		.amdhsa_user_sgpr_flat_scratch_init 0
		.amdhsa_user_sgpr_private_segment_size 0
		.amdhsa_uses_dynamic_stack 0
		.amdhsa_system_sgpr_private_segment_wavefront_offset 0
		.amdhsa_system_sgpr_workgroup_id_x 1
		.amdhsa_system_sgpr_workgroup_id_y 0
		.amdhsa_system_sgpr_workgroup_id_z 0
		.amdhsa_system_sgpr_workgroup_info 0
		.amdhsa_system_vgpr_workitem_id 0
		.amdhsa_next_free_vgpr 18
		.amdhsa_next_free_sgpr 51
		.amdhsa_reserve_vcc 1
		.amdhsa_reserve_flat_scratch 0
		.amdhsa_float_round_mode_32 0
		.amdhsa_float_round_mode_16_64 0
		.amdhsa_float_denorm_mode_32 3
		.amdhsa_float_denorm_mode_16_64 3
		.amdhsa_dx10_clamp 1
		.amdhsa_ieee_mode 1
		.amdhsa_fp16_overflow 0
		.amdhsa_exception_fp_ieee_invalid_op 0
		.amdhsa_exception_fp_denorm_src 0
		.amdhsa_exception_fp_ieee_div_zero 0
		.amdhsa_exception_fp_ieee_overflow 0
		.amdhsa_exception_fp_ieee_underflow 0
		.amdhsa_exception_fp_ieee_inexact 0
		.amdhsa_exception_int_div_zero 0
	.end_amdhsa_kernel
	.section	.text._ZN2at4cuda17kernelHistogram1DIfalLi1ELi2ELin1ELNS0_23CUDAHistogramMemoryTypeE1EZNS0_21CUDA_tensor_histogramIfaLb1EEEbNS_6TensorES4_S4_lNS_14AccumulateTypeIT0_Lb1EE4typeES8_NS0_13TensorArgTypeES9_S9_EUllE_EEvNS0_6detail10TensorInfoIT_T1_EESF_NSC_IKS6_SE_EElS8_S8_SE_T6_,"axG",@progbits,_ZN2at4cuda17kernelHistogram1DIfalLi1ELi2ELin1ELNS0_23CUDAHistogramMemoryTypeE1EZNS0_21CUDA_tensor_histogramIfaLb1EEEbNS_6TensorES4_S4_lNS_14AccumulateTypeIT0_Lb1EE4typeES8_NS0_13TensorArgTypeES9_S9_EUllE_EEvNS0_6detail10TensorInfoIT_T1_EESF_NSC_IKS6_SE_EElS8_S8_SE_T6_,comdat
.Lfunc_end13:
	.size	_ZN2at4cuda17kernelHistogram1DIfalLi1ELi2ELin1ELNS0_23CUDAHistogramMemoryTypeE1EZNS0_21CUDA_tensor_histogramIfaLb1EEEbNS_6TensorES4_S4_lNS_14AccumulateTypeIT0_Lb1EE4typeES8_NS0_13TensorArgTypeES9_S9_EUllE_EEvNS0_6detail10TensorInfoIT_T1_EESF_NSC_IKS6_SE_EElS8_S8_SE_T6_, .Lfunc_end13-_ZN2at4cuda17kernelHistogram1DIfalLi1ELi2ELin1ELNS0_23CUDAHistogramMemoryTypeE1EZNS0_21CUDA_tensor_histogramIfaLb1EEEbNS_6TensorES4_S4_lNS_14AccumulateTypeIT0_Lb1EE4typeES8_NS0_13TensorArgTypeES9_S9_EUllE_EEvNS0_6detail10TensorInfoIT_T1_EESF_NSC_IKS6_SE_EElS8_S8_SE_T6_
                                        ; -- End function
	.set _ZN2at4cuda17kernelHistogram1DIfalLi1ELi2ELin1ELNS0_23CUDAHistogramMemoryTypeE1EZNS0_21CUDA_tensor_histogramIfaLb1EEEbNS_6TensorES4_S4_lNS_14AccumulateTypeIT0_Lb1EE4typeES8_NS0_13TensorArgTypeES9_S9_EUllE_EEvNS0_6detail10TensorInfoIT_T1_EESF_NSC_IKS6_SE_EElS8_S8_SE_T6_.num_vgpr, 18
	.set _ZN2at4cuda17kernelHistogram1DIfalLi1ELi2ELin1ELNS0_23CUDAHistogramMemoryTypeE1EZNS0_21CUDA_tensor_histogramIfaLb1EEEbNS_6TensorES4_S4_lNS_14AccumulateTypeIT0_Lb1EE4typeES8_NS0_13TensorArgTypeES9_S9_EUllE_EEvNS0_6detail10TensorInfoIT_T1_EESF_NSC_IKS6_SE_EElS8_S8_SE_T6_.num_agpr, 0
	.set _ZN2at4cuda17kernelHistogram1DIfalLi1ELi2ELin1ELNS0_23CUDAHistogramMemoryTypeE1EZNS0_21CUDA_tensor_histogramIfaLb1EEEbNS_6TensorES4_S4_lNS_14AccumulateTypeIT0_Lb1EE4typeES8_NS0_13TensorArgTypeES9_S9_EUllE_EEvNS0_6detail10TensorInfoIT_T1_EESF_NSC_IKS6_SE_EElS8_S8_SE_T6_.numbered_sgpr, 51
	.set _ZN2at4cuda17kernelHistogram1DIfalLi1ELi2ELin1ELNS0_23CUDAHistogramMemoryTypeE1EZNS0_21CUDA_tensor_histogramIfaLb1EEEbNS_6TensorES4_S4_lNS_14AccumulateTypeIT0_Lb1EE4typeES8_NS0_13TensorArgTypeES9_S9_EUllE_EEvNS0_6detail10TensorInfoIT_T1_EESF_NSC_IKS6_SE_EElS8_S8_SE_T6_.num_named_barrier, 0
	.set _ZN2at4cuda17kernelHistogram1DIfalLi1ELi2ELin1ELNS0_23CUDAHistogramMemoryTypeE1EZNS0_21CUDA_tensor_histogramIfaLb1EEEbNS_6TensorES4_S4_lNS_14AccumulateTypeIT0_Lb1EE4typeES8_NS0_13TensorArgTypeES9_S9_EUllE_EEvNS0_6detail10TensorInfoIT_T1_EESF_NSC_IKS6_SE_EElS8_S8_SE_T6_.private_seg_size, 0
	.set _ZN2at4cuda17kernelHistogram1DIfalLi1ELi2ELin1ELNS0_23CUDAHistogramMemoryTypeE1EZNS0_21CUDA_tensor_histogramIfaLb1EEEbNS_6TensorES4_S4_lNS_14AccumulateTypeIT0_Lb1EE4typeES8_NS0_13TensorArgTypeES9_S9_EUllE_EEvNS0_6detail10TensorInfoIT_T1_EESF_NSC_IKS6_SE_EElS8_S8_SE_T6_.uses_vcc, 1
	.set _ZN2at4cuda17kernelHistogram1DIfalLi1ELi2ELin1ELNS0_23CUDAHistogramMemoryTypeE1EZNS0_21CUDA_tensor_histogramIfaLb1EEEbNS_6TensorES4_S4_lNS_14AccumulateTypeIT0_Lb1EE4typeES8_NS0_13TensorArgTypeES9_S9_EUllE_EEvNS0_6detail10TensorInfoIT_T1_EESF_NSC_IKS6_SE_EElS8_S8_SE_T6_.uses_flat_scratch, 0
	.set _ZN2at4cuda17kernelHistogram1DIfalLi1ELi2ELin1ELNS0_23CUDAHistogramMemoryTypeE1EZNS0_21CUDA_tensor_histogramIfaLb1EEEbNS_6TensorES4_S4_lNS_14AccumulateTypeIT0_Lb1EE4typeES8_NS0_13TensorArgTypeES9_S9_EUllE_EEvNS0_6detail10TensorInfoIT_T1_EESF_NSC_IKS6_SE_EElS8_S8_SE_T6_.has_dyn_sized_stack, 0
	.set _ZN2at4cuda17kernelHistogram1DIfalLi1ELi2ELin1ELNS0_23CUDAHistogramMemoryTypeE1EZNS0_21CUDA_tensor_histogramIfaLb1EEEbNS_6TensorES4_S4_lNS_14AccumulateTypeIT0_Lb1EE4typeES8_NS0_13TensorArgTypeES9_S9_EUllE_EEvNS0_6detail10TensorInfoIT_T1_EESF_NSC_IKS6_SE_EElS8_S8_SE_T6_.has_recursion, 0
	.set _ZN2at4cuda17kernelHistogram1DIfalLi1ELi2ELin1ELNS0_23CUDAHistogramMemoryTypeE1EZNS0_21CUDA_tensor_histogramIfaLb1EEEbNS_6TensorES4_S4_lNS_14AccumulateTypeIT0_Lb1EE4typeES8_NS0_13TensorArgTypeES9_S9_EUllE_EEvNS0_6detail10TensorInfoIT_T1_EESF_NSC_IKS6_SE_EElS8_S8_SE_T6_.has_indirect_call, 0
	.section	.AMDGPU.csdata,"",@progbits
; Kernel info:
; codeLenInByte = 2184
; TotalNumSgprs: 55
; NumVgprs: 18
; ScratchSize: 0
; MemoryBound: 0
; FloatMode: 240
; IeeeMode: 1
; LDSByteSize: 0 bytes/workgroup (compile time only)
; SGPRBlocks: 6
; VGPRBlocks: 4
; NumSGPRsForWavesPerEU: 55
; NumVGPRsForWavesPerEU: 18
; Occupancy: 10
; WaveLimiterHint : 1
; COMPUTE_PGM_RSRC2:SCRATCH_EN: 0
; COMPUTE_PGM_RSRC2:USER_SGPR: 6
; COMPUTE_PGM_RSRC2:TRAP_HANDLER: 0
; COMPUTE_PGM_RSRC2:TGID_X_EN: 1
; COMPUTE_PGM_RSRC2:TGID_Y_EN: 0
; COMPUTE_PGM_RSRC2:TGID_Z_EN: 0
; COMPUTE_PGM_RSRC2:TIDIG_COMP_CNT: 0
	.section	.text._ZN2at4cuda17kernelHistogram1DIfalLi1ELi2ELin1ELNS0_23CUDAHistogramMemoryTypeE0EZNS0_21CUDA_tensor_histogramIfaLb1EEEbNS_6TensorES4_S4_lNS_14AccumulateTypeIT0_Lb1EE4typeES8_NS0_13TensorArgTypeES9_S9_EUllE0_EEvNS0_6detail10TensorInfoIT_T1_EESF_NSC_IKS6_SE_EElS8_S8_SE_T6_,"axG",@progbits,_ZN2at4cuda17kernelHistogram1DIfalLi1ELi2ELin1ELNS0_23CUDAHistogramMemoryTypeE0EZNS0_21CUDA_tensor_histogramIfaLb1EEEbNS_6TensorES4_S4_lNS_14AccumulateTypeIT0_Lb1EE4typeES8_NS0_13TensorArgTypeES9_S9_EUllE0_EEvNS0_6detail10TensorInfoIT_T1_EESF_NSC_IKS6_SE_EElS8_S8_SE_T6_,comdat
	.protected	_ZN2at4cuda17kernelHistogram1DIfalLi1ELi2ELin1ELNS0_23CUDAHistogramMemoryTypeE0EZNS0_21CUDA_tensor_histogramIfaLb1EEEbNS_6TensorES4_S4_lNS_14AccumulateTypeIT0_Lb1EE4typeES8_NS0_13TensorArgTypeES9_S9_EUllE0_EEvNS0_6detail10TensorInfoIT_T1_EESF_NSC_IKS6_SE_EElS8_S8_SE_T6_ ; -- Begin function _ZN2at4cuda17kernelHistogram1DIfalLi1ELi2ELin1ELNS0_23CUDAHistogramMemoryTypeE0EZNS0_21CUDA_tensor_histogramIfaLb1EEEbNS_6TensorES4_S4_lNS_14AccumulateTypeIT0_Lb1EE4typeES8_NS0_13TensorArgTypeES9_S9_EUllE0_EEvNS0_6detail10TensorInfoIT_T1_EESF_NSC_IKS6_SE_EElS8_S8_SE_T6_
	.globl	_ZN2at4cuda17kernelHistogram1DIfalLi1ELi2ELin1ELNS0_23CUDAHistogramMemoryTypeE0EZNS0_21CUDA_tensor_histogramIfaLb1EEEbNS_6TensorES4_S4_lNS_14AccumulateTypeIT0_Lb1EE4typeES8_NS0_13TensorArgTypeES9_S9_EUllE0_EEvNS0_6detail10TensorInfoIT_T1_EESF_NSC_IKS6_SE_EElS8_S8_SE_T6_
	.p2align	8
	.type	_ZN2at4cuda17kernelHistogram1DIfalLi1ELi2ELin1ELNS0_23CUDAHistogramMemoryTypeE0EZNS0_21CUDA_tensor_histogramIfaLb1EEEbNS_6TensorES4_S4_lNS_14AccumulateTypeIT0_Lb1EE4typeES8_NS0_13TensorArgTypeES9_S9_EUllE0_EEvNS0_6detail10TensorInfoIT_T1_EESF_NSC_IKS6_SE_EElS8_S8_SE_T6_,@function
_ZN2at4cuda17kernelHistogram1DIfalLi1ELi2ELin1ELNS0_23CUDAHistogramMemoryTypeE0EZNS0_21CUDA_tensor_histogramIfaLb1EEEbNS_6TensorES4_S4_lNS_14AccumulateTypeIT0_Lb1EE4typeES8_NS0_13TensorArgTypeES9_S9_EUllE0_EEvNS0_6detail10TensorInfoIT_T1_EESF_NSC_IKS6_SE_EElS8_S8_SE_T6_: ; @_ZN2at4cuda17kernelHistogram1DIfalLi1ELi2ELin1ELNS0_23CUDAHistogramMemoryTypeE0EZNS0_21CUDA_tensor_histogramIfaLb1EEEbNS_6TensorES4_S4_lNS_14AccumulateTypeIT0_Lb1EE4typeES8_NS0_13TensorArgTypeES9_S9_EUllE0_EEvNS0_6detail10TensorInfoIT_T1_EESF_NSC_IKS6_SE_EElS8_S8_SE_T6_
; %bb.0:
	s_load_dwordx4 s[16:19], s[4:5], 0x0
	v_mov_b32_e32 v1, 0
	s_add_u32 s2, s4, 0x508
	s_addc_u32 s3, s5, 0
                                        ; implicit-def: $sgpr10
                                        ; implicit-def: $sgpr7
	s_waitcnt lgkmcnt(0)
	v_cmp_gt_i64_e64 s[0:1], s[18:19], v[0:1]
	v_cmp_le_i64_e32 vcc, s[18:19], v[0:1]
	s_and_saveexec_b64 s[8:9], vcc
	s_xor_b64 s[8:9], exec, s[8:9]
	s_cbranch_execz .LBB14_2
; %bb.1:
	s_load_dword s10, s[2:3], 0xc
	s_waitcnt lgkmcnt(0)
	s_and_b32 s7, s10, 0xffff
.LBB14_2:
	s_or_saveexec_b64 s[8:9], s[8:9]
	s_load_dwordx2 s[20:21], s[4:5], 0xd0
	v_mov_b32_e32 v12, s10
	v_mov_b32_e32 v5, s7
	s_xor_b64 exec, exec, s[8:9]
	s_cbranch_execz .LBB14_6
; %bb.3:
	s_load_dword s7, s[2:3], 0xc
	v_mov_b32_e32 v3, v1
	v_lshl_add_u32 v4, v0, 2, 0
	s_mov_b64 s[10:11], 0
	v_mov_b32_e32 v5, 0
	s_waitcnt lgkmcnt(0)
	s_and_b32 s12, s7, 0xffff
	s_lshl_b32 s13, s12, 2
	v_mov_b32_e32 v2, v0
.LBB14_4:                               ; =>This Inner Loop Header: Depth=1
	v_add_co_u32_e32 v2, vcc, s12, v2
	v_addc_co_u32_e32 v3, vcc, 0, v3, vcc
	v_cmp_le_i64_e32 vcc, s[18:19], v[2:3]
	ds_write_b32 v4, v5
	s_or_b64 s[10:11], vcc, s[10:11]
	v_add_u32_e32 v4, s13, v4
	s_andn2_b64 exec, exec, s[10:11]
	s_cbranch_execnz .LBB14_4
; %bb.5:
	s_or_b64 exec, exec, s[10:11]
	v_mov_b32_e32 v12, s7
	v_mov_b32_e32 v5, s12
.LBB14_6:
	s_or_b64 exec, exec, s[8:9]
	s_load_dwordx8 s[8:15], s[4:5], 0x4e0
	v_mad_u64_u32 v[2:3], s[6:7], s6, v5, v[0:1]
	v_mov_b32_e32 v4, 0
	v_mov_b32_e32 v3, v4
	s_waitcnt lgkmcnt(0)
	v_cmp_gt_i64_e32 vcc, s[14:15], v[2:3]
	s_barrier
	s_and_saveexec_b64 s[6:7], vcc
	s_cbranch_execz .LBB14_22
; %bb.7:
	s_load_dword s26, s[4:5], 0x4d8
	s_load_dwordx2 s[24:25], s[4:5], 0x340
	s_add_u32 s27, s4, 0x340
	s_addc_u32 s29, s5, 0
	s_load_dword s28, s[2:3], 0x0
	s_load_dwordx2 s[22:23], s[4:5], 0x410
	s_waitcnt lgkmcnt(0)
	s_cmp_gt_i32 s26, 1
	s_cselect_b64 s[2:3], -1, 0
	s_sub_u32 s33, s12, s10
	s_subb_u32 s42, s13, s11
	s_mov_b32 s5, 0
	s_add_i32 s4, s26, -1
	s_add_i32 s43, s26, 1
	s_lshl_b64 s[4:5], s[4:5], 3
	v_mul_lo_u32 v13, s28, v5
	s_add_u32 s4, s27, s4
	s_addc_u32 s5, s29, s5
	s_add_u32 s26, s4, 8
	v_cndmask_b32_e64 v5, 0, 1, s[2:3]
	s_addc_u32 s27, s5, 0
	s_mov_b64 s[28:29], 0
	v_mov_b32_e32 v14, 1.0
	v_cmp_ne_u32_e64 s[2:3], 1, v5
	s_branch .LBB14_10
.LBB14_8:                               ;   in Loop: Header=BB14_10 Depth=1
	s_or_b64 exec, exec, s[4:5]
	v_ashrrev_i32_e32 v9, 31, v8
	v_cmp_eq_u64_e32 vcc, s[8:9], v[8:9]
	v_subbrev_co_u32_e32 v5, vcc, 0, v8, vcc
	v_lshl_add_u32 v5, v5, 2, 0
	ds_add_f32 v5, v14
.LBB14_9:                               ;   in Loop: Header=BB14_10 Depth=1
	s_or_b64 exec, exec, s[30:31]
	v_add_co_u32_e32 v2, vcc, v2, v13
	v_addc_co_u32_e32 v3, vcc, 0, v3, vcc
	v_cmp_le_i64_e32 vcc, s[14:15], v[2:3]
	s_or_b64 s[28:29], vcc, s[28:29]
	s_andn2_b64 exec, exec, s[28:29]
	s_cbranch_execz .LBB14_22
.LBB14_10:                              ; =>This Loop Header: Depth=1
                                        ;     Child Loop BB14_11 Depth 2
	v_mov_b32_e32 v6, 0
	v_mov_b32_e32 v9, v3
	;; [unrolled: 1-line block ×4, first 2 shown]
	s_and_b64 vcc, exec, s[2:3]
	s_mov_b64 s[30:31], s[26:27]
	s_mov_b32 s44, s43
	v_mov_b32_e32 v8, v2
	v_mov_b32_e32 v10, v2
	s_cbranch_vccnz .LBB14_17
.LBB14_11:                              ;   Parent Loop BB14_10 Depth=1
                                        ; =>  This Inner Loop Header: Depth=2
	s_load_dwordx2 s[34:35], s[30:31], 0x0
                                        ; implicit-def: $vgpr10_vgpr11
	s_waitcnt lgkmcnt(0)
	v_or_b32_e32 v5, s35, v9
	v_cmp_ne_u64_e32 vcc, 0, v[4:5]
	s_and_saveexec_b64 s[4:5], vcc
	s_xor_b64 s[36:37], exec, s[4:5]
	s_cbranch_execz .LBB14_13
; %bb.12:                               ;   in Loop: Header=BB14_11 Depth=2
	s_ashr_i32 s38, s35, 31
	s_add_u32 s4, s34, s38
	s_mov_b32 s39, s38
	s_addc_u32 s5, s35, s38
	s_xor_b64 s[40:41], s[4:5], s[38:39]
	v_cvt_f32_u32_e32 v5, s40
	v_cvt_f32_u32_e32 v10, s41
	s_sub_u32 s39, 0, s40
	s_subb_u32 s45, 0, s41
	v_mac_f32_e32 v5, 0x4f800000, v10
	v_rcp_f32_e32 v5, v5
	v_mul_f32_e32 v5, 0x5f7ffffc, v5
	v_mul_f32_e32 v10, 0x2f800000, v5
	v_trunc_f32_e32 v10, v10
	v_mac_f32_e32 v5, 0xcf800000, v10
	v_cvt_u32_f32_e32 v10, v10
	v_cvt_u32_f32_e32 v5, v5
	v_readfirstlane_b32 s46, v10
	v_readfirstlane_b32 s4, v5
	s_mul_i32 s5, s39, s46
	s_mul_hi_u32 s48, s39, s4
	s_mul_i32 s47, s45, s4
	s_add_i32 s5, s48, s5
	s_add_i32 s5, s5, s47
	s_mul_i32 s49, s39, s4
	s_mul_i32 s48, s4, s5
	s_mul_hi_u32 s50, s4, s49
	s_mul_hi_u32 s47, s4, s5
	s_add_u32 s48, s50, s48
	s_addc_u32 s47, 0, s47
	s_mul_hi_u32 s51, s46, s49
	s_mul_i32 s49, s46, s49
	s_add_u32 s48, s48, s49
	s_mul_hi_u32 s50, s46, s5
	s_addc_u32 s47, s47, s51
	s_addc_u32 s48, s50, 0
	s_mul_i32 s5, s46, s5
	s_add_u32 s5, s47, s5
	s_addc_u32 s47, 0, s48
	s_add_u32 s48, s4, s5
	s_cselect_b64 s[4:5], -1, 0
	s_cmp_lg_u64 s[4:5], 0
	s_addc_u32 s46, s46, s47
	s_mul_i32 s4, s39, s46
	s_mul_hi_u32 s5, s39, s48
	s_add_i32 s4, s5, s4
	s_mul_i32 s45, s45, s48
	s_add_i32 s4, s4, s45
	s_mul_i32 s39, s39, s48
	s_mul_hi_u32 s45, s46, s39
	s_mul_i32 s47, s46, s39
	s_mul_i32 s50, s48, s4
	s_mul_hi_u32 s39, s48, s39
	s_mul_hi_u32 s49, s48, s4
	s_add_u32 s39, s39, s50
	s_addc_u32 s49, 0, s49
	s_add_u32 s39, s39, s47
	s_mul_hi_u32 s5, s46, s4
	s_addc_u32 s39, s49, s45
	s_addc_u32 s5, s5, 0
	s_mul_i32 s4, s46, s4
	s_add_u32 s4, s39, s4
	s_addc_u32 s39, 0, s5
	s_add_u32 s45, s48, s4
	s_cselect_b64 s[4:5], -1, 0
	v_ashrrev_i32_e32 v5, 31, v9
	s_cmp_lg_u64 s[4:5], 0
	v_add_co_u32_e32 v10, vcc, v8, v5
	s_addc_u32 s39, s46, s39
	v_xor_b32_e32 v17, v10, v5
	v_mad_u64_u32 v[10:11], s[4:5], v17, s39, 0
	v_mul_hi_u32 v16, v17, s45
	v_addc_co_u32_e32 v15, vcc, v9, v5, vcc
	v_xor_b32_e32 v18, v15, v5
	v_add_co_u32_e32 v19, vcc, v16, v10
	v_addc_co_u32_e32 v20, vcc, 0, v11, vcc
	v_mad_u64_u32 v[10:11], s[4:5], v18, s45, 0
	v_mad_u64_u32 v[15:16], s[4:5], v18, s39, 0
	v_add_co_u32_e32 v10, vcc, v19, v10
	v_addc_co_u32_e32 v10, vcc, v20, v11, vcc
	v_addc_co_u32_e32 v11, vcc, 0, v16, vcc
	v_add_co_u32_e32 v15, vcc, v10, v15
	v_addc_co_u32_e32 v16, vcc, 0, v11, vcc
	v_mul_lo_u32 v19, s41, v15
	v_mul_lo_u32 v20, s40, v16
	v_mad_u64_u32 v[10:11], s[4:5], s40, v15, 0
	v_xor_b32_e32 v5, s38, v5
	v_add3_u32 v11, v11, v20, v19
	v_sub_u32_e32 v19, v18, v11
	v_mov_b32_e32 v20, s41
	v_sub_co_u32_e32 v10, vcc, v17, v10
	v_subb_co_u32_e64 v17, s[4:5], v19, v20, vcc
	v_subrev_co_u32_e64 v19, s[4:5], s40, v10
	v_subbrev_co_u32_e64 v17, s[4:5], 0, v17, s[4:5]
	v_cmp_le_u32_e64 s[4:5], s41, v17
	v_cndmask_b32_e64 v20, 0, -1, s[4:5]
	v_cmp_le_u32_e64 s[4:5], s40, v19
	v_cndmask_b32_e64 v19, 0, -1, s[4:5]
	v_cmp_eq_u32_e64 s[4:5], s41, v17
	v_cndmask_b32_e64 v17, v20, v19, s[4:5]
	v_add_co_u32_e64 v19, s[4:5], 2, v15
	v_subb_co_u32_e32 v11, vcc, v18, v11, vcc
	v_addc_co_u32_e64 v20, s[4:5], 0, v16, s[4:5]
	v_cmp_le_u32_e32 vcc, s41, v11
	v_add_co_u32_e64 v21, s[4:5], 1, v15
	v_cndmask_b32_e64 v18, 0, -1, vcc
	v_cmp_le_u32_e32 vcc, s40, v10
	v_addc_co_u32_e64 v22, s[4:5], 0, v16, s[4:5]
	v_cndmask_b32_e64 v10, 0, -1, vcc
	v_cmp_eq_u32_e32 vcc, s41, v11
	v_cmp_ne_u32_e64 s[4:5], 0, v17
	v_cndmask_b32_e32 v10, v18, v10, vcc
	v_cndmask_b32_e64 v17, v22, v20, s[4:5]
	v_cmp_ne_u32_e32 vcc, 0, v10
	v_cndmask_b32_e64 v11, v21, v19, s[4:5]
	v_cndmask_b32_e32 v10, v16, v17, vcc
	v_cndmask_b32_e32 v11, v15, v11, vcc
	v_xor_b32_e32 v15, v10, v5
	v_xor_b32_e32 v10, v11, v5
	v_sub_co_u32_e32 v10, vcc, v10, v5
	v_subb_co_u32_e32 v11, vcc, v15, v5, vcc
.LBB14_13:                              ;   in Loop: Header=BB14_11 Depth=2
	s_andn2_saveexec_b64 s[4:5], s[36:37]
	s_cbranch_execz .LBB14_15
; %bb.14:                               ;   in Loop: Header=BB14_11 Depth=2
	v_cvt_f32_u32_e32 v5, s34
	s_sub_i32 s36, 0, s34
	v_rcp_iflag_f32_e32 v5, v5
	v_mul_f32_e32 v5, 0x4f7ffffe, v5
	v_cvt_u32_f32_e32 v5, v5
	v_mul_lo_u32 v10, s36, v5
	v_mul_hi_u32 v10, v5, v10
	v_add_u32_e32 v5, v5, v10
	v_mul_hi_u32 v5, v8, v5
	v_mul_lo_u32 v10, v5, s34
	v_add_u32_e32 v11, 1, v5
	v_sub_u32_e32 v10, v8, v10
	v_subrev_u32_e32 v15, s34, v10
	v_cmp_le_u32_e32 vcc, s34, v10
	v_cndmask_b32_e32 v10, v10, v15, vcc
	v_cndmask_b32_e32 v5, v5, v11, vcc
	v_add_u32_e32 v11, 1, v5
	v_cmp_le_u32_e32 vcc, s34, v10
	v_cndmask_b32_e32 v10, v5, v11, vcc
	v_mov_b32_e32 v11, v4
.LBB14_15:                              ;   in Loop: Header=BB14_11 Depth=2
	s_or_b64 exec, exec, s[4:5]
	v_mul_lo_u32 v5, v11, s34
	v_mul_lo_u32 v17, v10, s35
	v_mad_u64_u32 v[15:16], s[4:5], v10, s34, 0
	s_load_dwordx2 s[4:5], s[30:31], 0xc8
	s_add_i32 s44, s44, -1
	v_add3_u32 v5, v16, v17, v5
	v_sub_co_u32_e32 v8, vcc, v8, v15
	v_subb_co_u32_e32 v5, vcc, v9, v5, vcc
	s_waitcnt lgkmcnt(0)
	v_mul_lo_u32 v5, s4, v5
	v_mul_lo_u32 v9, s5, v8
	v_mad_u64_u32 v[6:7], s[4:5], s4, v8, v[6:7]
	s_add_u32 s30, s30, -8
	s_addc_u32 s31, s31, -1
	s_cmp_gt_u32 s44, 2
	v_add3_u32 v7, v9, v7, v5
	s_cbranch_scc0 .LBB14_17
; %bb.16:                               ;   in Loop: Header=BB14_11 Depth=2
	v_mov_b32_e32 v8, v10
	v_mov_b32_e32 v9, v11
	s_branch .LBB14_11
.LBB14_17:                              ;   in Loop: Header=BB14_10 Depth=1
	v_mov_b32_e32 v8, s24
	v_mov_b32_e32 v9, s25
	v_mul_lo_u32 v5, s22, v11
	v_mul_lo_u32 v11, s23, v10
	v_mad_u64_u32 v[8:9], s[4:5], s22, v10, v[8:9]
	v_add3_u32 v9, v11, v9, v5
	v_add_co_u32_e32 v5, vcc, v8, v6
	v_addc_co_u32_e32 v6, vcc, v9, v7, vcc
	global_load_sbyte v5, v[5:6], off
	s_waitcnt vmcnt(0)
	v_bfe_i32 v5, v5, 0, 16
	v_ashrrev_i32_e32 v6, 31, v5
	v_cmp_le_i64_e32 vcc, s[10:11], v[5:6]
	v_cmp_ge_i64_e64 s[4:5], s[12:13], v[5:6]
	s_and_b64 s[4:5], vcc, s[4:5]
	s_and_saveexec_b64 s[30:31], s[4:5]
	s_cbranch_execz .LBB14_9
; %bb.18:                               ;   in Loop: Header=BB14_10 Depth=1
	v_mov_b32_e32 v7, s11
	v_subrev_co_u32_e32 v5, vcc, s10, v5
	v_subb_co_u32_e32 v6, vcc, v6, v7, vcc
	v_mul_lo_u32 v8, v6, s8
	v_mul_lo_u32 v9, v5, s9
	v_mad_u64_u32 v[6:7], s[4:5], v5, s8, 0
	v_add3_u32 v7, v7, v9, v8
	v_or_b32_e32 v5, s42, v7
	v_cmp_ne_u64_e32 vcc, 0, v[4:5]
                                        ; implicit-def: $vgpr8_vgpr9
	s_and_saveexec_b64 s[4:5], vcc
	s_xor_b64 s[34:35], exec, s[4:5]
	s_cbranch_execz .LBB14_20
; %bb.19:                               ;   in Loop: Header=BB14_10 Depth=1
	s_ashr_i32 s36, s42, 31
	s_add_u32 s4, s33, s36
	s_mov_b32 s37, s36
	s_addc_u32 s5, s42, s36
	s_xor_b64 s[38:39], s[4:5], s[36:37]
	v_cvt_f32_u32_e32 v5, s38
	v_cvt_f32_u32_e32 v8, s39
	s_sub_u32 s37, 0, s38
	s_subb_u32 s40, 0, s39
	v_ashrrev_i32_e32 v9, 31, v7
	v_mac_f32_e32 v5, 0x4f800000, v8
	v_rcp_f32_e32 v5, v5
	v_mul_f32_e32 v5, 0x5f7ffffc, v5
	v_mul_f32_e32 v8, 0x2f800000, v5
	v_trunc_f32_e32 v8, v8
	v_mac_f32_e32 v5, 0xcf800000, v8
	v_cvt_u32_f32_e32 v8, v8
	v_cvt_u32_f32_e32 v5, v5
	v_readfirstlane_b32 s41, v8
	v_readfirstlane_b32 s4, v5
	s_mul_i32 s5, s37, s41
	s_mul_hi_u32 s45, s37, s4
	s_mul_i32 s44, s40, s4
	s_add_i32 s5, s45, s5
	s_add_i32 s5, s5, s44
	s_mul_i32 s46, s37, s4
	s_mul_i32 s45, s4, s5
	s_mul_hi_u32 s47, s4, s46
	s_mul_hi_u32 s44, s4, s5
	s_add_u32 s45, s47, s45
	s_addc_u32 s44, 0, s44
	s_mul_hi_u32 s48, s41, s46
	s_mul_i32 s46, s41, s46
	s_add_u32 s45, s45, s46
	s_mul_hi_u32 s47, s41, s5
	s_addc_u32 s44, s44, s48
	s_addc_u32 s45, s47, 0
	s_mul_i32 s5, s41, s5
	s_add_u32 s5, s44, s5
	s_addc_u32 s44, 0, s45
	s_add_u32 s45, s4, s5
	s_cselect_b64 s[4:5], -1, 0
	s_cmp_lg_u64 s[4:5], 0
	s_addc_u32 s41, s41, s44
	s_mul_i32 s4, s37, s41
	s_mul_hi_u32 s5, s37, s45
	s_add_i32 s4, s5, s4
	s_mul_i32 s40, s40, s45
	s_add_i32 s4, s4, s40
	s_mul_i32 s37, s37, s45
	s_mul_hi_u32 s40, s41, s37
	s_mul_i32 s44, s41, s37
	s_mul_i32 s47, s45, s4
	s_mul_hi_u32 s37, s45, s37
	s_mul_hi_u32 s46, s45, s4
	s_add_u32 s37, s37, s47
	s_addc_u32 s46, 0, s46
	s_add_u32 s37, s37, s44
	s_mul_hi_u32 s5, s41, s4
	s_addc_u32 s37, s46, s40
	s_addc_u32 s5, s5, 0
	s_mul_i32 s4, s41, s4
	s_add_u32 s4, s37, s4
	s_addc_u32 s37, 0, s5
	s_add_u32 s40, s45, s4
	s_cselect_b64 s[4:5], -1, 0
	s_cmp_lg_u64 s[4:5], 0
	v_add_co_u32_e32 v5, vcc, v6, v9
	s_addc_u32 s37, s41, s37
	v_xor_b32_e32 v10, v5, v9
	v_mad_u64_u32 v[5:6], s[4:5], v10, s37, 0
	v_mul_hi_u32 v8, v10, s40
	v_addc_co_u32_e32 v7, vcc, v7, v9, vcc
	v_xor_b32_e32 v11, v7, v9
	v_add_co_u32_e32 v15, vcc, v8, v5
	v_addc_co_u32_e32 v16, vcc, 0, v6, vcc
	v_mad_u64_u32 v[5:6], s[4:5], v11, s40, 0
	v_mad_u64_u32 v[7:8], s[4:5], v11, s37, 0
	v_add_co_u32_e32 v5, vcc, v15, v5
	v_addc_co_u32_e32 v5, vcc, v16, v6, vcc
	v_addc_co_u32_e32 v6, vcc, 0, v8, vcc
	v_add_co_u32_e32 v7, vcc, v5, v7
	v_addc_co_u32_e32 v5, vcc, 0, v6, vcc
	v_mul_lo_u32 v8, s39, v7
	v_mul_lo_u32 v15, s38, v5
	v_mad_u64_u32 v[5:6], s[4:5], s38, v7, 0
	v_add3_u32 v6, v6, v15, v8
	v_sub_u32_e32 v8, v11, v6
	v_mov_b32_e32 v15, s39
	v_sub_co_u32_e32 v5, vcc, v10, v5
	v_subb_co_u32_e64 v8, s[4:5], v8, v15, vcc
	v_subrev_co_u32_e64 v10, s[4:5], s38, v5
	v_subbrev_co_u32_e64 v8, s[4:5], 0, v8, s[4:5]
	v_cmp_le_u32_e64 s[4:5], s39, v8
	v_subb_co_u32_e32 v6, vcc, v11, v6, vcc
	v_cndmask_b32_e64 v15, 0, -1, s[4:5]
	v_cmp_le_u32_e64 s[4:5], s38, v10
	v_cmp_le_u32_e32 vcc, s39, v6
	v_cndmask_b32_e64 v10, 0, -1, s[4:5]
	v_cmp_eq_u32_e64 s[4:5], s39, v8
	v_cndmask_b32_e64 v11, 0, -1, vcc
	v_cmp_le_u32_e32 vcc, s38, v5
	v_cndmask_b32_e64 v8, v15, v10, s[4:5]
	v_cndmask_b32_e64 v5, 0, -1, vcc
	v_cmp_eq_u32_e32 vcc, s39, v6
	v_add_co_u32_e64 v10, s[4:5], 2, v7
	v_add_co_u32_e64 v15, s[4:5], 1, v7
	v_cndmask_b32_e32 v5, v11, v5, vcc
	v_cmp_ne_u32_e32 vcc, 0, v8
	v_cndmask_b32_e32 v6, v15, v10, vcc
	v_cmp_ne_u32_e32 vcc, 0, v5
	v_cndmask_b32_e32 v5, v7, v6, vcc
	v_xor_b32_e32 v6, s36, v9
	v_xor_b32_e32 v5, v5, v6
	v_sub_co_u32_e32 v8, vcc, v5, v6
                                        ; implicit-def: $vgpr6_vgpr7
.LBB14_20:                              ;   in Loop: Header=BB14_10 Depth=1
	s_andn2_saveexec_b64 s[4:5], s[34:35]
	s_cbranch_execz .LBB14_8
; %bb.21:                               ;   in Loop: Header=BB14_10 Depth=1
	v_cvt_f32_u32_e32 v5, s33
	s_sub_i32 s34, 0, s33
	v_rcp_iflag_f32_e32 v5, v5
	v_mul_f32_e32 v5, 0x4f7ffffe, v5
	v_cvt_u32_f32_e32 v5, v5
	v_mul_lo_u32 v7, s34, v5
	v_mul_hi_u32 v7, v5, v7
	v_add_u32_e32 v5, v5, v7
	v_mul_hi_u32 v5, v6, v5
	v_mul_lo_u32 v7, v5, s33
	v_add_u32_e32 v8, 1, v5
	v_sub_u32_e32 v6, v6, v7
	v_subrev_u32_e32 v7, s33, v6
	v_cmp_le_u32_e32 vcc, s33, v6
	v_cndmask_b32_e32 v6, v6, v7, vcc
	v_cndmask_b32_e32 v5, v5, v8, vcc
	v_add_u32_e32 v7, 1, v5
	v_cmp_le_u32_e32 vcc, s33, v6
	v_cndmask_b32_e32 v8, v5, v7, vcc
	s_branch .LBB14_8
.LBB14_22:
	s_or_b64 exec, exec, s[6:7]
; %bb.23:
	s_waitcnt lgkmcnt(0)
	s_barrier
	s_and_saveexec_b64 s[2:3], s[0:1]
	s_cbranch_execz .LBB14_28
; %bb.24:
	v_and_b32_e32 v6, 0xffff, v12
	s_mov_b64 s[0:1], 0
	v_mov_b32_e32 v7, s17
.LBB14_25:                              ; =>This Loop Header: Depth=1
                                        ;     Child Loop BB14_26 Depth 2
	v_mul_lo_u32 v4, v1, s20
	v_mul_lo_u32 v5, v0, s21
	v_mad_u64_u32 v[2:3], s[2:3], v0, s20, 0
	s_mov_b64 s[2:3], 0
	v_add3_u32 v3, v3, v5, v4
	v_lshlrev_b64 v[2:3], 2, v[2:3]
	v_lshl_add_u32 v4, v0, 2, 0
	v_add_co_u32_e32 v2, vcc, s16, v2
	v_addc_co_u32_e32 v3, vcc, v7, v3, vcc
	global_load_dword v5, v[2:3], off
	ds_read_b32 v8, v4
.LBB14_26:                              ;   Parent Loop BB14_25 Depth=1
                                        ; =>  This Inner Loop Header: Depth=2
	s_waitcnt vmcnt(0) lgkmcnt(0)
	v_add_f32_e32 v4, v5, v8
	global_atomic_cmpswap v4, v[2:3], v[4:5], off glc
	s_waitcnt vmcnt(0)
	v_cmp_eq_u32_e32 vcc, v4, v5
	s_or_b64 s[2:3], vcc, s[2:3]
	v_mov_b32_e32 v5, v4
	s_andn2_b64 exec, exec, s[2:3]
	s_cbranch_execnz .LBB14_26
; %bb.27:                               ;   in Loop: Header=BB14_25 Depth=1
	s_or_b64 exec, exec, s[2:3]
	v_add_co_u32_e32 v0, vcc, v0, v6
	v_addc_co_u32_e32 v1, vcc, 0, v1, vcc
	v_cmp_le_i64_e32 vcc, s[18:19], v[0:1]
	s_or_b64 s[0:1], vcc, s[0:1]
	s_andn2_b64 exec, exec, s[0:1]
	s_cbranch_execnz .LBB14_25
.LBB14_28:
	s_endpgm
	.section	.rodata,"a",@progbits
	.p2align	6, 0x0
	.amdhsa_kernel _ZN2at4cuda17kernelHistogram1DIfalLi1ELi2ELin1ELNS0_23CUDAHistogramMemoryTypeE0EZNS0_21CUDA_tensor_histogramIfaLb1EEEbNS_6TensorES4_S4_lNS_14AccumulateTypeIT0_Lb1EE4typeES8_NS0_13TensorArgTypeES9_S9_EUllE0_EEvNS0_6detail10TensorInfoIT_T1_EESF_NSC_IKS6_SE_EElS8_S8_SE_T6_
		.amdhsa_group_segment_fixed_size 0
		.amdhsa_private_segment_fixed_size 0
		.amdhsa_kernarg_size 1544
		.amdhsa_user_sgpr_count 6
		.amdhsa_user_sgpr_private_segment_buffer 1
		.amdhsa_user_sgpr_dispatch_ptr 0
		.amdhsa_user_sgpr_queue_ptr 0
		.amdhsa_user_sgpr_kernarg_segment_ptr 1
		.amdhsa_user_sgpr_dispatch_id 0
		.amdhsa_user_sgpr_flat_scratch_init 0
		.amdhsa_user_sgpr_private_segment_size 0
		.amdhsa_uses_dynamic_stack 0
		.amdhsa_system_sgpr_private_segment_wavefront_offset 0
		.amdhsa_system_sgpr_workgroup_id_x 1
		.amdhsa_system_sgpr_workgroup_id_y 0
		.amdhsa_system_sgpr_workgroup_id_z 0
		.amdhsa_system_sgpr_workgroup_info 0
		.amdhsa_system_vgpr_workitem_id 0
		.amdhsa_next_free_vgpr 23
		.amdhsa_next_free_sgpr 52
		.amdhsa_reserve_vcc 1
		.amdhsa_reserve_flat_scratch 0
		.amdhsa_float_round_mode_32 0
		.amdhsa_float_round_mode_16_64 0
		.amdhsa_float_denorm_mode_32 3
		.amdhsa_float_denorm_mode_16_64 3
		.amdhsa_dx10_clamp 1
		.amdhsa_ieee_mode 1
		.amdhsa_fp16_overflow 0
		.amdhsa_exception_fp_ieee_invalid_op 0
		.amdhsa_exception_fp_denorm_src 0
		.amdhsa_exception_fp_ieee_div_zero 0
		.amdhsa_exception_fp_ieee_overflow 0
		.amdhsa_exception_fp_ieee_underflow 0
		.amdhsa_exception_fp_ieee_inexact 0
		.amdhsa_exception_int_div_zero 0
	.end_amdhsa_kernel
	.section	.text._ZN2at4cuda17kernelHistogram1DIfalLi1ELi2ELin1ELNS0_23CUDAHistogramMemoryTypeE0EZNS0_21CUDA_tensor_histogramIfaLb1EEEbNS_6TensorES4_S4_lNS_14AccumulateTypeIT0_Lb1EE4typeES8_NS0_13TensorArgTypeES9_S9_EUllE0_EEvNS0_6detail10TensorInfoIT_T1_EESF_NSC_IKS6_SE_EElS8_S8_SE_T6_,"axG",@progbits,_ZN2at4cuda17kernelHistogram1DIfalLi1ELi2ELin1ELNS0_23CUDAHistogramMemoryTypeE0EZNS0_21CUDA_tensor_histogramIfaLb1EEEbNS_6TensorES4_S4_lNS_14AccumulateTypeIT0_Lb1EE4typeES8_NS0_13TensorArgTypeES9_S9_EUllE0_EEvNS0_6detail10TensorInfoIT_T1_EESF_NSC_IKS6_SE_EElS8_S8_SE_T6_,comdat
.Lfunc_end14:
	.size	_ZN2at4cuda17kernelHistogram1DIfalLi1ELi2ELin1ELNS0_23CUDAHistogramMemoryTypeE0EZNS0_21CUDA_tensor_histogramIfaLb1EEEbNS_6TensorES4_S4_lNS_14AccumulateTypeIT0_Lb1EE4typeES8_NS0_13TensorArgTypeES9_S9_EUllE0_EEvNS0_6detail10TensorInfoIT_T1_EESF_NSC_IKS6_SE_EElS8_S8_SE_T6_, .Lfunc_end14-_ZN2at4cuda17kernelHistogram1DIfalLi1ELi2ELin1ELNS0_23CUDAHistogramMemoryTypeE0EZNS0_21CUDA_tensor_histogramIfaLb1EEEbNS_6TensorES4_S4_lNS_14AccumulateTypeIT0_Lb1EE4typeES8_NS0_13TensorArgTypeES9_S9_EUllE0_EEvNS0_6detail10TensorInfoIT_T1_EESF_NSC_IKS6_SE_EElS8_S8_SE_T6_
                                        ; -- End function
	.set _ZN2at4cuda17kernelHistogram1DIfalLi1ELi2ELin1ELNS0_23CUDAHistogramMemoryTypeE0EZNS0_21CUDA_tensor_histogramIfaLb1EEEbNS_6TensorES4_S4_lNS_14AccumulateTypeIT0_Lb1EE4typeES8_NS0_13TensorArgTypeES9_S9_EUllE0_EEvNS0_6detail10TensorInfoIT_T1_EESF_NSC_IKS6_SE_EElS8_S8_SE_T6_.num_vgpr, 23
	.set _ZN2at4cuda17kernelHistogram1DIfalLi1ELi2ELin1ELNS0_23CUDAHistogramMemoryTypeE0EZNS0_21CUDA_tensor_histogramIfaLb1EEEbNS_6TensorES4_S4_lNS_14AccumulateTypeIT0_Lb1EE4typeES8_NS0_13TensorArgTypeES9_S9_EUllE0_EEvNS0_6detail10TensorInfoIT_T1_EESF_NSC_IKS6_SE_EElS8_S8_SE_T6_.num_agpr, 0
	.set _ZN2at4cuda17kernelHistogram1DIfalLi1ELi2ELin1ELNS0_23CUDAHistogramMemoryTypeE0EZNS0_21CUDA_tensor_histogramIfaLb1EEEbNS_6TensorES4_S4_lNS_14AccumulateTypeIT0_Lb1EE4typeES8_NS0_13TensorArgTypeES9_S9_EUllE0_EEvNS0_6detail10TensorInfoIT_T1_EESF_NSC_IKS6_SE_EElS8_S8_SE_T6_.numbered_sgpr, 52
	.set _ZN2at4cuda17kernelHistogram1DIfalLi1ELi2ELin1ELNS0_23CUDAHistogramMemoryTypeE0EZNS0_21CUDA_tensor_histogramIfaLb1EEEbNS_6TensorES4_S4_lNS_14AccumulateTypeIT0_Lb1EE4typeES8_NS0_13TensorArgTypeES9_S9_EUllE0_EEvNS0_6detail10TensorInfoIT_T1_EESF_NSC_IKS6_SE_EElS8_S8_SE_T6_.num_named_barrier, 0
	.set _ZN2at4cuda17kernelHistogram1DIfalLi1ELi2ELin1ELNS0_23CUDAHistogramMemoryTypeE0EZNS0_21CUDA_tensor_histogramIfaLb1EEEbNS_6TensorES4_S4_lNS_14AccumulateTypeIT0_Lb1EE4typeES8_NS0_13TensorArgTypeES9_S9_EUllE0_EEvNS0_6detail10TensorInfoIT_T1_EESF_NSC_IKS6_SE_EElS8_S8_SE_T6_.private_seg_size, 0
	.set _ZN2at4cuda17kernelHistogram1DIfalLi1ELi2ELin1ELNS0_23CUDAHistogramMemoryTypeE0EZNS0_21CUDA_tensor_histogramIfaLb1EEEbNS_6TensorES4_S4_lNS_14AccumulateTypeIT0_Lb1EE4typeES8_NS0_13TensorArgTypeES9_S9_EUllE0_EEvNS0_6detail10TensorInfoIT_T1_EESF_NSC_IKS6_SE_EElS8_S8_SE_T6_.uses_vcc, 1
	.set _ZN2at4cuda17kernelHistogram1DIfalLi1ELi2ELin1ELNS0_23CUDAHistogramMemoryTypeE0EZNS0_21CUDA_tensor_histogramIfaLb1EEEbNS_6TensorES4_S4_lNS_14AccumulateTypeIT0_Lb1EE4typeES8_NS0_13TensorArgTypeES9_S9_EUllE0_EEvNS0_6detail10TensorInfoIT_T1_EESF_NSC_IKS6_SE_EElS8_S8_SE_T6_.uses_flat_scratch, 0
	.set _ZN2at4cuda17kernelHistogram1DIfalLi1ELi2ELin1ELNS0_23CUDAHistogramMemoryTypeE0EZNS0_21CUDA_tensor_histogramIfaLb1EEEbNS_6TensorES4_S4_lNS_14AccumulateTypeIT0_Lb1EE4typeES8_NS0_13TensorArgTypeES9_S9_EUllE0_EEvNS0_6detail10TensorInfoIT_T1_EESF_NSC_IKS6_SE_EElS8_S8_SE_T6_.has_dyn_sized_stack, 0
	.set _ZN2at4cuda17kernelHistogram1DIfalLi1ELi2ELin1ELNS0_23CUDAHistogramMemoryTypeE0EZNS0_21CUDA_tensor_histogramIfaLb1EEEbNS_6TensorES4_S4_lNS_14AccumulateTypeIT0_Lb1EE4typeES8_NS0_13TensorArgTypeES9_S9_EUllE0_EEvNS0_6detail10TensorInfoIT_T1_EESF_NSC_IKS6_SE_EElS8_S8_SE_T6_.has_recursion, 0
	.set _ZN2at4cuda17kernelHistogram1DIfalLi1ELi2ELin1ELNS0_23CUDAHistogramMemoryTypeE0EZNS0_21CUDA_tensor_histogramIfaLb1EEEbNS_6TensorES4_S4_lNS_14AccumulateTypeIT0_Lb1EE4typeES8_NS0_13TensorArgTypeES9_S9_EUllE0_EEvNS0_6detail10TensorInfoIT_T1_EESF_NSC_IKS6_SE_EElS8_S8_SE_T6_.has_indirect_call, 0
	.section	.AMDGPU.csdata,"",@progbits
; Kernel info:
; codeLenInByte = 2352
; TotalNumSgprs: 56
; NumVgprs: 23
; ScratchSize: 0
; MemoryBound: 0
; FloatMode: 240
; IeeeMode: 1
; LDSByteSize: 0 bytes/workgroup (compile time only)
; SGPRBlocks: 6
; VGPRBlocks: 5
; NumSGPRsForWavesPerEU: 56
; NumVGPRsForWavesPerEU: 23
; Occupancy: 10
; WaveLimiterHint : 1
; COMPUTE_PGM_RSRC2:SCRATCH_EN: 0
; COMPUTE_PGM_RSRC2:USER_SGPR: 6
; COMPUTE_PGM_RSRC2:TRAP_HANDLER: 0
; COMPUTE_PGM_RSRC2:TGID_X_EN: 1
; COMPUTE_PGM_RSRC2:TGID_Y_EN: 0
; COMPUTE_PGM_RSRC2:TGID_Z_EN: 0
; COMPUTE_PGM_RSRC2:TIDIG_COMP_CNT: 0
	.section	.text._ZN2at4cuda17kernelHistogram1DIfalLi1ELi2ELin1ELNS0_23CUDAHistogramMemoryTypeE1EZNS0_21CUDA_tensor_histogramIfaLb1EEEbNS_6TensorES4_S4_lNS_14AccumulateTypeIT0_Lb1EE4typeES8_NS0_13TensorArgTypeES9_S9_EUllE0_EEvNS0_6detail10TensorInfoIT_T1_EESF_NSC_IKS6_SE_EElS8_S8_SE_T6_,"axG",@progbits,_ZN2at4cuda17kernelHistogram1DIfalLi1ELi2ELin1ELNS0_23CUDAHistogramMemoryTypeE1EZNS0_21CUDA_tensor_histogramIfaLb1EEEbNS_6TensorES4_S4_lNS_14AccumulateTypeIT0_Lb1EE4typeES8_NS0_13TensorArgTypeES9_S9_EUllE0_EEvNS0_6detail10TensorInfoIT_T1_EESF_NSC_IKS6_SE_EElS8_S8_SE_T6_,comdat
	.protected	_ZN2at4cuda17kernelHistogram1DIfalLi1ELi2ELin1ELNS0_23CUDAHistogramMemoryTypeE1EZNS0_21CUDA_tensor_histogramIfaLb1EEEbNS_6TensorES4_S4_lNS_14AccumulateTypeIT0_Lb1EE4typeES8_NS0_13TensorArgTypeES9_S9_EUllE0_EEvNS0_6detail10TensorInfoIT_T1_EESF_NSC_IKS6_SE_EElS8_S8_SE_T6_ ; -- Begin function _ZN2at4cuda17kernelHistogram1DIfalLi1ELi2ELin1ELNS0_23CUDAHistogramMemoryTypeE1EZNS0_21CUDA_tensor_histogramIfaLb1EEEbNS_6TensorES4_S4_lNS_14AccumulateTypeIT0_Lb1EE4typeES8_NS0_13TensorArgTypeES9_S9_EUllE0_EEvNS0_6detail10TensorInfoIT_T1_EESF_NSC_IKS6_SE_EElS8_S8_SE_T6_
	.globl	_ZN2at4cuda17kernelHistogram1DIfalLi1ELi2ELin1ELNS0_23CUDAHistogramMemoryTypeE1EZNS0_21CUDA_tensor_histogramIfaLb1EEEbNS_6TensorES4_S4_lNS_14AccumulateTypeIT0_Lb1EE4typeES8_NS0_13TensorArgTypeES9_S9_EUllE0_EEvNS0_6detail10TensorInfoIT_T1_EESF_NSC_IKS6_SE_EElS8_S8_SE_T6_
	.p2align	8
	.type	_ZN2at4cuda17kernelHistogram1DIfalLi1ELi2ELin1ELNS0_23CUDAHistogramMemoryTypeE1EZNS0_21CUDA_tensor_histogramIfaLb1EEEbNS_6TensorES4_S4_lNS_14AccumulateTypeIT0_Lb1EE4typeES8_NS0_13TensorArgTypeES9_S9_EUllE0_EEvNS0_6detail10TensorInfoIT_T1_EESF_NSC_IKS6_SE_EElS8_S8_SE_T6_,@function
_ZN2at4cuda17kernelHistogram1DIfalLi1ELi2ELin1ELNS0_23CUDAHistogramMemoryTypeE1EZNS0_21CUDA_tensor_histogramIfaLb1EEEbNS_6TensorES4_S4_lNS_14AccumulateTypeIT0_Lb1EE4typeES8_NS0_13TensorArgTypeES9_S9_EUllE0_EEvNS0_6detail10TensorInfoIT_T1_EESF_NSC_IKS6_SE_EElS8_S8_SE_T6_: ; @_ZN2at4cuda17kernelHistogram1DIfalLi1ELi2ELin1ELNS0_23CUDAHistogramMemoryTypeE1EZNS0_21CUDA_tensor_histogramIfaLb1EEEbNS_6TensorES4_S4_lNS_14AccumulateTypeIT0_Lb1EE4typeES8_NS0_13TensorArgTypeES9_S9_EUllE0_EEvNS0_6detail10TensorInfoIT_T1_EESF_NSC_IKS6_SE_EElS8_S8_SE_T6_
; %bb.0:
	s_load_dword s2, s[4:5], 0x514
	s_load_dwordx8 s[8:15], s[4:5], 0x4e0
	s_add_u32 s0, s4, 0x508
	s_addc_u32 s1, s5, 0
	v_mov_b32_e32 v2, 0
	s_waitcnt lgkmcnt(0)
	s_and_b32 s2, s2, 0xffff
	s_mul_i32 s6, s6, s2
	v_add_u32_e32 v0, s6, v0
	v_mov_b32_e32 v1, v2
	v_cmp_gt_i64_e32 vcc, s[14:15], v[0:1]
	s_and_saveexec_b64 s[6:7], vcc
	s_cbranch_execz .LBB15_17
; %bb.1:
	s_load_dword s22, s[4:5], 0x4d8
	s_load_dword s3, s[0:1], 0x0
	s_add_u32 s23, s4, 0x340
	s_addc_u32 s24, s5, 0
	s_load_dwordx2 s[6:7], s[4:5], 0x0
	s_load_dwordx2 s[16:17], s[4:5], 0xd0
	;; [unrolled: 1-line block ×4, first 2 shown]
	s_waitcnt lgkmcnt(0)
	s_cmp_gt_i32 s22, 1
	s_cselect_b64 s[0:1], -1, 0
	s_sub_u32 s33, s12, s10
	s_subb_u32 s36, s13, s11
	s_mul_i32 s37, s3, s2
	s_mov_b32 s3, 0
	s_add_i32 s2, s22, -1
	s_add_i32 s38, s22, 1
	s_lshl_b64 s[2:3], s[2:3], 3
	s_add_u32 s2, s23, s2
	s_addc_u32 s3, s24, s3
	s_add_u32 s4, s2, 8
	v_cndmask_b32_e64 v3, 0, 1, s[0:1]
	s_addc_u32 s5, s3, 0
	s_mov_b64 s[22:23], 0
	v_cmp_ne_u32_e64 s[0:1], 1, v3
	s_branch .LBB15_3
.LBB15_2:                               ;   in Loop: Header=BB15_3 Depth=1
	s_or_b64 exec, exec, s[24:25]
	v_add_co_u32_e32 v0, vcc, s37, v0
	v_addc_co_u32_e32 v1, vcc, 0, v1, vcc
	v_cmp_le_i64_e32 vcc, s[14:15], v[0:1]
	s_or_b64 s[22:23], vcc, s[22:23]
	s_andn2_b64 exec, exec, s[22:23]
	s_cbranch_execz .LBB15_17
.LBB15_3:                               ; =>This Loop Header: Depth=1
                                        ;     Child Loop BB15_4 Depth 2
                                        ;     Child Loop BB15_16 Depth 2
	v_mov_b32_e32 v4, 0
	v_mov_b32_e32 v7, v1
	;; [unrolled: 1-line block ×4, first 2 shown]
	s_and_b64 vcc, exec, s[0:1]
	s_mov_b64 s[24:25], s[4:5]
	s_mov_b32 s39, s38
	v_mov_b32_e32 v6, v0
	v_mov_b32_e32 v8, v0
	s_cbranch_vccnz .LBB15_10
.LBB15_4:                               ;   Parent Loop BB15_3 Depth=1
                                        ; =>  This Inner Loop Header: Depth=2
	s_load_dwordx2 s[26:27], s[24:25], 0x0
                                        ; implicit-def: $vgpr8_vgpr9
	s_waitcnt lgkmcnt(0)
	v_or_b32_e32 v3, s27, v7
	v_cmp_ne_u64_e32 vcc, 0, v[2:3]
	s_and_saveexec_b64 s[2:3], vcc
	s_xor_b64 s[28:29], exec, s[2:3]
	s_cbranch_execz .LBB15_6
; %bb.5:                                ;   in Loop: Header=BB15_4 Depth=2
	s_ashr_i32 s30, s27, 31
	s_add_u32 s2, s26, s30
	s_mov_b32 s31, s30
	s_addc_u32 s3, s27, s30
	s_xor_b64 s[34:35], s[2:3], s[30:31]
	v_cvt_f32_u32_e32 v3, s34
	v_cvt_f32_u32_e32 v8, s35
	s_sub_u32 s31, 0, s34
	s_subb_u32 s40, 0, s35
	v_mac_f32_e32 v3, 0x4f800000, v8
	v_rcp_f32_e32 v3, v3
	v_mul_f32_e32 v3, 0x5f7ffffc, v3
	v_mul_f32_e32 v8, 0x2f800000, v3
	v_trunc_f32_e32 v8, v8
	v_mac_f32_e32 v3, 0xcf800000, v8
	v_cvt_u32_f32_e32 v8, v8
	v_cvt_u32_f32_e32 v3, v3
	v_readfirstlane_b32 s41, v8
	v_readfirstlane_b32 s2, v3
	s_mul_i32 s3, s31, s41
	s_mul_hi_u32 s43, s31, s2
	s_mul_i32 s42, s40, s2
	s_add_i32 s3, s43, s3
	s_add_i32 s3, s3, s42
	s_mul_i32 s44, s31, s2
	s_mul_i32 s43, s2, s3
	s_mul_hi_u32 s45, s2, s44
	s_mul_hi_u32 s42, s2, s3
	s_add_u32 s43, s45, s43
	s_addc_u32 s42, 0, s42
	s_mul_hi_u32 s46, s41, s44
	s_mul_i32 s44, s41, s44
	s_add_u32 s43, s43, s44
	s_mul_hi_u32 s45, s41, s3
	s_addc_u32 s42, s42, s46
	s_addc_u32 s43, s45, 0
	s_mul_i32 s3, s41, s3
	s_add_u32 s3, s42, s3
	s_addc_u32 s42, 0, s43
	s_add_u32 s43, s2, s3
	s_cselect_b64 s[2:3], -1, 0
	s_cmp_lg_u64 s[2:3], 0
	s_addc_u32 s41, s41, s42
	s_mul_i32 s2, s31, s41
	s_mul_hi_u32 s3, s31, s43
	s_add_i32 s2, s3, s2
	s_mul_i32 s40, s40, s43
	s_add_i32 s2, s2, s40
	s_mul_i32 s31, s31, s43
	s_mul_hi_u32 s40, s41, s31
	s_mul_i32 s42, s41, s31
	s_mul_i32 s45, s43, s2
	s_mul_hi_u32 s31, s43, s31
	s_mul_hi_u32 s44, s43, s2
	s_add_u32 s31, s31, s45
	s_addc_u32 s44, 0, s44
	s_add_u32 s31, s31, s42
	s_mul_hi_u32 s3, s41, s2
	s_addc_u32 s31, s44, s40
	s_addc_u32 s3, s3, 0
	s_mul_i32 s2, s41, s2
	s_add_u32 s2, s31, s2
	s_addc_u32 s31, 0, s3
	s_add_u32 s40, s43, s2
	s_cselect_b64 s[2:3], -1, 0
	v_ashrrev_i32_e32 v3, 31, v7
	s_cmp_lg_u64 s[2:3], 0
	v_add_co_u32_e32 v8, vcc, v6, v3
	s_addc_u32 s31, s41, s31
	v_xor_b32_e32 v12, v8, v3
	v_mad_u64_u32 v[8:9], s[2:3], v12, s31, 0
	v_mul_hi_u32 v11, v12, s40
	v_addc_co_u32_e32 v10, vcc, v7, v3, vcc
	v_xor_b32_e32 v13, v10, v3
	v_add_co_u32_e32 v14, vcc, v11, v8
	v_addc_co_u32_e32 v15, vcc, 0, v9, vcc
	v_mad_u64_u32 v[8:9], s[2:3], v13, s40, 0
	v_mad_u64_u32 v[10:11], s[2:3], v13, s31, 0
	v_add_co_u32_e32 v8, vcc, v14, v8
	v_addc_co_u32_e32 v8, vcc, v15, v9, vcc
	v_addc_co_u32_e32 v9, vcc, 0, v11, vcc
	v_add_co_u32_e32 v10, vcc, v8, v10
	v_addc_co_u32_e32 v11, vcc, 0, v9, vcc
	v_mul_lo_u32 v14, s35, v10
	v_mul_lo_u32 v15, s34, v11
	v_mad_u64_u32 v[8:9], s[2:3], s34, v10, 0
	v_xor_b32_e32 v3, s30, v3
	v_add3_u32 v9, v9, v15, v14
	v_sub_u32_e32 v14, v13, v9
	v_mov_b32_e32 v15, s35
	v_sub_co_u32_e32 v8, vcc, v12, v8
	v_subb_co_u32_e64 v12, s[2:3], v14, v15, vcc
	v_subrev_co_u32_e64 v14, s[2:3], s34, v8
	v_subbrev_co_u32_e64 v12, s[2:3], 0, v12, s[2:3]
	v_cmp_le_u32_e64 s[2:3], s35, v12
	v_cndmask_b32_e64 v15, 0, -1, s[2:3]
	v_cmp_le_u32_e64 s[2:3], s34, v14
	v_cndmask_b32_e64 v14, 0, -1, s[2:3]
	v_cmp_eq_u32_e64 s[2:3], s35, v12
	v_cndmask_b32_e64 v12, v15, v14, s[2:3]
	v_add_co_u32_e64 v14, s[2:3], 2, v10
	v_subb_co_u32_e32 v9, vcc, v13, v9, vcc
	v_addc_co_u32_e64 v15, s[2:3], 0, v11, s[2:3]
	v_cmp_le_u32_e32 vcc, s35, v9
	v_add_co_u32_e64 v16, s[2:3], 1, v10
	v_cndmask_b32_e64 v13, 0, -1, vcc
	v_cmp_le_u32_e32 vcc, s34, v8
	v_addc_co_u32_e64 v17, s[2:3], 0, v11, s[2:3]
	v_cndmask_b32_e64 v8, 0, -1, vcc
	v_cmp_eq_u32_e32 vcc, s35, v9
	v_cmp_ne_u32_e64 s[2:3], 0, v12
	v_cndmask_b32_e32 v8, v13, v8, vcc
	v_cndmask_b32_e64 v12, v17, v15, s[2:3]
	v_cmp_ne_u32_e32 vcc, 0, v8
	v_cndmask_b32_e64 v9, v16, v14, s[2:3]
	v_cndmask_b32_e32 v8, v11, v12, vcc
	v_cndmask_b32_e32 v9, v10, v9, vcc
	v_xor_b32_e32 v10, v8, v3
	v_xor_b32_e32 v8, v9, v3
	v_sub_co_u32_e32 v8, vcc, v8, v3
	v_subb_co_u32_e32 v9, vcc, v10, v3, vcc
.LBB15_6:                               ;   in Loop: Header=BB15_4 Depth=2
	s_andn2_saveexec_b64 s[2:3], s[28:29]
	s_cbranch_execz .LBB15_8
; %bb.7:                                ;   in Loop: Header=BB15_4 Depth=2
	v_cvt_f32_u32_e32 v3, s26
	s_sub_i32 s28, 0, s26
	v_rcp_iflag_f32_e32 v3, v3
	v_mul_f32_e32 v3, 0x4f7ffffe, v3
	v_cvt_u32_f32_e32 v3, v3
	v_mul_lo_u32 v8, s28, v3
	v_mul_hi_u32 v8, v3, v8
	v_add_u32_e32 v3, v3, v8
	v_mul_hi_u32 v3, v6, v3
	v_mul_lo_u32 v8, v3, s26
	v_add_u32_e32 v9, 1, v3
	v_sub_u32_e32 v8, v6, v8
	v_subrev_u32_e32 v10, s26, v8
	v_cmp_le_u32_e32 vcc, s26, v8
	v_cndmask_b32_e32 v8, v8, v10, vcc
	v_cndmask_b32_e32 v3, v3, v9, vcc
	v_add_u32_e32 v9, 1, v3
	v_cmp_le_u32_e32 vcc, s26, v8
	v_cndmask_b32_e32 v8, v3, v9, vcc
	v_mov_b32_e32 v9, v2
.LBB15_8:                               ;   in Loop: Header=BB15_4 Depth=2
	s_or_b64 exec, exec, s[2:3]
	v_mul_lo_u32 v3, v9, s26
	v_mul_lo_u32 v12, v8, s27
	v_mad_u64_u32 v[10:11], s[2:3], v8, s26, 0
	s_load_dwordx2 s[2:3], s[24:25], 0xc8
	s_add_i32 s39, s39, -1
	v_add3_u32 v3, v11, v12, v3
	v_sub_co_u32_e32 v6, vcc, v6, v10
	v_subb_co_u32_e32 v3, vcc, v7, v3, vcc
	s_waitcnt lgkmcnt(0)
	v_mul_lo_u32 v3, s2, v3
	v_mul_lo_u32 v7, s3, v6
	v_mad_u64_u32 v[4:5], s[2:3], s2, v6, v[4:5]
	s_add_u32 s24, s24, -8
	s_addc_u32 s25, s25, -1
	s_cmp_gt_u32 s39, 2
	v_add3_u32 v5, v7, v5, v3
	s_cbranch_scc0 .LBB15_10
; %bb.9:                                ;   in Loop: Header=BB15_4 Depth=2
	v_mov_b32_e32 v6, v8
	v_mov_b32_e32 v7, v9
	s_branch .LBB15_4
.LBB15_10:                              ;   in Loop: Header=BB15_3 Depth=1
	v_mov_b32_e32 v6, s20
	v_mov_b32_e32 v7, s21
	v_mul_lo_u32 v3, s18, v9
	v_mul_lo_u32 v9, s19, v8
	v_mad_u64_u32 v[6:7], s[2:3], s18, v8, v[6:7]
	v_add3_u32 v7, v9, v7, v3
	v_add_co_u32_e32 v3, vcc, v6, v4
	v_addc_co_u32_e32 v4, vcc, v7, v5, vcc
	global_load_sbyte v3, v[3:4], off
	s_waitcnt vmcnt(0)
	v_bfe_i32 v3, v3, 0, 16
	v_ashrrev_i32_e32 v4, 31, v3
	v_cmp_le_i64_e32 vcc, s[10:11], v[3:4]
	v_cmp_ge_i64_e64 s[2:3], s[12:13], v[3:4]
	s_and_b64 s[2:3], vcc, s[2:3]
	s_and_saveexec_b64 s[24:25], s[2:3]
	s_cbranch_execz .LBB15_2
; %bb.11:                               ;   in Loop: Header=BB15_3 Depth=1
	v_mov_b32_e32 v5, s11
	v_subrev_co_u32_e32 v3, vcc, s10, v3
	v_subb_co_u32_e32 v4, vcc, v4, v5, vcc
	v_mul_lo_u32 v6, v4, s8
	v_mul_lo_u32 v7, v3, s9
	v_mad_u64_u32 v[4:5], s[2:3], v3, s8, 0
	v_add3_u32 v5, v5, v7, v6
	v_or_b32_e32 v3, s36, v5
	v_cmp_ne_u64_e32 vcc, 0, v[2:3]
                                        ; implicit-def: $vgpr6_vgpr7
	s_and_saveexec_b64 s[2:3], vcc
	s_xor_b64 s[26:27], exec, s[2:3]
	s_cbranch_execz .LBB15_13
; %bb.12:                               ;   in Loop: Header=BB15_3 Depth=1
	s_ashr_i32 s28, s36, 31
	s_add_u32 s2, s33, s28
	s_mov_b32 s29, s28
	s_addc_u32 s3, s36, s28
	s_xor_b64 s[30:31], s[2:3], s[28:29]
	v_cvt_f32_u32_e32 v3, s30
	v_cvt_f32_u32_e32 v6, s31
	s_sub_u32 s29, 0, s30
	s_subb_u32 s34, 0, s31
	v_ashrrev_i32_e32 v7, 31, v5
	v_mac_f32_e32 v3, 0x4f800000, v6
	v_rcp_f32_e32 v3, v3
	v_mul_f32_e32 v3, 0x5f7ffffc, v3
	v_mul_f32_e32 v6, 0x2f800000, v3
	v_trunc_f32_e32 v6, v6
	v_mac_f32_e32 v3, 0xcf800000, v6
	v_cvt_u32_f32_e32 v6, v6
	v_cvt_u32_f32_e32 v3, v3
	v_readfirstlane_b32 s35, v6
	v_readfirstlane_b32 s2, v3
	s_mul_i32 s3, s29, s35
	s_mul_hi_u32 s40, s29, s2
	s_mul_i32 s39, s34, s2
	s_add_i32 s3, s40, s3
	s_add_i32 s3, s3, s39
	s_mul_i32 s41, s29, s2
	s_mul_i32 s40, s2, s3
	s_mul_hi_u32 s42, s2, s41
	s_mul_hi_u32 s39, s2, s3
	s_add_u32 s40, s42, s40
	s_addc_u32 s39, 0, s39
	s_mul_hi_u32 s43, s35, s41
	s_mul_i32 s41, s35, s41
	s_add_u32 s40, s40, s41
	s_mul_hi_u32 s42, s35, s3
	s_addc_u32 s39, s39, s43
	s_addc_u32 s40, s42, 0
	s_mul_i32 s3, s35, s3
	s_add_u32 s3, s39, s3
	s_addc_u32 s39, 0, s40
	s_add_u32 s40, s2, s3
	s_cselect_b64 s[2:3], -1, 0
	s_cmp_lg_u64 s[2:3], 0
	s_addc_u32 s35, s35, s39
	s_mul_i32 s2, s29, s35
	s_mul_hi_u32 s3, s29, s40
	s_add_i32 s2, s3, s2
	s_mul_i32 s34, s34, s40
	s_add_i32 s2, s2, s34
	s_mul_i32 s29, s29, s40
	s_mul_hi_u32 s34, s35, s29
	s_mul_i32 s39, s35, s29
	s_mul_i32 s42, s40, s2
	s_mul_hi_u32 s29, s40, s29
	s_mul_hi_u32 s41, s40, s2
	s_add_u32 s29, s29, s42
	s_addc_u32 s41, 0, s41
	s_add_u32 s29, s29, s39
	s_mul_hi_u32 s3, s35, s2
	s_addc_u32 s29, s41, s34
	s_addc_u32 s3, s3, 0
	s_mul_i32 s2, s35, s2
	s_add_u32 s2, s29, s2
	s_addc_u32 s29, 0, s3
	s_add_u32 s34, s40, s2
	s_cselect_b64 s[2:3], -1, 0
	s_cmp_lg_u64 s[2:3], 0
	v_add_co_u32_e32 v3, vcc, v4, v7
	s_addc_u32 s29, s35, s29
	v_xor_b32_e32 v8, v3, v7
	v_mad_u64_u32 v[3:4], s[2:3], v8, s29, 0
	v_mul_hi_u32 v6, v8, s34
	v_addc_co_u32_e32 v5, vcc, v5, v7, vcc
	v_xor_b32_e32 v9, v5, v7
	v_add_co_u32_e32 v10, vcc, v6, v3
	v_addc_co_u32_e32 v11, vcc, 0, v4, vcc
	v_mad_u64_u32 v[3:4], s[2:3], v9, s34, 0
	v_mad_u64_u32 v[5:6], s[2:3], v9, s29, 0
	v_add_co_u32_e32 v3, vcc, v10, v3
	v_addc_co_u32_e32 v3, vcc, v11, v4, vcc
	v_addc_co_u32_e32 v4, vcc, 0, v6, vcc
	v_add_co_u32_e32 v5, vcc, v3, v5
	v_addc_co_u32_e32 v3, vcc, 0, v4, vcc
	v_mul_lo_u32 v6, s31, v5
	v_mul_lo_u32 v10, s30, v3
	v_mad_u64_u32 v[3:4], s[2:3], s30, v5, 0
	v_add3_u32 v4, v4, v10, v6
	v_sub_u32_e32 v6, v9, v4
	v_mov_b32_e32 v10, s31
	v_sub_co_u32_e32 v3, vcc, v8, v3
	v_subb_co_u32_e64 v6, s[2:3], v6, v10, vcc
	v_subrev_co_u32_e64 v8, s[2:3], s30, v3
	v_subbrev_co_u32_e64 v6, s[2:3], 0, v6, s[2:3]
	v_cmp_le_u32_e64 s[2:3], s31, v6
	v_subb_co_u32_e32 v4, vcc, v9, v4, vcc
	v_cndmask_b32_e64 v10, 0, -1, s[2:3]
	v_cmp_le_u32_e64 s[2:3], s30, v8
	v_cmp_le_u32_e32 vcc, s31, v4
	v_cndmask_b32_e64 v8, 0, -1, s[2:3]
	v_cmp_eq_u32_e64 s[2:3], s31, v6
	v_cndmask_b32_e64 v9, 0, -1, vcc
	v_cmp_le_u32_e32 vcc, s30, v3
	v_cndmask_b32_e64 v6, v10, v8, s[2:3]
	v_cndmask_b32_e64 v3, 0, -1, vcc
	v_cmp_eq_u32_e32 vcc, s31, v4
	v_add_co_u32_e64 v8, s[2:3], 2, v5
	v_add_co_u32_e64 v10, s[2:3], 1, v5
	v_cndmask_b32_e32 v3, v9, v3, vcc
	v_cmp_ne_u32_e32 vcc, 0, v6
	v_cndmask_b32_e32 v4, v10, v8, vcc
	v_cmp_ne_u32_e32 vcc, 0, v3
	v_cndmask_b32_e32 v3, v5, v4, vcc
	v_xor_b32_e32 v4, s28, v7
	v_xor_b32_e32 v3, v3, v4
	v_sub_co_u32_e32 v6, vcc, v3, v4
                                        ; implicit-def: $vgpr4_vgpr5
.LBB15_13:                              ;   in Loop: Header=BB15_3 Depth=1
	s_andn2_saveexec_b64 s[2:3], s[26:27]
	s_cbranch_execz .LBB15_15
; %bb.14:                               ;   in Loop: Header=BB15_3 Depth=1
	v_cvt_f32_u32_e32 v3, s33
	s_sub_i32 s26, 0, s33
	v_rcp_iflag_f32_e32 v3, v3
	v_mul_f32_e32 v3, 0x4f7ffffe, v3
	v_cvt_u32_f32_e32 v3, v3
	v_mul_lo_u32 v5, s26, v3
	v_mul_hi_u32 v5, v3, v5
	v_add_u32_e32 v3, v3, v5
	v_mul_hi_u32 v3, v4, v3
	v_mul_lo_u32 v5, v3, s33
	v_add_u32_e32 v6, 1, v3
	v_sub_u32_e32 v4, v4, v5
	v_subrev_u32_e32 v5, s33, v4
	v_cmp_le_u32_e32 vcc, s33, v4
	v_cndmask_b32_e32 v4, v4, v5, vcc
	v_cndmask_b32_e32 v3, v3, v6, vcc
	v_add_u32_e32 v5, 1, v3
	v_cmp_le_u32_e32 vcc, s33, v4
	v_cndmask_b32_e32 v6, v3, v5, vcc
.LBB15_15:                              ;   in Loop: Header=BB15_3 Depth=1
	s_or_b64 exec, exec, s[2:3]
	v_ashrrev_i32_e32 v7, 31, v6
	v_cmp_eq_u64_e32 vcc, s[8:9], v[6:7]
	v_cndmask_b32_e64 v3, 0, 1, vcc
	v_sub_co_u32_e32 v3, vcc, v6, v3
	v_subbrev_co_u32_e32 v4, vcc, 0, v7, vcc
	v_mul_lo_u32 v5, v4, s16
	v_mul_lo_u32 v6, v3, s17
	v_mad_u64_u32 v[3:4], s[2:3], v3, s16, 0
	s_mov_b64 s[2:3], 0
	v_add3_u32 v4, v4, v6, v5
	v_lshlrev_b64 v[3:4], 2, v[3:4]
	v_mov_b32_e32 v5, s7
	v_add_co_u32_e32 v3, vcc, s6, v3
	v_addc_co_u32_e32 v4, vcc, v5, v4, vcc
	global_load_dword v6, v[3:4], off
.LBB15_16:                              ;   Parent Loop BB15_3 Depth=1
                                        ; =>  This Inner Loop Header: Depth=2
	s_waitcnt vmcnt(0)
	v_add_f32_e32 v5, 1.0, v6
	global_atomic_cmpswap v5, v[3:4], v[5:6], off glc
	s_waitcnt vmcnt(0)
	v_cmp_eq_u32_e32 vcc, v5, v6
	s_or_b64 s[2:3], vcc, s[2:3]
	v_mov_b32_e32 v6, v5
	s_andn2_b64 exec, exec, s[2:3]
	s_cbranch_execnz .LBB15_16
	s_branch .LBB15_2
.LBB15_17:
	s_endpgm
	.section	.rodata,"a",@progbits
	.p2align	6, 0x0
	.amdhsa_kernel _ZN2at4cuda17kernelHistogram1DIfalLi1ELi2ELin1ELNS0_23CUDAHistogramMemoryTypeE1EZNS0_21CUDA_tensor_histogramIfaLb1EEEbNS_6TensorES4_S4_lNS_14AccumulateTypeIT0_Lb1EE4typeES8_NS0_13TensorArgTypeES9_S9_EUllE0_EEvNS0_6detail10TensorInfoIT_T1_EESF_NSC_IKS6_SE_EElS8_S8_SE_T6_
		.amdhsa_group_segment_fixed_size 0
		.amdhsa_private_segment_fixed_size 0
		.amdhsa_kernarg_size 1544
		.amdhsa_user_sgpr_count 6
		.amdhsa_user_sgpr_private_segment_buffer 1
		.amdhsa_user_sgpr_dispatch_ptr 0
		.amdhsa_user_sgpr_queue_ptr 0
		.amdhsa_user_sgpr_kernarg_segment_ptr 1
		.amdhsa_user_sgpr_dispatch_id 0
		.amdhsa_user_sgpr_flat_scratch_init 0
		.amdhsa_user_sgpr_private_segment_size 0
		.amdhsa_uses_dynamic_stack 0
		.amdhsa_system_sgpr_private_segment_wavefront_offset 0
		.amdhsa_system_sgpr_workgroup_id_x 1
		.amdhsa_system_sgpr_workgroup_id_y 0
		.amdhsa_system_sgpr_workgroup_id_z 0
		.amdhsa_system_sgpr_workgroup_info 0
		.amdhsa_system_vgpr_workitem_id 0
		.amdhsa_next_free_vgpr 18
		.amdhsa_next_free_sgpr 47
		.amdhsa_reserve_vcc 1
		.amdhsa_reserve_flat_scratch 0
		.amdhsa_float_round_mode_32 0
		.amdhsa_float_round_mode_16_64 0
		.amdhsa_float_denorm_mode_32 3
		.amdhsa_float_denorm_mode_16_64 3
		.amdhsa_dx10_clamp 1
		.amdhsa_ieee_mode 1
		.amdhsa_fp16_overflow 0
		.amdhsa_exception_fp_ieee_invalid_op 0
		.amdhsa_exception_fp_denorm_src 0
		.amdhsa_exception_fp_ieee_div_zero 0
		.amdhsa_exception_fp_ieee_overflow 0
		.amdhsa_exception_fp_ieee_underflow 0
		.amdhsa_exception_fp_ieee_inexact 0
		.amdhsa_exception_int_div_zero 0
	.end_amdhsa_kernel
	.section	.text._ZN2at4cuda17kernelHistogram1DIfalLi1ELi2ELin1ELNS0_23CUDAHistogramMemoryTypeE1EZNS0_21CUDA_tensor_histogramIfaLb1EEEbNS_6TensorES4_S4_lNS_14AccumulateTypeIT0_Lb1EE4typeES8_NS0_13TensorArgTypeES9_S9_EUllE0_EEvNS0_6detail10TensorInfoIT_T1_EESF_NSC_IKS6_SE_EElS8_S8_SE_T6_,"axG",@progbits,_ZN2at4cuda17kernelHistogram1DIfalLi1ELi2ELin1ELNS0_23CUDAHistogramMemoryTypeE1EZNS0_21CUDA_tensor_histogramIfaLb1EEEbNS_6TensorES4_S4_lNS_14AccumulateTypeIT0_Lb1EE4typeES8_NS0_13TensorArgTypeES9_S9_EUllE0_EEvNS0_6detail10TensorInfoIT_T1_EESF_NSC_IKS6_SE_EElS8_S8_SE_T6_,comdat
.Lfunc_end15:
	.size	_ZN2at4cuda17kernelHistogram1DIfalLi1ELi2ELin1ELNS0_23CUDAHistogramMemoryTypeE1EZNS0_21CUDA_tensor_histogramIfaLb1EEEbNS_6TensorES4_S4_lNS_14AccumulateTypeIT0_Lb1EE4typeES8_NS0_13TensorArgTypeES9_S9_EUllE0_EEvNS0_6detail10TensorInfoIT_T1_EESF_NSC_IKS6_SE_EElS8_S8_SE_T6_, .Lfunc_end15-_ZN2at4cuda17kernelHistogram1DIfalLi1ELi2ELin1ELNS0_23CUDAHistogramMemoryTypeE1EZNS0_21CUDA_tensor_histogramIfaLb1EEEbNS_6TensorES4_S4_lNS_14AccumulateTypeIT0_Lb1EE4typeES8_NS0_13TensorArgTypeES9_S9_EUllE0_EEvNS0_6detail10TensorInfoIT_T1_EESF_NSC_IKS6_SE_EElS8_S8_SE_T6_
                                        ; -- End function
	.set _ZN2at4cuda17kernelHistogram1DIfalLi1ELi2ELin1ELNS0_23CUDAHistogramMemoryTypeE1EZNS0_21CUDA_tensor_histogramIfaLb1EEEbNS_6TensorES4_S4_lNS_14AccumulateTypeIT0_Lb1EE4typeES8_NS0_13TensorArgTypeES9_S9_EUllE0_EEvNS0_6detail10TensorInfoIT_T1_EESF_NSC_IKS6_SE_EElS8_S8_SE_T6_.num_vgpr, 18
	.set _ZN2at4cuda17kernelHistogram1DIfalLi1ELi2ELin1ELNS0_23CUDAHistogramMemoryTypeE1EZNS0_21CUDA_tensor_histogramIfaLb1EEEbNS_6TensorES4_S4_lNS_14AccumulateTypeIT0_Lb1EE4typeES8_NS0_13TensorArgTypeES9_S9_EUllE0_EEvNS0_6detail10TensorInfoIT_T1_EESF_NSC_IKS6_SE_EElS8_S8_SE_T6_.num_agpr, 0
	.set _ZN2at4cuda17kernelHistogram1DIfalLi1ELi2ELin1ELNS0_23CUDAHistogramMemoryTypeE1EZNS0_21CUDA_tensor_histogramIfaLb1EEEbNS_6TensorES4_S4_lNS_14AccumulateTypeIT0_Lb1EE4typeES8_NS0_13TensorArgTypeES9_S9_EUllE0_EEvNS0_6detail10TensorInfoIT_T1_EESF_NSC_IKS6_SE_EElS8_S8_SE_T6_.numbered_sgpr, 47
	.set _ZN2at4cuda17kernelHistogram1DIfalLi1ELi2ELin1ELNS0_23CUDAHistogramMemoryTypeE1EZNS0_21CUDA_tensor_histogramIfaLb1EEEbNS_6TensorES4_S4_lNS_14AccumulateTypeIT0_Lb1EE4typeES8_NS0_13TensorArgTypeES9_S9_EUllE0_EEvNS0_6detail10TensorInfoIT_T1_EESF_NSC_IKS6_SE_EElS8_S8_SE_T6_.num_named_barrier, 0
	.set _ZN2at4cuda17kernelHistogram1DIfalLi1ELi2ELin1ELNS0_23CUDAHistogramMemoryTypeE1EZNS0_21CUDA_tensor_histogramIfaLb1EEEbNS_6TensorES4_S4_lNS_14AccumulateTypeIT0_Lb1EE4typeES8_NS0_13TensorArgTypeES9_S9_EUllE0_EEvNS0_6detail10TensorInfoIT_T1_EESF_NSC_IKS6_SE_EElS8_S8_SE_T6_.private_seg_size, 0
	.set _ZN2at4cuda17kernelHistogram1DIfalLi1ELi2ELin1ELNS0_23CUDAHistogramMemoryTypeE1EZNS0_21CUDA_tensor_histogramIfaLb1EEEbNS_6TensorES4_S4_lNS_14AccumulateTypeIT0_Lb1EE4typeES8_NS0_13TensorArgTypeES9_S9_EUllE0_EEvNS0_6detail10TensorInfoIT_T1_EESF_NSC_IKS6_SE_EElS8_S8_SE_T6_.uses_vcc, 1
	.set _ZN2at4cuda17kernelHistogram1DIfalLi1ELi2ELin1ELNS0_23CUDAHistogramMemoryTypeE1EZNS0_21CUDA_tensor_histogramIfaLb1EEEbNS_6TensorES4_S4_lNS_14AccumulateTypeIT0_Lb1EE4typeES8_NS0_13TensorArgTypeES9_S9_EUllE0_EEvNS0_6detail10TensorInfoIT_T1_EESF_NSC_IKS6_SE_EElS8_S8_SE_T6_.uses_flat_scratch, 0
	.set _ZN2at4cuda17kernelHistogram1DIfalLi1ELi2ELin1ELNS0_23CUDAHistogramMemoryTypeE1EZNS0_21CUDA_tensor_histogramIfaLb1EEEbNS_6TensorES4_S4_lNS_14AccumulateTypeIT0_Lb1EE4typeES8_NS0_13TensorArgTypeES9_S9_EUllE0_EEvNS0_6detail10TensorInfoIT_T1_EESF_NSC_IKS6_SE_EElS8_S8_SE_T6_.has_dyn_sized_stack, 0
	.set _ZN2at4cuda17kernelHistogram1DIfalLi1ELi2ELin1ELNS0_23CUDAHistogramMemoryTypeE1EZNS0_21CUDA_tensor_histogramIfaLb1EEEbNS_6TensorES4_S4_lNS_14AccumulateTypeIT0_Lb1EE4typeES8_NS0_13TensorArgTypeES9_S9_EUllE0_EEvNS0_6detail10TensorInfoIT_T1_EESF_NSC_IKS6_SE_EElS8_S8_SE_T6_.has_recursion, 0
	.set _ZN2at4cuda17kernelHistogram1DIfalLi1ELi2ELin1ELNS0_23CUDAHistogramMemoryTypeE1EZNS0_21CUDA_tensor_histogramIfaLb1EEEbNS_6TensorES4_S4_lNS_14AccumulateTypeIT0_Lb1EE4typeES8_NS0_13TensorArgTypeES9_S9_EUllE0_EEvNS0_6detail10TensorInfoIT_T1_EESF_NSC_IKS6_SE_EElS8_S8_SE_T6_.has_indirect_call, 0
	.section	.AMDGPU.csdata,"",@progbits
; Kernel info:
; codeLenInByte = 2104
; TotalNumSgprs: 51
; NumVgprs: 18
; ScratchSize: 0
; MemoryBound: 0
; FloatMode: 240
; IeeeMode: 1
; LDSByteSize: 0 bytes/workgroup (compile time only)
; SGPRBlocks: 6
; VGPRBlocks: 4
; NumSGPRsForWavesPerEU: 51
; NumVGPRsForWavesPerEU: 18
; Occupancy: 10
; WaveLimiterHint : 1
; COMPUTE_PGM_RSRC2:SCRATCH_EN: 0
; COMPUTE_PGM_RSRC2:USER_SGPR: 6
; COMPUTE_PGM_RSRC2:TRAP_HANDLER: 0
; COMPUTE_PGM_RSRC2:TGID_X_EN: 1
; COMPUTE_PGM_RSRC2:TGID_Y_EN: 0
; COMPUTE_PGM_RSRC2:TGID_Z_EN: 0
; COMPUTE_PGM_RSRC2:TIDIG_COMP_CNT: 0
	.section	.text._ZN2at4cuda17kernelHistogram1DIlalLi1ELi2ELin1ELNS0_23CUDAHistogramMemoryTypeE0EZNS0_21CUDA_tensor_histogramIlaLb0EEEbNS_6TensorES4_S4_lNS_14AccumulateTypeIT0_Lb1EE4typeES8_NS0_13TensorArgTypeES9_S9_EUllE_EEvNS0_6detail10TensorInfoIT_T1_EESF_NSC_IKS6_SE_EElS8_S8_SE_T6_,"axG",@progbits,_ZN2at4cuda17kernelHistogram1DIlalLi1ELi2ELin1ELNS0_23CUDAHistogramMemoryTypeE0EZNS0_21CUDA_tensor_histogramIlaLb0EEEbNS_6TensorES4_S4_lNS_14AccumulateTypeIT0_Lb1EE4typeES8_NS0_13TensorArgTypeES9_S9_EUllE_EEvNS0_6detail10TensorInfoIT_T1_EESF_NSC_IKS6_SE_EElS8_S8_SE_T6_,comdat
	.protected	_ZN2at4cuda17kernelHistogram1DIlalLi1ELi2ELin1ELNS0_23CUDAHistogramMemoryTypeE0EZNS0_21CUDA_tensor_histogramIlaLb0EEEbNS_6TensorES4_S4_lNS_14AccumulateTypeIT0_Lb1EE4typeES8_NS0_13TensorArgTypeES9_S9_EUllE_EEvNS0_6detail10TensorInfoIT_T1_EESF_NSC_IKS6_SE_EElS8_S8_SE_T6_ ; -- Begin function _ZN2at4cuda17kernelHistogram1DIlalLi1ELi2ELin1ELNS0_23CUDAHistogramMemoryTypeE0EZNS0_21CUDA_tensor_histogramIlaLb0EEEbNS_6TensorES4_S4_lNS_14AccumulateTypeIT0_Lb1EE4typeES8_NS0_13TensorArgTypeES9_S9_EUllE_EEvNS0_6detail10TensorInfoIT_T1_EESF_NSC_IKS6_SE_EElS8_S8_SE_T6_
	.globl	_ZN2at4cuda17kernelHistogram1DIlalLi1ELi2ELin1ELNS0_23CUDAHistogramMemoryTypeE0EZNS0_21CUDA_tensor_histogramIlaLb0EEEbNS_6TensorES4_S4_lNS_14AccumulateTypeIT0_Lb1EE4typeES8_NS0_13TensorArgTypeES9_S9_EUllE_EEvNS0_6detail10TensorInfoIT_T1_EESF_NSC_IKS6_SE_EElS8_S8_SE_T6_
	.p2align	8
	.type	_ZN2at4cuda17kernelHistogram1DIlalLi1ELi2ELin1ELNS0_23CUDAHistogramMemoryTypeE0EZNS0_21CUDA_tensor_histogramIlaLb0EEEbNS_6TensorES4_S4_lNS_14AccumulateTypeIT0_Lb1EE4typeES8_NS0_13TensorArgTypeES9_S9_EUllE_EEvNS0_6detail10TensorInfoIT_T1_EESF_NSC_IKS6_SE_EElS8_S8_SE_T6_,@function
_ZN2at4cuda17kernelHistogram1DIlalLi1ELi2ELin1ELNS0_23CUDAHistogramMemoryTypeE0EZNS0_21CUDA_tensor_histogramIlaLb0EEEbNS_6TensorES4_S4_lNS_14AccumulateTypeIT0_Lb1EE4typeES8_NS0_13TensorArgTypeES9_S9_EUllE_EEvNS0_6detail10TensorInfoIT_T1_EESF_NSC_IKS6_SE_EElS8_S8_SE_T6_: ; @_ZN2at4cuda17kernelHistogram1DIlalLi1ELi2ELin1ELNS0_23CUDAHistogramMemoryTypeE0EZNS0_21CUDA_tensor_histogramIlaLb0EEEbNS_6TensorES4_S4_lNS_14AccumulateTypeIT0_Lb1EE4typeES8_NS0_13TensorArgTypeES9_S9_EUllE_EEvNS0_6detail10TensorInfoIT_T1_EESF_NSC_IKS6_SE_EElS8_S8_SE_T6_
; %bb.0:
	s_load_dwordx4 s[16:19], s[4:5], 0x0
	s_load_dwordx2 s[20:21], s[4:5], 0x500
	s_load_dwordx8 s[8:15], s[4:5], 0x4e0
	v_mov_b32_e32 v1, 0
	s_add_u32 s2, s4, 0x6a0
	s_waitcnt lgkmcnt(0)
	v_cmp_gt_i64_e64 s[0:1], s[18:19], v[0:1]
	v_cmp_le_i64_e32 vcc, s[18:19], v[0:1]
	s_addc_u32 s3, s5, 0
                                        ; implicit-def: $sgpr7
                                        ; implicit-def: $sgpr28
	s_and_saveexec_b64 s[22:23], vcc
	s_xor_b64 s[22:23], exec, s[22:23]
	s_cbranch_execz .LBB16_2
; %bb.1:
	s_load_dword s7, s[2:3], 0xc
	s_waitcnt lgkmcnt(0)
	s_and_b32 s28, s7, 0xffff
.LBB16_2:
	s_or_saveexec_b64 s[26:27], s[22:23]
	s_load_dwordx2 s[22:23], s[4:5], 0xd0
	s_load_dwordx2 s[24:25], s[4:5], 0x5d0
	v_mov_b32_e32 v14, s7
	v_mov_b32_e32 v13, s28
	v_lshl_add_u32 v12, v0, 3, 0
	s_xor_b64 exec, exec, s[26:27]
	s_cbranch_execz .LBB16_6
; %bb.3:
	s_load_dword s7, s[2:3], 0xc
	v_mov_b32_e32 v2, 0
	v_mov_b32_e32 v5, v1
	v_lshl_add_u32 v6, v0, 3, 0
	s_mov_b64 s[28:29], 0
	s_waitcnt lgkmcnt(0)
	s_and_b32 s30, s7, 0xffff
	v_mov_b32_e32 v3, v2
	s_lshl_b32 s31, s30, 3
	v_mov_b32_e32 v4, v0
.LBB16_4:                               ; =>This Inner Loop Header: Depth=1
	v_add_co_u32_e32 v4, vcc, s30, v4
	v_addc_co_u32_e32 v5, vcc, 0, v5, vcc
	v_cmp_le_i64_e32 vcc, s[18:19], v[4:5]
	ds_write_b64 v6, v[2:3]
	s_or_b64 s[28:29], vcc, s[28:29]
	v_add_u32_e32 v6, s31, v6
	s_andn2_b64 exec, exec, s[28:29]
	s_cbranch_execnz .LBB16_4
; %bb.5:
	s_or_b64 exec, exec, s[28:29]
	v_mov_b32_e32 v14, s7
	v_mov_b32_e32 v13, s30
.LBB16_6:
	s_or_b64 exec, exec, s[26:27]
	v_mad_u64_u32 v[2:3], s[6:7], s6, v13, v[0:1]
	v_mov_b32_e32 v4, 0
	v_mov_b32_e32 v3, v4
	v_cmp_gt_i64_e32 vcc, s[14:15], v[2:3]
	s_waitcnt lgkmcnt(0)
	s_barrier
	s_and_saveexec_b64 s[6:7], vcc
	s_cbranch_execz .LBB16_22
; %bb.7:
	s_load_dword s30, s[4:5], 0x4d8
	s_load_dwordx2 s[28:29], s[4:5], 0x340
	s_add_u32 s31, s4, 0x340
	s_addc_u32 s35, s5, 0
	s_load_dword s34, s[2:3], 0x0
	s_load_dwordx2 s[26:27], s[4:5], 0x410
	s_waitcnt lgkmcnt(0)
	s_cmp_gt_i32 s30, 1
	s_cselect_b64 s[2:3], -1, 0
	s_sub_u32 s33, s12, s10
	s_subb_u32 s46, s13, s11
	s_mov_b32 s5, 0
	s_add_i32 s4, s30, -1
	s_add_i32 s47, s30, 1
	s_lshl_b64 s[4:5], s[4:5], 3
	v_mul_lo_u32 v15, s34, v13
	s_add_u32 s4, s31, s4
	s_addc_u32 s5, s35, s5
	s_add_u32 s30, s4, 8
	v_cndmask_b32_e64 v5, 0, 1, s[2:3]
	s_addc_u32 s31, s5, 0
	s_mov_b64 s[34:35], 0
	v_cmp_ne_u32_e64 s[2:3], 1, v5
	s_branch .LBB16_10
.LBB16_8:                               ;   in Loop: Header=BB16_10 Depth=1
	s_or_b64 exec, exec, s[4:5]
	v_mul_lo_u32 v7, v3, s24
	v_mul_lo_u32 v9, v2, s25
	v_mad_u64_u32 v[5:6], s[4:5], v2, s24, 0
	v_add3_u32 v6, v6, v9, v7
	v_lshlrev_b64 v[5:6], 3, v[5:6]
	v_mov_b32_e32 v7, s21
	v_add_co_u32_e32 v5, vcc, s20, v5
	v_addc_co_u32_e32 v6, vcc, v7, v6, vcc
	global_load_dwordx2 v[5:6], v[5:6], off
	v_ashrrev_i32_e32 v9, 31, v8
	v_cmp_eq_u64_e32 vcc, s[8:9], v[8:9]
	v_subbrev_co_u32_e32 v7, vcc, 0, v8, vcc
	v_lshl_add_u32 v7, v7, 3, 0
	s_waitcnt vmcnt(0)
	ds_add_u64 v7, v[5:6]
.LBB16_9:                               ;   in Loop: Header=BB16_10 Depth=1
	s_or_b64 exec, exec, s[36:37]
	v_add_co_u32_e32 v2, vcc, v2, v15
	v_addc_co_u32_e32 v3, vcc, 0, v3, vcc
	v_cmp_le_i64_e32 vcc, s[14:15], v[2:3]
	s_or_b64 s[34:35], vcc, s[34:35]
	s_andn2_b64 exec, exec, s[34:35]
	s_cbranch_execz .LBB16_22
.LBB16_10:                              ; =>This Loop Header: Depth=1
                                        ;     Child Loop BB16_11 Depth 2
	v_mov_b32_e32 v6, 0
	v_mov_b32_e32 v9, v3
	;; [unrolled: 1-line block ×4, first 2 shown]
	s_and_b64 vcc, exec, s[2:3]
	s_mov_b64 s[36:37], s[30:31]
	s_mov_b32 s48, s47
	v_mov_b32_e32 v8, v2
	v_mov_b32_e32 v10, v2
	s_cbranch_vccnz .LBB16_17
.LBB16_11:                              ;   Parent Loop BB16_10 Depth=1
                                        ; =>  This Inner Loop Header: Depth=2
	s_load_dwordx2 s[38:39], s[36:37], 0x0
                                        ; implicit-def: $vgpr10_vgpr11
	s_waitcnt lgkmcnt(0)
	v_or_b32_e32 v5, s39, v9
	v_cmp_ne_u64_e32 vcc, 0, v[4:5]
	s_and_saveexec_b64 s[4:5], vcc
	s_xor_b64 s[40:41], exec, s[4:5]
	s_cbranch_execz .LBB16_13
; %bb.12:                               ;   in Loop: Header=BB16_11 Depth=2
	s_ashr_i32 s42, s39, 31
	s_add_u32 s4, s38, s42
	s_mov_b32 s43, s42
	s_addc_u32 s5, s39, s42
	s_xor_b64 s[44:45], s[4:5], s[42:43]
	v_cvt_f32_u32_e32 v5, s44
	v_cvt_f32_u32_e32 v10, s45
	s_sub_u32 s43, 0, s44
	s_subb_u32 s49, 0, s45
	v_mac_f32_e32 v5, 0x4f800000, v10
	v_rcp_f32_e32 v5, v5
	v_mul_f32_e32 v5, 0x5f7ffffc, v5
	v_mul_f32_e32 v10, 0x2f800000, v5
	v_trunc_f32_e32 v10, v10
	v_mac_f32_e32 v5, 0xcf800000, v10
	v_cvt_u32_f32_e32 v10, v10
	v_cvt_u32_f32_e32 v5, v5
	v_readfirstlane_b32 s50, v10
	v_readfirstlane_b32 s4, v5
	s_mul_i32 s5, s43, s50
	s_mul_hi_u32 s52, s43, s4
	s_mul_i32 s51, s49, s4
	s_add_i32 s5, s52, s5
	s_add_i32 s5, s5, s51
	s_mul_i32 s53, s43, s4
	s_mul_i32 s52, s4, s5
	s_mul_hi_u32 s54, s4, s53
	s_mul_hi_u32 s51, s4, s5
	s_add_u32 s52, s54, s52
	s_addc_u32 s51, 0, s51
	s_mul_hi_u32 s55, s50, s53
	s_mul_i32 s53, s50, s53
	s_add_u32 s52, s52, s53
	s_mul_hi_u32 s54, s50, s5
	s_addc_u32 s51, s51, s55
	s_addc_u32 s52, s54, 0
	s_mul_i32 s5, s50, s5
	s_add_u32 s5, s51, s5
	s_addc_u32 s51, 0, s52
	s_add_u32 s52, s4, s5
	s_cselect_b64 s[4:5], -1, 0
	s_cmp_lg_u64 s[4:5], 0
	s_addc_u32 s50, s50, s51
	s_mul_i32 s4, s43, s50
	s_mul_hi_u32 s5, s43, s52
	s_add_i32 s4, s5, s4
	s_mul_i32 s49, s49, s52
	s_add_i32 s4, s4, s49
	s_mul_i32 s43, s43, s52
	s_mul_hi_u32 s49, s50, s43
	s_mul_i32 s51, s50, s43
	s_mul_i32 s54, s52, s4
	s_mul_hi_u32 s43, s52, s43
	s_mul_hi_u32 s53, s52, s4
	s_add_u32 s43, s43, s54
	s_addc_u32 s53, 0, s53
	s_add_u32 s43, s43, s51
	s_mul_hi_u32 s5, s50, s4
	s_addc_u32 s43, s53, s49
	s_addc_u32 s5, s5, 0
	s_mul_i32 s4, s50, s4
	s_add_u32 s4, s43, s4
	s_addc_u32 s43, 0, s5
	s_add_u32 s49, s52, s4
	s_cselect_b64 s[4:5], -1, 0
	v_ashrrev_i32_e32 v5, 31, v9
	s_cmp_lg_u64 s[4:5], 0
	v_add_co_u32_e32 v10, vcc, v8, v5
	s_addc_u32 s43, s50, s43
	v_xor_b32_e32 v18, v10, v5
	v_mad_u64_u32 v[10:11], s[4:5], v18, s43, 0
	v_mul_hi_u32 v17, v18, s49
	v_addc_co_u32_e32 v16, vcc, v9, v5, vcc
	v_xor_b32_e32 v19, v16, v5
	v_add_co_u32_e32 v20, vcc, v17, v10
	v_addc_co_u32_e32 v21, vcc, 0, v11, vcc
	v_mad_u64_u32 v[10:11], s[4:5], v19, s49, 0
	v_mad_u64_u32 v[16:17], s[4:5], v19, s43, 0
	v_add_co_u32_e32 v10, vcc, v20, v10
	v_addc_co_u32_e32 v10, vcc, v21, v11, vcc
	v_addc_co_u32_e32 v11, vcc, 0, v17, vcc
	v_add_co_u32_e32 v16, vcc, v10, v16
	v_addc_co_u32_e32 v17, vcc, 0, v11, vcc
	v_mul_lo_u32 v20, s45, v16
	v_mul_lo_u32 v21, s44, v17
	v_mad_u64_u32 v[10:11], s[4:5], s44, v16, 0
	v_xor_b32_e32 v5, s42, v5
	v_add3_u32 v11, v11, v21, v20
	v_sub_u32_e32 v20, v19, v11
	v_mov_b32_e32 v21, s45
	v_sub_co_u32_e32 v10, vcc, v18, v10
	v_subb_co_u32_e64 v18, s[4:5], v20, v21, vcc
	v_subrev_co_u32_e64 v20, s[4:5], s44, v10
	v_subbrev_co_u32_e64 v18, s[4:5], 0, v18, s[4:5]
	v_cmp_le_u32_e64 s[4:5], s45, v18
	v_cndmask_b32_e64 v21, 0, -1, s[4:5]
	v_cmp_le_u32_e64 s[4:5], s44, v20
	v_cndmask_b32_e64 v20, 0, -1, s[4:5]
	v_cmp_eq_u32_e64 s[4:5], s45, v18
	v_cndmask_b32_e64 v18, v21, v20, s[4:5]
	v_add_co_u32_e64 v20, s[4:5], 2, v16
	v_subb_co_u32_e32 v11, vcc, v19, v11, vcc
	v_addc_co_u32_e64 v21, s[4:5], 0, v17, s[4:5]
	v_cmp_le_u32_e32 vcc, s45, v11
	v_add_co_u32_e64 v22, s[4:5], 1, v16
	v_cndmask_b32_e64 v19, 0, -1, vcc
	v_cmp_le_u32_e32 vcc, s44, v10
	v_addc_co_u32_e64 v23, s[4:5], 0, v17, s[4:5]
	v_cndmask_b32_e64 v10, 0, -1, vcc
	v_cmp_eq_u32_e32 vcc, s45, v11
	v_cmp_ne_u32_e64 s[4:5], 0, v18
	v_cndmask_b32_e32 v10, v19, v10, vcc
	v_cndmask_b32_e64 v18, v23, v21, s[4:5]
	v_cmp_ne_u32_e32 vcc, 0, v10
	v_cndmask_b32_e64 v11, v22, v20, s[4:5]
	v_cndmask_b32_e32 v10, v17, v18, vcc
	v_cndmask_b32_e32 v11, v16, v11, vcc
	v_xor_b32_e32 v16, v10, v5
	v_xor_b32_e32 v10, v11, v5
	v_sub_co_u32_e32 v10, vcc, v10, v5
	v_subb_co_u32_e32 v11, vcc, v16, v5, vcc
.LBB16_13:                              ;   in Loop: Header=BB16_11 Depth=2
	s_andn2_saveexec_b64 s[4:5], s[40:41]
	s_cbranch_execz .LBB16_15
; %bb.14:                               ;   in Loop: Header=BB16_11 Depth=2
	v_cvt_f32_u32_e32 v5, s38
	s_sub_i32 s40, 0, s38
	v_rcp_iflag_f32_e32 v5, v5
	v_mul_f32_e32 v5, 0x4f7ffffe, v5
	v_cvt_u32_f32_e32 v5, v5
	v_mul_lo_u32 v10, s40, v5
	v_mul_hi_u32 v10, v5, v10
	v_add_u32_e32 v5, v5, v10
	v_mul_hi_u32 v5, v8, v5
	v_mul_lo_u32 v10, v5, s38
	v_add_u32_e32 v11, 1, v5
	v_sub_u32_e32 v10, v8, v10
	v_subrev_u32_e32 v16, s38, v10
	v_cmp_le_u32_e32 vcc, s38, v10
	v_cndmask_b32_e32 v10, v10, v16, vcc
	v_cndmask_b32_e32 v5, v5, v11, vcc
	v_add_u32_e32 v11, 1, v5
	v_cmp_le_u32_e32 vcc, s38, v10
	v_cndmask_b32_e32 v10, v5, v11, vcc
	v_mov_b32_e32 v11, v4
.LBB16_15:                              ;   in Loop: Header=BB16_11 Depth=2
	s_or_b64 exec, exec, s[4:5]
	v_mul_lo_u32 v5, v11, s38
	v_mul_lo_u32 v18, v10, s39
	v_mad_u64_u32 v[16:17], s[4:5], v10, s38, 0
	s_load_dwordx2 s[4:5], s[36:37], 0xc8
	s_add_i32 s48, s48, -1
	v_add3_u32 v5, v17, v18, v5
	v_sub_co_u32_e32 v8, vcc, v8, v16
	v_subb_co_u32_e32 v5, vcc, v9, v5, vcc
	s_waitcnt lgkmcnt(0)
	v_mul_lo_u32 v5, s4, v5
	v_mul_lo_u32 v9, s5, v8
	v_mad_u64_u32 v[6:7], s[4:5], s4, v8, v[6:7]
	s_add_u32 s36, s36, -8
	s_addc_u32 s37, s37, -1
	s_cmp_gt_u32 s48, 2
	v_add3_u32 v7, v9, v7, v5
	s_cbranch_scc0 .LBB16_17
; %bb.16:                               ;   in Loop: Header=BB16_11 Depth=2
	v_mov_b32_e32 v8, v10
	v_mov_b32_e32 v9, v11
	s_branch .LBB16_11
.LBB16_17:                              ;   in Loop: Header=BB16_10 Depth=1
	v_mov_b32_e32 v8, s28
	v_mov_b32_e32 v9, s29
	v_mul_lo_u32 v5, s26, v11
	v_mul_lo_u32 v11, s27, v10
	v_mad_u64_u32 v[8:9], s[4:5], s26, v10, v[8:9]
	v_add3_u32 v9, v11, v9, v5
	v_add_co_u32_e32 v5, vcc, v8, v6
	v_addc_co_u32_e32 v6, vcc, v9, v7, vcc
	global_load_sbyte v5, v[5:6], off
	s_waitcnt vmcnt(0)
	v_bfe_i32 v5, v5, 0, 16
	v_ashrrev_i32_e32 v6, 31, v5
	v_cmp_le_i64_e32 vcc, s[10:11], v[5:6]
	v_cmp_ge_i64_e64 s[4:5], s[12:13], v[5:6]
	s_and_b64 s[4:5], vcc, s[4:5]
	s_and_saveexec_b64 s[36:37], s[4:5]
	s_cbranch_execz .LBB16_9
; %bb.18:                               ;   in Loop: Header=BB16_10 Depth=1
	v_mov_b32_e32 v7, s11
	v_subrev_co_u32_e32 v5, vcc, s10, v5
	v_subb_co_u32_e32 v6, vcc, v6, v7, vcc
	v_mul_lo_u32 v8, v6, s8
	v_mul_lo_u32 v9, v5, s9
	v_mad_u64_u32 v[6:7], s[4:5], v5, s8, 0
	v_add3_u32 v7, v7, v9, v8
	v_or_b32_e32 v5, s46, v7
	v_cmp_ne_u64_e32 vcc, 0, v[4:5]
                                        ; implicit-def: $vgpr8_vgpr9
	s_and_saveexec_b64 s[4:5], vcc
	s_xor_b64 s[38:39], exec, s[4:5]
	s_cbranch_execz .LBB16_20
; %bb.19:                               ;   in Loop: Header=BB16_10 Depth=1
	s_ashr_i32 s40, s46, 31
	s_add_u32 s4, s33, s40
	s_mov_b32 s41, s40
	s_addc_u32 s5, s46, s40
	s_xor_b64 s[42:43], s[4:5], s[40:41]
	v_cvt_f32_u32_e32 v5, s42
	v_cvt_f32_u32_e32 v8, s43
	s_sub_u32 s41, 0, s42
	s_subb_u32 s44, 0, s43
	v_ashrrev_i32_e32 v9, 31, v7
	v_mac_f32_e32 v5, 0x4f800000, v8
	v_rcp_f32_e32 v5, v5
	v_mul_f32_e32 v5, 0x5f7ffffc, v5
	v_mul_f32_e32 v8, 0x2f800000, v5
	v_trunc_f32_e32 v8, v8
	v_mac_f32_e32 v5, 0xcf800000, v8
	v_cvt_u32_f32_e32 v8, v8
	v_cvt_u32_f32_e32 v5, v5
	v_readfirstlane_b32 s45, v8
	v_readfirstlane_b32 s4, v5
	s_mul_i32 s5, s41, s45
	s_mul_hi_u32 s49, s41, s4
	s_mul_i32 s48, s44, s4
	s_add_i32 s5, s49, s5
	s_add_i32 s5, s5, s48
	s_mul_i32 s50, s41, s4
	s_mul_i32 s49, s4, s5
	s_mul_hi_u32 s51, s4, s50
	s_mul_hi_u32 s48, s4, s5
	s_add_u32 s49, s51, s49
	s_addc_u32 s48, 0, s48
	s_mul_hi_u32 s52, s45, s50
	s_mul_i32 s50, s45, s50
	s_add_u32 s49, s49, s50
	s_mul_hi_u32 s51, s45, s5
	s_addc_u32 s48, s48, s52
	s_addc_u32 s49, s51, 0
	s_mul_i32 s5, s45, s5
	s_add_u32 s5, s48, s5
	s_addc_u32 s48, 0, s49
	s_add_u32 s49, s4, s5
	s_cselect_b64 s[4:5], -1, 0
	s_cmp_lg_u64 s[4:5], 0
	s_addc_u32 s45, s45, s48
	s_mul_i32 s4, s41, s45
	s_mul_hi_u32 s5, s41, s49
	s_add_i32 s4, s5, s4
	s_mul_i32 s44, s44, s49
	s_add_i32 s4, s4, s44
	s_mul_i32 s41, s41, s49
	s_mul_hi_u32 s44, s45, s41
	s_mul_i32 s48, s45, s41
	s_mul_i32 s51, s49, s4
	s_mul_hi_u32 s41, s49, s41
	s_mul_hi_u32 s50, s49, s4
	s_add_u32 s41, s41, s51
	s_addc_u32 s50, 0, s50
	s_add_u32 s41, s41, s48
	s_mul_hi_u32 s5, s45, s4
	s_addc_u32 s41, s50, s44
	s_addc_u32 s5, s5, 0
	s_mul_i32 s4, s45, s4
	s_add_u32 s4, s41, s4
	s_addc_u32 s41, 0, s5
	s_add_u32 s44, s49, s4
	s_cselect_b64 s[4:5], -1, 0
	s_cmp_lg_u64 s[4:5], 0
	v_add_co_u32_e32 v5, vcc, v6, v9
	s_addc_u32 s41, s45, s41
	v_xor_b32_e32 v10, v5, v9
	v_mad_u64_u32 v[5:6], s[4:5], v10, s41, 0
	v_mul_hi_u32 v8, v10, s44
	v_addc_co_u32_e32 v7, vcc, v7, v9, vcc
	v_xor_b32_e32 v11, v7, v9
	v_add_co_u32_e32 v16, vcc, v8, v5
	v_addc_co_u32_e32 v17, vcc, 0, v6, vcc
	v_mad_u64_u32 v[5:6], s[4:5], v11, s44, 0
	v_mad_u64_u32 v[7:8], s[4:5], v11, s41, 0
	v_add_co_u32_e32 v5, vcc, v16, v5
	v_addc_co_u32_e32 v5, vcc, v17, v6, vcc
	v_addc_co_u32_e32 v6, vcc, 0, v8, vcc
	v_add_co_u32_e32 v7, vcc, v5, v7
	v_addc_co_u32_e32 v5, vcc, 0, v6, vcc
	v_mul_lo_u32 v8, s43, v7
	v_mul_lo_u32 v16, s42, v5
	v_mad_u64_u32 v[5:6], s[4:5], s42, v7, 0
	v_add3_u32 v6, v6, v16, v8
	v_sub_u32_e32 v8, v11, v6
	v_mov_b32_e32 v16, s43
	v_sub_co_u32_e32 v5, vcc, v10, v5
	v_subb_co_u32_e64 v8, s[4:5], v8, v16, vcc
	v_subrev_co_u32_e64 v10, s[4:5], s42, v5
	v_subbrev_co_u32_e64 v8, s[4:5], 0, v8, s[4:5]
	v_cmp_le_u32_e64 s[4:5], s43, v8
	v_subb_co_u32_e32 v6, vcc, v11, v6, vcc
	v_cndmask_b32_e64 v16, 0, -1, s[4:5]
	v_cmp_le_u32_e64 s[4:5], s42, v10
	v_cmp_le_u32_e32 vcc, s43, v6
	v_cndmask_b32_e64 v10, 0, -1, s[4:5]
	v_cmp_eq_u32_e64 s[4:5], s43, v8
	v_cndmask_b32_e64 v11, 0, -1, vcc
	v_cmp_le_u32_e32 vcc, s42, v5
	v_cndmask_b32_e64 v8, v16, v10, s[4:5]
	v_cndmask_b32_e64 v5, 0, -1, vcc
	v_cmp_eq_u32_e32 vcc, s43, v6
	v_add_co_u32_e64 v10, s[4:5], 2, v7
	v_add_co_u32_e64 v16, s[4:5], 1, v7
	v_cndmask_b32_e32 v5, v11, v5, vcc
	v_cmp_ne_u32_e32 vcc, 0, v8
	v_cndmask_b32_e32 v6, v16, v10, vcc
	v_cmp_ne_u32_e32 vcc, 0, v5
	v_cndmask_b32_e32 v5, v7, v6, vcc
	v_xor_b32_e32 v6, s40, v9
	v_xor_b32_e32 v5, v5, v6
	v_sub_co_u32_e32 v8, vcc, v5, v6
                                        ; implicit-def: $vgpr6_vgpr7
.LBB16_20:                              ;   in Loop: Header=BB16_10 Depth=1
	s_andn2_saveexec_b64 s[4:5], s[38:39]
	s_cbranch_execz .LBB16_8
; %bb.21:                               ;   in Loop: Header=BB16_10 Depth=1
	v_cvt_f32_u32_e32 v5, s33
	s_sub_i32 s38, 0, s33
	v_rcp_iflag_f32_e32 v5, v5
	v_mul_f32_e32 v5, 0x4f7ffffe, v5
	v_cvt_u32_f32_e32 v5, v5
	v_mul_lo_u32 v7, s38, v5
	v_mul_hi_u32 v7, v5, v7
	v_add_u32_e32 v5, v5, v7
	v_mul_hi_u32 v5, v6, v5
	v_mul_lo_u32 v7, v5, s33
	v_add_u32_e32 v8, 1, v5
	v_sub_u32_e32 v6, v6, v7
	v_subrev_u32_e32 v7, s33, v6
	v_cmp_le_u32_e32 vcc, s33, v6
	v_cndmask_b32_e32 v6, v6, v7, vcc
	v_cndmask_b32_e32 v5, v5, v8, vcc
	v_add_u32_e32 v7, 1, v5
	v_cmp_le_u32_e32 vcc, s33, v6
	v_cndmask_b32_e32 v8, v5, v7, vcc
	s_branch .LBB16_8
.LBB16_22:
	s_or_b64 exec, exec, s[6:7]
; %bb.23:
	s_waitcnt lgkmcnt(0)
	s_barrier
	s_and_saveexec_b64 s[2:3], s[0:1]
	s_cbranch_execz .LBB16_26
; %bb.24:
	v_mad_u64_u32 v[2:3], s[0:1], s22, v0, 0
	v_and_b32_e32 v6, 0xffff, v14
	v_mov_b32_e32 v9, s17
	v_mad_u64_u32 v[3:4], s[0:1], s23, v0, v[3:4]
	v_mad_u64_u32 v[4:5], s[0:1], s22, v6, 0
	v_lshlrev_b64 v[2:3], 3, v[2:3]
	v_mad_u64_u32 v[7:8], s[0:1], s23, v6, v[5:6]
	v_add_co_u32_e32 v2, vcc, s16, v2
	v_mov_b32_e32 v5, v7
	v_lshlrev_b64 v[4:5], 3, v[4:5]
	v_addc_co_u32_e32 v3, vcc, v9, v3, vcc
	v_lshlrev_b32_e32 v7, 3, v13
	s_mov_b64 s[0:1], 0
.LBB16_25:                              ; =>This Inner Loop Header: Depth=1
	ds_read_b64 v[8:9], v12
	v_add_co_u32_e32 v0, vcc, v0, v6
	v_addc_co_u32_e32 v1, vcc, 0, v1, vcc
	s_waitcnt lgkmcnt(0)
	global_atomic_add_x2 v[2:3], v[8:9], off
	v_cmp_le_i64_e32 vcc, s[18:19], v[0:1]
	v_add_u32_e32 v12, v12, v7
	s_or_b64 s[0:1], vcc, s[0:1]
	v_add_co_u32_e32 v2, vcc, v2, v4
	v_addc_co_u32_e32 v3, vcc, v3, v5, vcc
	s_andn2_b64 exec, exec, s[0:1]
	s_cbranch_execnz .LBB16_25
.LBB16_26:
	s_endpgm
	.section	.rodata,"a",@progbits
	.p2align	6, 0x0
	.amdhsa_kernel _ZN2at4cuda17kernelHistogram1DIlalLi1ELi2ELin1ELNS0_23CUDAHistogramMemoryTypeE0EZNS0_21CUDA_tensor_histogramIlaLb0EEEbNS_6TensorES4_S4_lNS_14AccumulateTypeIT0_Lb1EE4typeES8_NS0_13TensorArgTypeES9_S9_EUllE_EEvNS0_6detail10TensorInfoIT_T1_EESF_NSC_IKS6_SE_EElS8_S8_SE_T6_
		.amdhsa_group_segment_fixed_size 0
		.amdhsa_private_segment_fixed_size 0
		.amdhsa_kernarg_size 1952
		.amdhsa_user_sgpr_count 6
		.amdhsa_user_sgpr_private_segment_buffer 1
		.amdhsa_user_sgpr_dispatch_ptr 0
		.amdhsa_user_sgpr_queue_ptr 0
		.amdhsa_user_sgpr_kernarg_segment_ptr 1
		.amdhsa_user_sgpr_dispatch_id 0
		.amdhsa_user_sgpr_flat_scratch_init 0
		.amdhsa_user_sgpr_private_segment_size 0
		.amdhsa_uses_dynamic_stack 0
		.amdhsa_system_sgpr_private_segment_wavefront_offset 0
		.amdhsa_system_sgpr_workgroup_id_x 1
		.amdhsa_system_sgpr_workgroup_id_y 0
		.amdhsa_system_sgpr_workgroup_id_z 0
		.amdhsa_system_sgpr_workgroup_info 0
		.amdhsa_system_vgpr_workitem_id 0
		.amdhsa_next_free_vgpr 24
		.amdhsa_next_free_sgpr 56
		.amdhsa_reserve_vcc 1
		.amdhsa_reserve_flat_scratch 0
		.amdhsa_float_round_mode_32 0
		.amdhsa_float_round_mode_16_64 0
		.amdhsa_float_denorm_mode_32 3
		.amdhsa_float_denorm_mode_16_64 3
		.amdhsa_dx10_clamp 1
		.amdhsa_ieee_mode 1
		.amdhsa_fp16_overflow 0
		.amdhsa_exception_fp_ieee_invalid_op 0
		.amdhsa_exception_fp_denorm_src 0
		.amdhsa_exception_fp_ieee_div_zero 0
		.amdhsa_exception_fp_ieee_overflow 0
		.amdhsa_exception_fp_ieee_underflow 0
		.amdhsa_exception_fp_ieee_inexact 0
		.amdhsa_exception_int_div_zero 0
	.end_amdhsa_kernel
	.section	.text._ZN2at4cuda17kernelHistogram1DIlalLi1ELi2ELin1ELNS0_23CUDAHistogramMemoryTypeE0EZNS0_21CUDA_tensor_histogramIlaLb0EEEbNS_6TensorES4_S4_lNS_14AccumulateTypeIT0_Lb1EE4typeES8_NS0_13TensorArgTypeES9_S9_EUllE_EEvNS0_6detail10TensorInfoIT_T1_EESF_NSC_IKS6_SE_EElS8_S8_SE_T6_,"axG",@progbits,_ZN2at4cuda17kernelHistogram1DIlalLi1ELi2ELin1ELNS0_23CUDAHistogramMemoryTypeE0EZNS0_21CUDA_tensor_histogramIlaLb0EEEbNS_6TensorES4_S4_lNS_14AccumulateTypeIT0_Lb1EE4typeES8_NS0_13TensorArgTypeES9_S9_EUllE_EEvNS0_6detail10TensorInfoIT_T1_EESF_NSC_IKS6_SE_EElS8_S8_SE_T6_,comdat
.Lfunc_end16:
	.size	_ZN2at4cuda17kernelHistogram1DIlalLi1ELi2ELin1ELNS0_23CUDAHistogramMemoryTypeE0EZNS0_21CUDA_tensor_histogramIlaLb0EEEbNS_6TensorES4_S4_lNS_14AccumulateTypeIT0_Lb1EE4typeES8_NS0_13TensorArgTypeES9_S9_EUllE_EEvNS0_6detail10TensorInfoIT_T1_EESF_NSC_IKS6_SE_EElS8_S8_SE_T6_, .Lfunc_end16-_ZN2at4cuda17kernelHistogram1DIlalLi1ELi2ELin1ELNS0_23CUDAHistogramMemoryTypeE0EZNS0_21CUDA_tensor_histogramIlaLb0EEEbNS_6TensorES4_S4_lNS_14AccumulateTypeIT0_Lb1EE4typeES8_NS0_13TensorArgTypeES9_S9_EUllE_EEvNS0_6detail10TensorInfoIT_T1_EESF_NSC_IKS6_SE_EElS8_S8_SE_T6_
                                        ; -- End function
	.set _ZN2at4cuda17kernelHistogram1DIlalLi1ELi2ELin1ELNS0_23CUDAHistogramMemoryTypeE0EZNS0_21CUDA_tensor_histogramIlaLb0EEEbNS_6TensorES4_S4_lNS_14AccumulateTypeIT0_Lb1EE4typeES8_NS0_13TensorArgTypeES9_S9_EUllE_EEvNS0_6detail10TensorInfoIT_T1_EESF_NSC_IKS6_SE_EElS8_S8_SE_T6_.num_vgpr, 24
	.set _ZN2at4cuda17kernelHistogram1DIlalLi1ELi2ELin1ELNS0_23CUDAHistogramMemoryTypeE0EZNS0_21CUDA_tensor_histogramIlaLb0EEEbNS_6TensorES4_S4_lNS_14AccumulateTypeIT0_Lb1EE4typeES8_NS0_13TensorArgTypeES9_S9_EUllE_EEvNS0_6detail10TensorInfoIT_T1_EESF_NSC_IKS6_SE_EElS8_S8_SE_T6_.num_agpr, 0
	.set _ZN2at4cuda17kernelHistogram1DIlalLi1ELi2ELin1ELNS0_23CUDAHistogramMemoryTypeE0EZNS0_21CUDA_tensor_histogramIlaLb0EEEbNS_6TensorES4_S4_lNS_14AccumulateTypeIT0_Lb1EE4typeES8_NS0_13TensorArgTypeES9_S9_EUllE_EEvNS0_6detail10TensorInfoIT_T1_EESF_NSC_IKS6_SE_EElS8_S8_SE_T6_.numbered_sgpr, 56
	.set _ZN2at4cuda17kernelHistogram1DIlalLi1ELi2ELin1ELNS0_23CUDAHistogramMemoryTypeE0EZNS0_21CUDA_tensor_histogramIlaLb0EEEbNS_6TensorES4_S4_lNS_14AccumulateTypeIT0_Lb1EE4typeES8_NS0_13TensorArgTypeES9_S9_EUllE_EEvNS0_6detail10TensorInfoIT_T1_EESF_NSC_IKS6_SE_EElS8_S8_SE_T6_.num_named_barrier, 0
	.set _ZN2at4cuda17kernelHistogram1DIlalLi1ELi2ELin1ELNS0_23CUDAHistogramMemoryTypeE0EZNS0_21CUDA_tensor_histogramIlaLb0EEEbNS_6TensorES4_S4_lNS_14AccumulateTypeIT0_Lb1EE4typeES8_NS0_13TensorArgTypeES9_S9_EUllE_EEvNS0_6detail10TensorInfoIT_T1_EESF_NSC_IKS6_SE_EElS8_S8_SE_T6_.private_seg_size, 0
	.set _ZN2at4cuda17kernelHistogram1DIlalLi1ELi2ELin1ELNS0_23CUDAHistogramMemoryTypeE0EZNS0_21CUDA_tensor_histogramIlaLb0EEEbNS_6TensorES4_S4_lNS_14AccumulateTypeIT0_Lb1EE4typeES8_NS0_13TensorArgTypeES9_S9_EUllE_EEvNS0_6detail10TensorInfoIT_T1_EESF_NSC_IKS6_SE_EElS8_S8_SE_T6_.uses_vcc, 1
	.set _ZN2at4cuda17kernelHistogram1DIlalLi1ELi2ELin1ELNS0_23CUDAHistogramMemoryTypeE0EZNS0_21CUDA_tensor_histogramIlaLb0EEEbNS_6TensorES4_S4_lNS_14AccumulateTypeIT0_Lb1EE4typeES8_NS0_13TensorArgTypeES9_S9_EUllE_EEvNS0_6detail10TensorInfoIT_T1_EESF_NSC_IKS6_SE_EElS8_S8_SE_T6_.uses_flat_scratch, 0
	.set _ZN2at4cuda17kernelHistogram1DIlalLi1ELi2ELin1ELNS0_23CUDAHistogramMemoryTypeE0EZNS0_21CUDA_tensor_histogramIlaLb0EEEbNS_6TensorES4_S4_lNS_14AccumulateTypeIT0_Lb1EE4typeES8_NS0_13TensorArgTypeES9_S9_EUllE_EEvNS0_6detail10TensorInfoIT_T1_EESF_NSC_IKS6_SE_EElS8_S8_SE_T6_.has_dyn_sized_stack, 0
	.set _ZN2at4cuda17kernelHistogram1DIlalLi1ELi2ELin1ELNS0_23CUDAHistogramMemoryTypeE0EZNS0_21CUDA_tensor_histogramIlaLb0EEEbNS_6TensorES4_S4_lNS_14AccumulateTypeIT0_Lb1EE4typeES8_NS0_13TensorArgTypeES9_S9_EUllE_EEvNS0_6detail10TensorInfoIT_T1_EESF_NSC_IKS6_SE_EElS8_S8_SE_T6_.has_recursion, 0
	.set _ZN2at4cuda17kernelHistogram1DIlalLi1ELi2ELin1ELNS0_23CUDAHistogramMemoryTypeE0EZNS0_21CUDA_tensor_histogramIlaLb0EEEbNS_6TensorES4_S4_lNS_14AccumulateTypeIT0_Lb1EE4typeES8_NS0_13TensorArgTypeES9_S9_EUllE_EEvNS0_6detail10TensorInfoIT_T1_EESF_NSC_IKS6_SE_EElS8_S8_SE_T6_.has_indirect_call, 0
	.section	.AMDGPU.csdata,"",@progbits
; Kernel info:
; codeLenInByte = 2416
; TotalNumSgprs: 60
; NumVgprs: 24
; ScratchSize: 0
; MemoryBound: 0
; FloatMode: 240
; IeeeMode: 1
; LDSByteSize: 0 bytes/workgroup (compile time only)
; SGPRBlocks: 7
; VGPRBlocks: 5
; NumSGPRsForWavesPerEU: 60
; NumVGPRsForWavesPerEU: 24
; Occupancy: 10
; WaveLimiterHint : 1
; COMPUTE_PGM_RSRC2:SCRATCH_EN: 0
; COMPUTE_PGM_RSRC2:USER_SGPR: 6
; COMPUTE_PGM_RSRC2:TRAP_HANDLER: 0
; COMPUTE_PGM_RSRC2:TGID_X_EN: 1
; COMPUTE_PGM_RSRC2:TGID_Y_EN: 0
; COMPUTE_PGM_RSRC2:TGID_Z_EN: 0
; COMPUTE_PGM_RSRC2:TIDIG_COMP_CNT: 0
	.section	.text._ZN2at4cuda17kernelHistogram1DIlalLi1ELi2ELin1ELNS0_23CUDAHistogramMemoryTypeE1EZNS0_21CUDA_tensor_histogramIlaLb0EEEbNS_6TensorES4_S4_lNS_14AccumulateTypeIT0_Lb1EE4typeES8_NS0_13TensorArgTypeES9_S9_EUllE_EEvNS0_6detail10TensorInfoIT_T1_EESF_NSC_IKS6_SE_EElS8_S8_SE_T6_,"axG",@progbits,_ZN2at4cuda17kernelHistogram1DIlalLi1ELi2ELin1ELNS0_23CUDAHistogramMemoryTypeE1EZNS0_21CUDA_tensor_histogramIlaLb0EEEbNS_6TensorES4_S4_lNS_14AccumulateTypeIT0_Lb1EE4typeES8_NS0_13TensorArgTypeES9_S9_EUllE_EEvNS0_6detail10TensorInfoIT_T1_EESF_NSC_IKS6_SE_EElS8_S8_SE_T6_,comdat
	.protected	_ZN2at4cuda17kernelHistogram1DIlalLi1ELi2ELin1ELNS0_23CUDAHistogramMemoryTypeE1EZNS0_21CUDA_tensor_histogramIlaLb0EEEbNS_6TensorES4_S4_lNS_14AccumulateTypeIT0_Lb1EE4typeES8_NS0_13TensorArgTypeES9_S9_EUllE_EEvNS0_6detail10TensorInfoIT_T1_EESF_NSC_IKS6_SE_EElS8_S8_SE_T6_ ; -- Begin function _ZN2at4cuda17kernelHistogram1DIlalLi1ELi2ELin1ELNS0_23CUDAHistogramMemoryTypeE1EZNS0_21CUDA_tensor_histogramIlaLb0EEEbNS_6TensorES4_S4_lNS_14AccumulateTypeIT0_Lb1EE4typeES8_NS0_13TensorArgTypeES9_S9_EUllE_EEvNS0_6detail10TensorInfoIT_T1_EESF_NSC_IKS6_SE_EElS8_S8_SE_T6_
	.globl	_ZN2at4cuda17kernelHistogram1DIlalLi1ELi2ELin1ELNS0_23CUDAHistogramMemoryTypeE1EZNS0_21CUDA_tensor_histogramIlaLb0EEEbNS_6TensorES4_S4_lNS_14AccumulateTypeIT0_Lb1EE4typeES8_NS0_13TensorArgTypeES9_S9_EUllE_EEvNS0_6detail10TensorInfoIT_T1_EESF_NSC_IKS6_SE_EElS8_S8_SE_T6_
	.p2align	8
	.type	_ZN2at4cuda17kernelHistogram1DIlalLi1ELi2ELin1ELNS0_23CUDAHistogramMemoryTypeE1EZNS0_21CUDA_tensor_histogramIlaLb0EEEbNS_6TensorES4_S4_lNS_14AccumulateTypeIT0_Lb1EE4typeES8_NS0_13TensorArgTypeES9_S9_EUllE_EEvNS0_6detail10TensorInfoIT_T1_EESF_NSC_IKS6_SE_EElS8_S8_SE_T6_,@function
_ZN2at4cuda17kernelHistogram1DIlalLi1ELi2ELin1ELNS0_23CUDAHistogramMemoryTypeE1EZNS0_21CUDA_tensor_histogramIlaLb0EEEbNS_6TensorES4_S4_lNS_14AccumulateTypeIT0_Lb1EE4typeES8_NS0_13TensorArgTypeES9_S9_EUllE_EEvNS0_6detail10TensorInfoIT_T1_EESF_NSC_IKS6_SE_EElS8_S8_SE_T6_: ; @_ZN2at4cuda17kernelHistogram1DIlalLi1ELi2ELin1ELNS0_23CUDAHistogramMemoryTypeE1EZNS0_21CUDA_tensor_histogramIlaLb0EEEbNS_6TensorES4_S4_lNS_14AccumulateTypeIT0_Lb1EE4typeES8_NS0_13TensorArgTypeES9_S9_EUllE_EEvNS0_6detail10TensorInfoIT_T1_EESF_NSC_IKS6_SE_EElS8_S8_SE_T6_
; %bb.0:
	s_load_dword s2, s[4:5], 0x6ac
	s_load_dwordx8 s[8:15], s[4:5], 0x4e0
	s_add_u32 s0, s4, 0x6a0
	s_addc_u32 s1, s5, 0
	v_mov_b32_e32 v2, 0
	s_waitcnt lgkmcnt(0)
	s_and_b32 s2, s2, 0xffff
	s_mul_i32 s6, s6, s2
	v_add_u32_e32 v0, s6, v0
	v_mov_b32_e32 v1, v2
	v_cmp_gt_i64_e32 vcc, s[14:15], v[0:1]
	s_and_saveexec_b64 s[6:7], vcc
	s_cbranch_execz .LBB17_16
; %bb.1:
	s_load_dwordx2 s[6:7], s[4:5], 0x5d0
	s_load_dword s26, s[4:5], 0x4d8
	s_load_dwordx2 s[16:17], s[4:5], 0x500
	s_load_dword s3, s[0:1], 0x0
	s_add_u32 s27, s4, 0x340
	s_addc_u32 s28, s5, 0
	s_waitcnt lgkmcnt(0)
	s_cmp_gt_i32 s26, 1
	s_cselect_b64 s[0:1], -1, 0
	s_load_dwordx2 s[18:19], s[4:5], 0x0
	s_load_dwordx2 s[20:21], s[4:5], 0xd0
	;; [unrolled: 1-line block ×4, first 2 shown]
	s_sub_u32 s33, s12, s10
	s_subb_u32 s40, s13, s11
	s_mul_i32 s41, s3, s2
	s_mov_b32 s3, 0
	s_add_i32 s2, s26, -1
	s_add_i32 s42, s26, 1
	s_lshl_b64 s[2:3], s[2:3], 3
	s_add_u32 s2, s27, s2
	s_addc_u32 s3, s28, s3
	s_add_u32 s4, s2, 8
	v_cndmask_b32_e64 v3, 0, 1, s[0:1]
	s_addc_u32 s5, s3, 0
	s_mov_b64 s[26:27], 0
	v_cmp_ne_u32_e64 s[0:1], 1, v3
	s_branch .LBB17_4
.LBB17_2:                               ;   in Loop: Header=BB17_4 Depth=1
	s_or_b64 exec, exec, s[2:3]
	v_mul_lo_u32 v5, v1, s6
	v_mul_lo_u32 v7, v0, s7
	v_mad_u64_u32 v[3:4], s[2:3], v0, s6, 0
	v_add3_u32 v4, v4, v7, v5
	v_lshlrev_b64 v[3:4], 3, v[3:4]
	v_mov_b32_e32 v5, s17
	v_add_co_u32_e32 v3, vcc, s16, v3
	v_addc_co_u32_e32 v4, vcc, v5, v4, vcc
	global_load_dwordx2 v[3:4], v[3:4], off
	v_ashrrev_i32_e32 v7, 31, v6
	v_cmp_eq_u64_e32 vcc, s[8:9], v[6:7]
	v_cndmask_b32_e64 v5, 0, 1, vcc
	v_sub_co_u32_e32 v5, vcc, v6, v5
	v_subbrev_co_u32_e32 v6, vcc, 0, v7, vcc
	v_mul_lo_u32 v7, v6, s20
	v_mul_lo_u32 v8, v5, s21
	v_mad_u64_u32 v[5:6], s[2:3], v5, s20, 0
	v_add3_u32 v6, v6, v8, v7
	v_lshlrev_b64 v[5:6], 3, v[5:6]
	v_mov_b32_e32 v7, s19
	v_add_co_u32_e32 v5, vcc, s18, v5
	v_addc_co_u32_e32 v6, vcc, v7, v6, vcc
	s_waitcnt vmcnt(0)
	global_atomic_add_x2 v[5:6], v[3:4], off
.LBB17_3:                               ;   in Loop: Header=BB17_4 Depth=1
	s_or_b64 exec, exec, s[28:29]
	v_add_co_u32_e32 v0, vcc, s41, v0
	v_addc_co_u32_e32 v1, vcc, 0, v1, vcc
	v_cmp_le_i64_e32 vcc, s[14:15], v[0:1]
	s_or_b64 s[26:27], vcc, s[26:27]
	s_andn2_b64 exec, exec, s[26:27]
	s_cbranch_execz .LBB17_16
.LBB17_4:                               ; =>This Loop Header: Depth=1
                                        ;     Child Loop BB17_5 Depth 2
	v_mov_b32_e32 v4, 0
	v_mov_b32_e32 v7, v1
	;; [unrolled: 1-line block ×4, first 2 shown]
	s_and_b64 vcc, exec, s[0:1]
	s_mov_b64 s[28:29], s[4:5]
	s_mov_b32 s43, s42
	v_mov_b32_e32 v6, v0
	v_mov_b32_e32 v8, v0
	s_cbranch_vccnz .LBB17_11
.LBB17_5:                               ;   Parent Loop BB17_4 Depth=1
                                        ; =>  This Inner Loop Header: Depth=2
	s_load_dwordx2 s[30:31], s[28:29], 0x0
                                        ; implicit-def: $vgpr8_vgpr9
	s_waitcnt lgkmcnt(0)
	v_or_b32_e32 v3, s31, v7
	v_cmp_ne_u64_e32 vcc, 0, v[2:3]
	s_and_saveexec_b64 s[2:3], vcc
	s_xor_b64 s[34:35], exec, s[2:3]
	s_cbranch_execz .LBB17_7
; %bb.6:                                ;   in Loop: Header=BB17_5 Depth=2
	s_ashr_i32 s36, s31, 31
	s_add_u32 s2, s30, s36
	s_mov_b32 s37, s36
	s_addc_u32 s3, s31, s36
	s_xor_b64 s[38:39], s[2:3], s[36:37]
	v_cvt_f32_u32_e32 v3, s38
	v_cvt_f32_u32_e32 v8, s39
	s_sub_u32 s37, 0, s38
	s_subb_u32 s44, 0, s39
	v_mac_f32_e32 v3, 0x4f800000, v8
	v_rcp_f32_e32 v3, v3
	v_mul_f32_e32 v3, 0x5f7ffffc, v3
	v_mul_f32_e32 v8, 0x2f800000, v3
	v_trunc_f32_e32 v8, v8
	v_mac_f32_e32 v3, 0xcf800000, v8
	v_cvt_u32_f32_e32 v8, v8
	v_cvt_u32_f32_e32 v3, v3
	v_readfirstlane_b32 s45, v8
	v_readfirstlane_b32 s2, v3
	s_mul_i32 s3, s37, s45
	s_mul_hi_u32 s47, s37, s2
	s_mul_i32 s46, s44, s2
	s_add_i32 s3, s47, s3
	s_add_i32 s3, s3, s46
	s_mul_i32 s48, s37, s2
	s_mul_i32 s47, s2, s3
	s_mul_hi_u32 s49, s2, s48
	s_mul_hi_u32 s46, s2, s3
	s_add_u32 s47, s49, s47
	s_addc_u32 s46, 0, s46
	s_mul_hi_u32 s50, s45, s48
	s_mul_i32 s48, s45, s48
	s_add_u32 s47, s47, s48
	s_mul_hi_u32 s49, s45, s3
	s_addc_u32 s46, s46, s50
	s_addc_u32 s47, s49, 0
	s_mul_i32 s3, s45, s3
	s_add_u32 s3, s46, s3
	s_addc_u32 s46, 0, s47
	s_add_u32 s47, s2, s3
	s_cselect_b64 s[2:3], -1, 0
	s_cmp_lg_u64 s[2:3], 0
	s_addc_u32 s45, s45, s46
	s_mul_i32 s2, s37, s45
	s_mul_hi_u32 s3, s37, s47
	s_add_i32 s2, s3, s2
	s_mul_i32 s44, s44, s47
	s_add_i32 s2, s2, s44
	s_mul_i32 s37, s37, s47
	s_mul_hi_u32 s44, s45, s37
	s_mul_i32 s46, s45, s37
	s_mul_i32 s49, s47, s2
	s_mul_hi_u32 s37, s47, s37
	s_mul_hi_u32 s48, s47, s2
	s_add_u32 s37, s37, s49
	s_addc_u32 s48, 0, s48
	s_add_u32 s37, s37, s46
	s_mul_hi_u32 s3, s45, s2
	s_addc_u32 s37, s48, s44
	s_addc_u32 s3, s3, 0
	s_mul_i32 s2, s45, s2
	s_add_u32 s2, s37, s2
	s_addc_u32 s37, 0, s3
	s_add_u32 s44, s47, s2
	s_cselect_b64 s[2:3], -1, 0
	v_ashrrev_i32_e32 v3, 31, v7
	s_cmp_lg_u64 s[2:3], 0
	v_add_co_u32_e32 v8, vcc, v6, v3
	s_addc_u32 s37, s45, s37
	v_xor_b32_e32 v12, v8, v3
	v_mad_u64_u32 v[8:9], s[2:3], v12, s37, 0
	v_mul_hi_u32 v11, v12, s44
	v_addc_co_u32_e32 v10, vcc, v7, v3, vcc
	v_xor_b32_e32 v13, v10, v3
	v_add_co_u32_e32 v14, vcc, v11, v8
	v_addc_co_u32_e32 v15, vcc, 0, v9, vcc
	v_mad_u64_u32 v[8:9], s[2:3], v13, s44, 0
	v_mad_u64_u32 v[10:11], s[2:3], v13, s37, 0
	v_add_co_u32_e32 v8, vcc, v14, v8
	v_addc_co_u32_e32 v8, vcc, v15, v9, vcc
	v_addc_co_u32_e32 v9, vcc, 0, v11, vcc
	v_add_co_u32_e32 v10, vcc, v8, v10
	v_addc_co_u32_e32 v11, vcc, 0, v9, vcc
	v_mul_lo_u32 v14, s39, v10
	v_mul_lo_u32 v15, s38, v11
	v_mad_u64_u32 v[8:9], s[2:3], s38, v10, 0
	v_xor_b32_e32 v3, s36, v3
	v_add3_u32 v9, v9, v15, v14
	v_sub_u32_e32 v14, v13, v9
	v_mov_b32_e32 v15, s39
	v_sub_co_u32_e32 v8, vcc, v12, v8
	v_subb_co_u32_e64 v12, s[2:3], v14, v15, vcc
	v_subrev_co_u32_e64 v14, s[2:3], s38, v8
	v_subbrev_co_u32_e64 v12, s[2:3], 0, v12, s[2:3]
	v_cmp_le_u32_e64 s[2:3], s39, v12
	v_cndmask_b32_e64 v15, 0, -1, s[2:3]
	v_cmp_le_u32_e64 s[2:3], s38, v14
	v_cndmask_b32_e64 v14, 0, -1, s[2:3]
	v_cmp_eq_u32_e64 s[2:3], s39, v12
	v_cndmask_b32_e64 v12, v15, v14, s[2:3]
	v_add_co_u32_e64 v14, s[2:3], 2, v10
	v_subb_co_u32_e32 v9, vcc, v13, v9, vcc
	v_addc_co_u32_e64 v15, s[2:3], 0, v11, s[2:3]
	v_cmp_le_u32_e32 vcc, s39, v9
	v_add_co_u32_e64 v16, s[2:3], 1, v10
	v_cndmask_b32_e64 v13, 0, -1, vcc
	v_cmp_le_u32_e32 vcc, s38, v8
	v_addc_co_u32_e64 v17, s[2:3], 0, v11, s[2:3]
	v_cndmask_b32_e64 v8, 0, -1, vcc
	v_cmp_eq_u32_e32 vcc, s39, v9
	v_cmp_ne_u32_e64 s[2:3], 0, v12
	v_cndmask_b32_e32 v8, v13, v8, vcc
	v_cndmask_b32_e64 v12, v17, v15, s[2:3]
	v_cmp_ne_u32_e32 vcc, 0, v8
	v_cndmask_b32_e64 v9, v16, v14, s[2:3]
	v_cndmask_b32_e32 v8, v11, v12, vcc
	v_cndmask_b32_e32 v9, v10, v9, vcc
	v_xor_b32_e32 v10, v8, v3
	v_xor_b32_e32 v8, v9, v3
	v_sub_co_u32_e32 v8, vcc, v8, v3
	v_subb_co_u32_e32 v9, vcc, v10, v3, vcc
.LBB17_7:                               ;   in Loop: Header=BB17_5 Depth=2
	s_andn2_saveexec_b64 s[2:3], s[34:35]
	s_cbranch_execz .LBB17_9
; %bb.8:                                ;   in Loop: Header=BB17_5 Depth=2
	v_cvt_f32_u32_e32 v3, s30
	s_sub_i32 s34, 0, s30
	v_rcp_iflag_f32_e32 v3, v3
	v_mul_f32_e32 v3, 0x4f7ffffe, v3
	v_cvt_u32_f32_e32 v3, v3
	v_mul_lo_u32 v8, s34, v3
	v_mul_hi_u32 v8, v3, v8
	v_add_u32_e32 v3, v3, v8
	v_mul_hi_u32 v3, v6, v3
	v_mul_lo_u32 v8, v3, s30
	v_add_u32_e32 v9, 1, v3
	v_sub_u32_e32 v8, v6, v8
	v_subrev_u32_e32 v10, s30, v8
	v_cmp_le_u32_e32 vcc, s30, v8
	v_cndmask_b32_e32 v8, v8, v10, vcc
	v_cndmask_b32_e32 v3, v3, v9, vcc
	v_add_u32_e32 v9, 1, v3
	v_cmp_le_u32_e32 vcc, s30, v8
	v_cndmask_b32_e32 v8, v3, v9, vcc
	v_mov_b32_e32 v9, v2
.LBB17_9:                               ;   in Loop: Header=BB17_5 Depth=2
	s_or_b64 exec, exec, s[2:3]
	v_mul_lo_u32 v3, v9, s30
	v_mul_lo_u32 v12, v8, s31
	v_mad_u64_u32 v[10:11], s[2:3], v8, s30, 0
	s_load_dwordx2 s[2:3], s[28:29], 0xc8
	s_add_i32 s43, s43, -1
	v_add3_u32 v3, v11, v12, v3
	v_sub_co_u32_e32 v6, vcc, v6, v10
	v_subb_co_u32_e32 v3, vcc, v7, v3, vcc
	s_waitcnt lgkmcnt(0)
	v_mul_lo_u32 v3, s2, v3
	v_mul_lo_u32 v7, s3, v6
	v_mad_u64_u32 v[4:5], s[2:3], s2, v6, v[4:5]
	s_add_u32 s28, s28, -8
	s_addc_u32 s29, s29, -1
	s_cmp_gt_u32 s43, 2
	v_add3_u32 v5, v7, v5, v3
	s_cbranch_scc0 .LBB17_11
; %bb.10:                               ;   in Loop: Header=BB17_5 Depth=2
	v_mov_b32_e32 v6, v8
	v_mov_b32_e32 v7, v9
	s_branch .LBB17_5
.LBB17_11:                              ;   in Loop: Header=BB17_4 Depth=1
	s_waitcnt lgkmcnt(0)
	v_mov_b32_e32 v6, s24
	v_mov_b32_e32 v7, s25
	v_mul_lo_u32 v3, s22, v9
	v_mul_lo_u32 v9, s23, v8
	v_mad_u64_u32 v[6:7], s[2:3], s22, v8, v[6:7]
	v_add3_u32 v7, v9, v7, v3
	v_add_co_u32_e32 v3, vcc, v6, v4
	v_addc_co_u32_e32 v4, vcc, v7, v5, vcc
	global_load_sbyte v3, v[3:4], off
	s_waitcnt vmcnt(0)
	v_bfe_i32 v3, v3, 0, 16
	v_ashrrev_i32_e32 v4, 31, v3
	v_cmp_le_i64_e32 vcc, s[10:11], v[3:4]
	v_cmp_ge_i64_e64 s[2:3], s[12:13], v[3:4]
	s_and_b64 s[2:3], vcc, s[2:3]
	s_and_saveexec_b64 s[28:29], s[2:3]
	s_cbranch_execz .LBB17_3
; %bb.12:                               ;   in Loop: Header=BB17_4 Depth=1
	v_mov_b32_e32 v5, s11
	v_subrev_co_u32_e32 v3, vcc, s10, v3
	v_subb_co_u32_e32 v4, vcc, v4, v5, vcc
	v_mul_lo_u32 v6, v4, s8
	v_mul_lo_u32 v7, v3, s9
	v_mad_u64_u32 v[4:5], s[2:3], v3, s8, 0
	v_add3_u32 v5, v5, v7, v6
	v_or_b32_e32 v3, s40, v5
	v_cmp_ne_u64_e32 vcc, 0, v[2:3]
                                        ; implicit-def: $vgpr6_vgpr7
	s_and_saveexec_b64 s[2:3], vcc
	s_xor_b64 s[30:31], exec, s[2:3]
	s_cbranch_execz .LBB17_14
; %bb.13:                               ;   in Loop: Header=BB17_4 Depth=1
	s_ashr_i32 s34, s40, 31
	s_add_u32 s2, s33, s34
	s_mov_b32 s35, s34
	s_addc_u32 s3, s40, s34
	s_xor_b64 s[36:37], s[2:3], s[34:35]
	v_cvt_f32_u32_e32 v3, s36
	v_cvt_f32_u32_e32 v6, s37
	s_sub_u32 s35, 0, s36
	s_subb_u32 s38, 0, s37
	v_ashrrev_i32_e32 v7, 31, v5
	v_mac_f32_e32 v3, 0x4f800000, v6
	v_rcp_f32_e32 v3, v3
	v_mul_f32_e32 v3, 0x5f7ffffc, v3
	v_mul_f32_e32 v6, 0x2f800000, v3
	v_trunc_f32_e32 v6, v6
	v_mac_f32_e32 v3, 0xcf800000, v6
	v_cvt_u32_f32_e32 v6, v6
	v_cvt_u32_f32_e32 v3, v3
	v_readfirstlane_b32 s39, v6
	v_readfirstlane_b32 s2, v3
	s_mul_i32 s3, s35, s39
	s_mul_hi_u32 s44, s35, s2
	s_mul_i32 s43, s38, s2
	s_add_i32 s3, s44, s3
	s_add_i32 s3, s3, s43
	s_mul_i32 s45, s35, s2
	s_mul_i32 s44, s2, s3
	s_mul_hi_u32 s46, s2, s45
	s_mul_hi_u32 s43, s2, s3
	s_add_u32 s44, s46, s44
	s_addc_u32 s43, 0, s43
	s_mul_hi_u32 s47, s39, s45
	s_mul_i32 s45, s39, s45
	s_add_u32 s44, s44, s45
	s_mul_hi_u32 s46, s39, s3
	s_addc_u32 s43, s43, s47
	s_addc_u32 s44, s46, 0
	s_mul_i32 s3, s39, s3
	s_add_u32 s3, s43, s3
	s_addc_u32 s43, 0, s44
	s_add_u32 s44, s2, s3
	s_cselect_b64 s[2:3], -1, 0
	s_cmp_lg_u64 s[2:3], 0
	s_addc_u32 s39, s39, s43
	s_mul_i32 s2, s35, s39
	s_mul_hi_u32 s3, s35, s44
	s_add_i32 s2, s3, s2
	s_mul_i32 s38, s38, s44
	s_add_i32 s2, s2, s38
	s_mul_i32 s35, s35, s44
	s_mul_hi_u32 s38, s39, s35
	s_mul_i32 s43, s39, s35
	s_mul_i32 s46, s44, s2
	s_mul_hi_u32 s35, s44, s35
	s_mul_hi_u32 s45, s44, s2
	s_add_u32 s35, s35, s46
	s_addc_u32 s45, 0, s45
	s_add_u32 s35, s35, s43
	s_mul_hi_u32 s3, s39, s2
	s_addc_u32 s35, s45, s38
	s_addc_u32 s3, s3, 0
	s_mul_i32 s2, s39, s2
	s_add_u32 s2, s35, s2
	s_addc_u32 s35, 0, s3
	s_add_u32 s38, s44, s2
	s_cselect_b64 s[2:3], -1, 0
	s_cmp_lg_u64 s[2:3], 0
	v_add_co_u32_e32 v3, vcc, v4, v7
	s_addc_u32 s35, s39, s35
	v_xor_b32_e32 v8, v3, v7
	v_mad_u64_u32 v[3:4], s[2:3], v8, s35, 0
	v_mul_hi_u32 v6, v8, s38
	v_addc_co_u32_e32 v5, vcc, v5, v7, vcc
	v_xor_b32_e32 v9, v5, v7
	v_add_co_u32_e32 v10, vcc, v6, v3
	v_addc_co_u32_e32 v11, vcc, 0, v4, vcc
	v_mad_u64_u32 v[3:4], s[2:3], v9, s38, 0
	v_mad_u64_u32 v[5:6], s[2:3], v9, s35, 0
	v_add_co_u32_e32 v3, vcc, v10, v3
	v_addc_co_u32_e32 v3, vcc, v11, v4, vcc
	v_addc_co_u32_e32 v4, vcc, 0, v6, vcc
	v_add_co_u32_e32 v5, vcc, v3, v5
	v_addc_co_u32_e32 v3, vcc, 0, v4, vcc
	v_mul_lo_u32 v6, s37, v5
	v_mul_lo_u32 v10, s36, v3
	v_mad_u64_u32 v[3:4], s[2:3], s36, v5, 0
	v_add3_u32 v4, v4, v10, v6
	v_sub_u32_e32 v6, v9, v4
	v_mov_b32_e32 v10, s37
	v_sub_co_u32_e32 v3, vcc, v8, v3
	v_subb_co_u32_e64 v6, s[2:3], v6, v10, vcc
	v_subrev_co_u32_e64 v8, s[2:3], s36, v3
	v_subbrev_co_u32_e64 v6, s[2:3], 0, v6, s[2:3]
	v_cmp_le_u32_e64 s[2:3], s37, v6
	v_subb_co_u32_e32 v4, vcc, v9, v4, vcc
	v_cndmask_b32_e64 v10, 0, -1, s[2:3]
	v_cmp_le_u32_e64 s[2:3], s36, v8
	v_cmp_le_u32_e32 vcc, s37, v4
	v_cndmask_b32_e64 v8, 0, -1, s[2:3]
	v_cmp_eq_u32_e64 s[2:3], s37, v6
	v_cndmask_b32_e64 v9, 0, -1, vcc
	v_cmp_le_u32_e32 vcc, s36, v3
	v_cndmask_b32_e64 v6, v10, v8, s[2:3]
	v_cndmask_b32_e64 v3, 0, -1, vcc
	v_cmp_eq_u32_e32 vcc, s37, v4
	v_add_co_u32_e64 v8, s[2:3], 2, v5
	v_add_co_u32_e64 v10, s[2:3], 1, v5
	v_cndmask_b32_e32 v3, v9, v3, vcc
	v_cmp_ne_u32_e32 vcc, 0, v6
	v_cndmask_b32_e32 v4, v10, v8, vcc
	v_cmp_ne_u32_e32 vcc, 0, v3
	v_cndmask_b32_e32 v3, v5, v4, vcc
	v_xor_b32_e32 v4, s34, v7
	v_xor_b32_e32 v3, v3, v4
	v_sub_co_u32_e32 v6, vcc, v3, v4
                                        ; implicit-def: $vgpr4_vgpr5
.LBB17_14:                              ;   in Loop: Header=BB17_4 Depth=1
	s_andn2_saveexec_b64 s[2:3], s[30:31]
	s_cbranch_execz .LBB17_2
; %bb.15:                               ;   in Loop: Header=BB17_4 Depth=1
	v_cvt_f32_u32_e32 v3, s33
	s_sub_i32 s30, 0, s33
	v_rcp_iflag_f32_e32 v3, v3
	v_mul_f32_e32 v3, 0x4f7ffffe, v3
	v_cvt_u32_f32_e32 v3, v3
	v_mul_lo_u32 v5, s30, v3
	v_mul_hi_u32 v5, v3, v5
	v_add_u32_e32 v3, v3, v5
	v_mul_hi_u32 v3, v4, v3
	v_mul_lo_u32 v5, v3, s33
	v_add_u32_e32 v6, 1, v3
	v_sub_u32_e32 v4, v4, v5
	v_subrev_u32_e32 v5, s33, v4
	v_cmp_le_u32_e32 vcc, s33, v4
	v_cndmask_b32_e32 v4, v4, v5, vcc
	v_cndmask_b32_e32 v3, v3, v6, vcc
	v_add_u32_e32 v5, 1, v3
	v_cmp_le_u32_e32 vcc, s33, v4
	v_cndmask_b32_e32 v6, v3, v5, vcc
	s_branch .LBB17_2
.LBB17_16:
	s_endpgm
	.section	.rodata,"a",@progbits
	.p2align	6, 0x0
	.amdhsa_kernel _ZN2at4cuda17kernelHistogram1DIlalLi1ELi2ELin1ELNS0_23CUDAHistogramMemoryTypeE1EZNS0_21CUDA_tensor_histogramIlaLb0EEEbNS_6TensorES4_S4_lNS_14AccumulateTypeIT0_Lb1EE4typeES8_NS0_13TensorArgTypeES9_S9_EUllE_EEvNS0_6detail10TensorInfoIT_T1_EESF_NSC_IKS6_SE_EElS8_S8_SE_T6_
		.amdhsa_group_segment_fixed_size 0
		.amdhsa_private_segment_fixed_size 0
		.amdhsa_kernarg_size 1952
		.amdhsa_user_sgpr_count 6
		.amdhsa_user_sgpr_private_segment_buffer 1
		.amdhsa_user_sgpr_dispatch_ptr 0
		.amdhsa_user_sgpr_queue_ptr 0
		.amdhsa_user_sgpr_kernarg_segment_ptr 1
		.amdhsa_user_sgpr_dispatch_id 0
		.amdhsa_user_sgpr_flat_scratch_init 0
		.amdhsa_user_sgpr_private_segment_size 0
		.amdhsa_uses_dynamic_stack 0
		.amdhsa_system_sgpr_private_segment_wavefront_offset 0
		.amdhsa_system_sgpr_workgroup_id_x 1
		.amdhsa_system_sgpr_workgroup_id_y 0
		.amdhsa_system_sgpr_workgroup_id_z 0
		.amdhsa_system_sgpr_workgroup_info 0
		.amdhsa_system_vgpr_workitem_id 0
		.amdhsa_next_free_vgpr 18
		.amdhsa_next_free_sgpr 51
		.amdhsa_reserve_vcc 1
		.amdhsa_reserve_flat_scratch 0
		.amdhsa_float_round_mode_32 0
		.amdhsa_float_round_mode_16_64 0
		.amdhsa_float_denorm_mode_32 3
		.amdhsa_float_denorm_mode_16_64 3
		.amdhsa_dx10_clamp 1
		.amdhsa_ieee_mode 1
		.amdhsa_fp16_overflow 0
		.amdhsa_exception_fp_ieee_invalid_op 0
		.amdhsa_exception_fp_denorm_src 0
		.amdhsa_exception_fp_ieee_div_zero 0
		.amdhsa_exception_fp_ieee_overflow 0
		.amdhsa_exception_fp_ieee_underflow 0
		.amdhsa_exception_fp_ieee_inexact 0
		.amdhsa_exception_int_div_zero 0
	.end_amdhsa_kernel
	.section	.text._ZN2at4cuda17kernelHistogram1DIlalLi1ELi2ELin1ELNS0_23CUDAHistogramMemoryTypeE1EZNS0_21CUDA_tensor_histogramIlaLb0EEEbNS_6TensorES4_S4_lNS_14AccumulateTypeIT0_Lb1EE4typeES8_NS0_13TensorArgTypeES9_S9_EUllE_EEvNS0_6detail10TensorInfoIT_T1_EESF_NSC_IKS6_SE_EElS8_S8_SE_T6_,"axG",@progbits,_ZN2at4cuda17kernelHistogram1DIlalLi1ELi2ELin1ELNS0_23CUDAHistogramMemoryTypeE1EZNS0_21CUDA_tensor_histogramIlaLb0EEEbNS_6TensorES4_S4_lNS_14AccumulateTypeIT0_Lb1EE4typeES8_NS0_13TensorArgTypeES9_S9_EUllE_EEvNS0_6detail10TensorInfoIT_T1_EESF_NSC_IKS6_SE_EElS8_S8_SE_T6_,comdat
.Lfunc_end17:
	.size	_ZN2at4cuda17kernelHistogram1DIlalLi1ELi2ELin1ELNS0_23CUDAHistogramMemoryTypeE1EZNS0_21CUDA_tensor_histogramIlaLb0EEEbNS_6TensorES4_S4_lNS_14AccumulateTypeIT0_Lb1EE4typeES8_NS0_13TensorArgTypeES9_S9_EUllE_EEvNS0_6detail10TensorInfoIT_T1_EESF_NSC_IKS6_SE_EElS8_S8_SE_T6_, .Lfunc_end17-_ZN2at4cuda17kernelHistogram1DIlalLi1ELi2ELin1ELNS0_23CUDAHistogramMemoryTypeE1EZNS0_21CUDA_tensor_histogramIlaLb0EEEbNS_6TensorES4_S4_lNS_14AccumulateTypeIT0_Lb1EE4typeES8_NS0_13TensorArgTypeES9_S9_EUllE_EEvNS0_6detail10TensorInfoIT_T1_EESF_NSC_IKS6_SE_EElS8_S8_SE_T6_
                                        ; -- End function
	.set _ZN2at4cuda17kernelHistogram1DIlalLi1ELi2ELin1ELNS0_23CUDAHistogramMemoryTypeE1EZNS0_21CUDA_tensor_histogramIlaLb0EEEbNS_6TensorES4_S4_lNS_14AccumulateTypeIT0_Lb1EE4typeES8_NS0_13TensorArgTypeES9_S9_EUllE_EEvNS0_6detail10TensorInfoIT_T1_EESF_NSC_IKS6_SE_EElS8_S8_SE_T6_.num_vgpr, 18
	.set _ZN2at4cuda17kernelHistogram1DIlalLi1ELi2ELin1ELNS0_23CUDAHistogramMemoryTypeE1EZNS0_21CUDA_tensor_histogramIlaLb0EEEbNS_6TensorES4_S4_lNS_14AccumulateTypeIT0_Lb1EE4typeES8_NS0_13TensorArgTypeES9_S9_EUllE_EEvNS0_6detail10TensorInfoIT_T1_EESF_NSC_IKS6_SE_EElS8_S8_SE_T6_.num_agpr, 0
	.set _ZN2at4cuda17kernelHistogram1DIlalLi1ELi2ELin1ELNS0_23CUDAHistogramMemoryTypeE1EZNS0_21CUDA_tensor_histogramIlaLb0EEEbNS_6TensorES4_S4_lNS_14AccumulateTypeIT0_Lb1EE4typeES8_NS0_13TensorArgTypeES9_S9_EUllE_EEvNS0_6detail10TensorInfoIT_T1_EESF_NSC_IKS6_SE_EElS8_S8_SE_T6_.numbered_sgpr, 51
	.set _ZN2at4cuda17kernelHistogram1DIlalLi1ELi2ELin1ELNS0_23CUDAHistogramMemoryTypeE1EZNS0_21CUDA_tensor_histogramIlaLb0EEEbNS_6TensorES4_S4_lNS_14AccumulateTypeIT0_Lb1EE4typeES8_NS0_13TensorArgTypeES9_S9_EUllE_EEvNS0_6detail10TensorInfoIT_T1_EESF_NSC_IKS6_SE_EElS8_S8_SE_T6_.num_named_barrier, 0
	.set _ZN2at4cuda17kernelHistogram1DIlalLi1ELi2ELin1ELNS0_23CUDAHistogramMemoryTypeE1EZNS0_21CUDA_tensor_histogramIlaLb0EEEbNS_6TensorES4_S4_lNS_14AccumulateTypeIT0_Lb1EE4typeES8_NS0_13TensorArgTypeES9_S9_EUllE_EEvNS0_6detail10TensorInfoIT_T1_EESF_NSC_IKS6_SE_EElS8_S8_SE_T6_.private_seg_size, 0
	.set _ZN2at4cuda17kernelHistogram1DIlalLi1ELi2ELin1ELNS0_23CUDAHistogramMemoryTypeE1EZNS0_21CUDA_tensor_histogramIlaLb0EEEbNS_6TensorES4_S4_lNS_14AccumulateTypeIT0_Lb1EE4typeES8_NS0_13TensorArgTypeES9_S9_EUllE_EEvNS0_6detail10TensorInfoIT_T1_EESF_NSC_IKS6_SE_EElS8_S8_SE_T6_.uses_vcc, 1
	.set _ZN2at4cuda17kernelHistogram1DIlalLi1ELi2ELin1ELNS0_23CUDAHistogramMemoryTypeE1EZNS0_21CUDA_tensor_histogramIlaLb0EEEbNS_6TensorES4_S4_lNS_14AccumulateTypeIT0_Lb1EE4typeES8_NS0_13TensorArgTypeES9_S9_EUllE_EEvNS0_6detail10TensorInfoIT_T1_EESF_NSC_IKS6_SE_EElS8_S8_SE_T6_.uses_flat_scratch, 0
	.set _ZN2at4cuda17kernelHistogram1DIlalLi1ELi2ELin1ELNS0_23CUDAHistogramMemoryTypeE1EZNS0_21CUDA_tensor_histogramIlaLb0EEEbNS_6TensorES4_S4_lNS_14AccumulateTypeIT0_Lb1EE4typeES8_NS0_13TensorArgTypeES9_S9_EUllE_EEvNS0_6detail10TensorInfoIT_T1_EESF_NSC_IKS6_SE_EElS8_S8_SE_T6_.has_dyn_sized_stack, 0
	.set _ZN2at4cuda17kernelHistogram1DIlalLi1ELi2ELin1ELNS0_23CUDAHistogramMemoryTypeE1EZNS0_21CUDA_tensor_histogramIlaLb0EEEbNS_6TensorES4_S4_lNS_14AccumulateTypeIT0_Lb1EE4typeES8_NS0_13TensorArgTypeES9_S9_EUllE_EEvNS0_6detail10TensorInfoIT_T1_EESF_NSC_IKS6_SE_EElS8_S8_SE_T6_.has_recursion, 0
	.set _ZN2at4cuda17kernelHistogram1DIlalLi1ELi2ELin1ELNS0_23CUDAHistogramMemoryTypeE1EZNS0_21CUDA_tensor_histogramIlaLb0EEEbNS_6TensorES4_S4_lNS_14AccumulateTypeIT0_Lb1EE4typeES8_NS0_13TensorArgTypeES9_S9_EUllE_EEvNS0_6detail10TensorInfoIT_T1_EESF_NSC_IKS6_SE_EElS8_S8_SE_T6_.has_indirect_call, 0
	.section	.AMDGPU.csdata,"",@progbits
; Kernel info:
; codeLenInByte = 2144
; TotalNumSgprs: 55
; NumVgprs: 18
; ScratchSize: 0
; MemoryBound: 0
; FloatMode: 240
; IeeeMode: 1
; LDSByteSize: 0 bytes/workgroup (compile time only)
; SGPRBlocks: 6
; VGPRBlocks: 4
; NumSGPRsForWavesPerEU: 55
; NumVGPRsForWavesPerEU: 18
; Occupancy: 10
; WaveLimiterHint : 1
; COMPUTE_PGM_RSRC2:SCRATCH_EN: 0
; COMPUTE_PGM_RSRC2:USER_SGPR: 6
; COMPUTE_PGM_RSRC2:TRAP_HANDLER: 0
; COMPUTE_PGM_RSRC2:TGID_X_EN: 1
; COMPUTE_PGM_RSRC2:TGID_Y_EN: 0
; COMPUTE_PGM_RSRC2:TGID_Z_EN: 0
; COMPUTE_PGM_RSRC2:TIDIG_COMP_CNT: 0
	.section	.text._ZN2at4cuda17kernelHistogram1DIlalLi1ELi2ELin1ELNS0_23CUDAHistogramMemoryTypeE0EZNS0_21CUDA_tensor_histogramIlaLb0EEEbNS_6TensorES4_S4_lNS_14AccumulateTypeIT0_Lb1EE4typeES8_NS0_13TensorArgTypeES9_S9_EUllE0_EEvNS0_6detail10TensorInfoIT_T1_EESF_NSC_IKS6_SE_EElS8_S8_SE_T6_,"axG",@progbits,_ZN2at4cuda17kernelHistogram1DIlalLi1ELi2ELin1ELNS0_23CUDAHistogramMemoryTypeE0EZNS0_21CUDA_tensor_histogramIlaLb0EEEbNS_6TensorES4_S4_lNS_14AccumulateTypeIT0_Lb1EE4typeES8_NS0_13TensorArgTypeES9_S9_EUllE0_EEvNS0_6detail10TensorInfoIT_T1_EESF_NSC_IKS6_SE_EElS8_S8_SE_T6_,comdat
	.protected	_ZN2at4cuda17kernelHistogram1DIlalLi1ELi2ELin1ELNS0_23CUDAHistogramMemoryTypeE0EZNS0_21CUDA_tensor_histogramIlaLb0EEEbNS_6TensorES4_S4_lNS_14AccumulateTypeIT0_Lb1EE4typeES8_NS0_13TensorArgTypeES9_S9_EUllE0_EEvNS0_6detail10TensorInfoIT_T1_EESF_NSC_IKS6_SE_EElS8_S8_SE_T6_ ; -- Begin function _ZN2at4cuda17kernelHistogram1DIlalLi1ELi2ELin1ELNS0_23CUDAHistogramMemoryTypeE0EZNS0_21CUDA_tensor_histogramIlaLb0EEEbNS_6TensorES4_S4_lNS_14AccumulateTypeIT0_Lb1EE4typeES8_NS0_13TensorArgTypeES9_S9_EUllE0_EEvNS0_6detail10TensorInfoIT_T1_EESF_NSC_IKS6_SE_EElS8_S8_SE_T6_
	.globl	_ZN2at4cuda17kernelHistogram1DIlalLi1ELi2ELin1ELNS0_23CUDAHistogramMemoryTypeE0EZNS0_21CUDA_tensor_histogramIlaLb0EEEbNS_6TensorES4_S4_lNS_14AccumulateTypeIT0_Lb1EE4typeES8_NS0_13TensorArgTypeES9_S9_EUllE0_EEvNS0_6detail10TensorInfoIT_T1_EESF_NSC_IKS6_SE_EElS8_S8_SE_T6_
	.p2align	8
	.type	_ZN2at4cuda17kernelHistogram1DIlalLi1ELi2ELin1ELNS0_23CUDAHistogramMemoryTypeE0EZNS0_21CUDA_tensor_histogramIlaLb0EEEbNS_6TensorES4_S4_lNS_14AccumulateTypeIT0_Lb1EE4typeES8_NS0_13TensorArgTypeES9_S9_EUllE0_EEvNS0_6detail10TensorInfoIT_T1_EESF_NSC_IKS6_SE_EElS8_S8_SE_T6_,@function
_ZN2at4cuda17kernelHistogram1DIlalLi1ELi2ELin1ELNS0_23CUDAHistogramMemoryTypeE0EZNS0_21CUDA_tensor_histogramIlaLb0EEEbNS_6TensorES4_S4_lNS_14AccumulateTypeIT0_Lb1EE4typeES8_NS0_13TensorArgTypeES9_S9_EUllE0_EEvNS0_6detail10TensorInfoIT_T1_EESF_NSC_IKS6_SE_EElS8_S8_SE_T6_: ; @_ZN2at4cuda17kernelHistogram1DIlalLi1ELi2ELin1ELNS0_23CUDAHistogramMemoryTypeE0EZNS0_21CUDA_tensor_histogramIlaLb0EEEbNS_6TensorES4_S4_lNS_14AccumulateTypeIT0_Lb1EE4typeES8_NS0_13TensorArgTypeES9_S9_EUllE0_EEvNS0_6detail10TensorInfoIT_T1_EESF_NSC_IKS6_SE_EElS8_S8_SE_T6_
; %bb.0:
	s_load_dwordx4 s[16:19], s[4:5], 0x0
	v_mov_b32_e32 v1, 0
	s_add_u32 s2, s4, 0x508
	s_addc_u32 s3, s5, 0
                                        ; implicit-def: $sgpr7
                                        ; implicit-def: $sgpr10
	s_waitcnt lgkmcnt(0)
	v_cmp_gt_i64_e64 s[0:1], s[18:19], v[0:1]
	v_cmp_le_i64_e32 vcc, s[18:19], v[0:1]
	s_and_saveexec_b64 s[8:9], vcc
	s_xor_b64 s[8:9], exec, s[8:9]
	s_cbranch_execz .LBB18_2
; %bb.1:
	s_load_dword s7, s[2:3], 0xc
	s_waitcnt lgkmcnt(0)
	s_and_b32 s10, s7, 0xffff
.LBB18_2:
	s_or_saveexec_b64 s[8:9], s[8:9]
	s_load_dwordx2 s[20:21], s[4:5], 0xd0
	v_mov_b32_e32 v14, s7
	v_mov_b32_e32 v13, s10
	v_lshl_add_u32 v12, v0, 3, 0
	s_xor_b64 exec, exec, s[8:9]
	s_cbranch_execz .LBB18_6
; %bb.3:
	s_load_dword s7, s[2:3], 0xc
	v_mov_b32_e32 v2, 0
	v_mov_b32_e32 v5, v1
	v_lshl_add_u32 v6, v0, 3, 0
	s_mov_b64 s[10:11], 0
	s_waitcnt lgkmcnt(0)
	s_and_b32 s12, s7, 0xffff
	v_mov_b32_e32 v3, v2
	s_lshl_b32 s13, s12, 3
	v_mov_b32_e32 v4, v0
.LBB18_4:                               ; =>This Inner Loop Header: Depth=1
	v_add_co_u32_e32 v4, vcc, s12, v4
	v_addc_co_u32_e32 v5, vcc, 0, v5, vcc
	v_cmp_le_i64_e32 vcc, s[18:19], v[4:5]
	ds_write_b64 v6, v[2:3]
	s_or_b64 s[10:11], vcc, s[10:11]
	v_add_u32_e32 v6, s13, v6
	s_andn2_b64 exec, exec, s[10:11]
	s_cbranch_execnz .LBB18_4
; %bb.5:
	s_or_b64 exec, exec, s[10:11]
	v_mov_b32_e32 v14, s7
	v_mov_b32_e32 v13, s12
.LBB18_6:
	s_or_b64 exec, exec, s[8:9]
	s_load_dwordx8 s[8:15], s[4:5], 0x4e0
	v_mad_u64_u32 v[2:3], s[6:7], s6, v13, v[0:1]
	v_mov_b32_e32 v4, 0
	v_mov_b32_e32 v3, v4
	s_waitcnt lgkmcnt(0)
	v_cmp_gt_i64_e32 vcc, s[14:15], v[2:3]
	s_barrier
	s_and_saveexec_b64 s[6:7], vcc
	s_cbranch_execz .LBB18_22
; %bb.7:
	s_load_dword s26, s[4:5], 0x4d8
	s_load_dwordx2 s[24:25], s[4:5], 0x340
	s_add_u32 s27, s4, 0x340
	s_addc_u32 s29, s5, 0
	s_load_dword s28, s[2:3], 0x0
	s_load_dwordx2 s[22:23], s[4:5], 0x410
	s_waitcnt lgkmcnt(0)
	s_cmp_gt_i32 s26, 1
	s_cselect_b64 s[2:3], -1, 0
	s_sub_u32 s33, s12, s10
	s_subb_u32 s42, s13, s11
	s_mov_b32 s5, 0
	s_add_i32 s4, s26, -1
	s_add_i32 s43, s26, 1
	s_lshl_b64 s[4:5], s[4:5], 3
	v_mul_lo_u32 v15, s28, v13
	s_add_u32 s4, s27, s4
	s_addc_u32 s5, s29, s5
	s_add_u32 s26, s4, 8
	v_cndmask_b32_e64 v5, 0, 1, s[2:3]
	s_addc_u32 s27, s5, 0
	s_mov_b64 s[28:29], 0
	v_cmp_ne_u32_e64 s[2:3], 1, v5
	s_branch .LBB18_10
.LBB18_8:                               ;   in Loop: Header=BB18_10 Depth=1
	s_or_b64 exec, exec, s[4:5]
	v_ashrrev_i32_e32 v9, 31, v8
	v_cmp_eq_u64_e32 vcc, s[8:9], v[8:9]
	v_subbrev_co_u32_e32 v5, vcc, 0, v8, vcc
	v_lshl_add_u32 v7, v5, 3, 0
	v_mov_b32_e32 v5, 1
	v_mov_b32_e32 v6, 0
	ds_add_u64 v7, v[5:6]
.LBB18_9:                               ;   in Loop: Header=BB18_10 Depth=1
	s_or_b64 exec, exec, s[30:31]
	v_add_co_u32_e32 v2, vcc, v2, v15
	v_addc_co_u32_e32 v3, vcc, 0, v3, vcc
	v_cmp_le_i64_e32 vcc, s[14:15], v[2:3]
	s_or_b64 s[28:29], vcc, s[28:29]
	s_andn2_b64 exec, exec, s[28:29]
	s_cbranch_execz .LBB18_22
.LBB18_10:                              ; =>This Loop Header: Depth=1
                                        ;     Child Loop BB18_11 Depth 2
	v_mov_b32_e32 v6, 0
	v_mov_b32_e32 v9, v3
	;; [unrolled: 1-line block ×4, first 2 shown]
	s_and_b64 vcc, exec, s[2:3]
	s_mov_b64 s[30:31], s[26:27]
	s_mov_b32 s44, s43
	v_mov_b32_e32 v8, v2
	v_mov_b32_e32 v10, v2
	s_cbranch_vccnz .LBB18_17
.LBB18_11:                              ;   Parent Loop BB18_10 Depth=1
                                        ; =>  This Inner Loop Header: Depth=2
	s_load_dwordx2 s[34:35], s[30:31], 0x0
                                        ; implicit-def: $vgpr10_vgpr11
	s_waitcnt lgkmcnt(0)
	v_or_b32_e32 v5, s35, v9
	v_cmp_ne_u64_e32 vcc, 0, v[4:5]
	s_and_saveexec_b64 s[4:5], vcc
	s_xor_b64 s[36:37], exec, s[4:5]
	s_cbranch_execz .LBB18_13
; %bb.12:                               ;   in Loop: Header=BB18_11 Depth=2
	s_ashr_i32 s38, s35, 31
	s_add_u32 s4, s34, s38
	s_mov_b32 s39, s38
	s_addc_u32 s5, s35, s38
	s_xor_b64 s[40:41], s[4:5], s[38:39]
	v_cvt_f32_u32_e32 v5, s40
	v_cvt_f32_u32_e32 v10, s41
	s_sub_u32 s39, 0, s40
	s_subb_u32 s45, 0, s41
	v_mac_f32_e32 v5, 0x4f800000, v10
	v_rcp_f32_e32 v5, v5
	v_mul_f32_e32 v5, 0x5f7ffffc, v5
	v_mul_f32_e32 v10, 0x2f800000, v5
	v_trunc_f32_e32 v10, v10
	v_mac_f32_e32 v5, 0xcf800000, v10
	v_cvt_u32_f32_e32 v10, v10
	v_cvt_u32_f32_e32 v5, v5
	v_readfirstlane_b32 s46, v10
	v_readfirstlane_b32 s4, v5
	s_mul_i32 s5, s39, s46
	s_mul_hi_u32 s48, s39, s4
	s_mul_i32 s47, s45, s4
	s_add_i32 s5, s48, s5
	s_add_i32 s5, s5, s47
	s_mul_i32 s49, s39, s4
	s_mul_i32 s48, s4, s5
	s_mul_hi_u32 s50, s4, s49
	s_mul_hi_u32 s47, s4, s5
	s_add_u32 s48, s50, s48
	s_addc_u32 s47, 0, s47
	s_mul_hi_u32 s51, s46, s49
	s_mul_i32 s49, s46, s49
	s_add_u32 s48, s48, s49
	s_mul_hi_u32 s50, s46, s5
	s_addc_u32 s47, s47, s51
	s_addc_u32 s48, s50, 0
	s_mul_i32 s5, s46, s5
	s_add_u32 s5, s47, s5
	s_addc_u32 s47, 0, s48
	s_add_u32 s48, s4, s5
	s_cselect_b64 s[4:5], -1, 0
	s_cmp_lg_u64 s[4:5], 0
	s_addc_u32 s46, s46, s47
	s_mul_i32 s4, s39, s46
	s_mul_hi_u32 s5, s39, s48
	s_add_i32 s4, s5, s4
	s_mul_i32 s45, s45, s48
	s_add_i32 s4, s4, s45
	s_mul_i32 s39, s39, s48
	s_mul_hi_u32 s45, s46, s39
	s_mul_i32 s47, s46, s39
	s_mul_i32 s50, s48, s4
	s_mul_hi_u32 s39, s48, s39
	s_mul_hi_u32 s49, s48, s4
	s_add_u32 s39, s39, s50
	s_addc_u32 s49, 0, s49
	s_add_u32 s39, s39, s47
	s_mul_hi_u32 s5, s46, s4
	s_addc_u32 s39, s49, s45
	s_addc_u32 s5, s5, 0
	s_mul_i32 s4, s46, s4
	s_add_u32 s4, s39, s4
	s_addc_u32 s39, 0, s5
	s_add_u32 s45, s48, s4
	s_cselect_b64 s[4:5], -1, 0
	v_ashrrev_i32_e32 v5, 31, v9
	s_cmp_lg_u64 s[4:5], 0
	v_add_co_u32_e32 v10, vcc, v8, v5
	s_addc_u32 s39, s46, s39
	v_xor_b32_e32 v18, v10, v5
	v_mad_u64_u32 v[10:11], s[4:5], v18, s39, 0
	v_mul_hi_u32 v17, v18, s45
	v_addc_co_u32_e32 v16, vcc, v9, v5, vcc
	v_xor_b32_e32 v19, v16, v5
	v_add_co_u32_e32 v20, vcc, v17, v10
	v_addc_co_u32_e32 v21, vcc, 0, v11, vcc
	v_mad_u64_u32 v[10:11], s[4:5], v19, s45, 0
	v_mad_u64_u32 v[16:17], s[4:5], v19, s39, 0
	v_add_co_u32_e32 v10, vcc, v20, v10
	v_addc_co_u32_e32 v10, vcc, v21, v11, vcc
	v_addc_co_u32_e32 v11, vcc, 0, v17, vcc
	v_add_co_u32_e32 v16, vcc, v10, v16
	v_addc_co_u32_e32 v17, vcc, 0, v11, vcc
	v_mul_lo_u32 v20, s41, v16
	v_mul_lo_u32 v21, s40, v17
	v_mad_u64_u32 v[10:11], s[4:5], s40, v16, 0
	v_xor_b32_e32 v5, s38, v5
	v_add3_u32 v11, v11, v21, v20
	v_sub_u32_e32 v20, v19, v11
	v_mov_b32_e32 v21, s41
	v_sub_co_u32_e32 v10, vcc, v18, v10
	v_subb_co_u32_e64 v18, s[4:5], v20, v21, vcc
	v_subrev_co_u32_e64 v20, s[4:5], s40, v10
	v_subbrev_co_u32_e64 v18, s[4:5], 0, v18, s[4:5]
	v_cmp_le_u32_e64 s[4:5], s41, v18
	v_cndmask_b32_e64 v21, 0, -1, s[4:5]
	v_cmp_le_u32_e64 s[4:5], s40, v20
	v_cndmask_b32_e64 v20, 0, -1, s[4:5]
	v_cmp_eq_u32_e64 s[4:5], s41, v18
	v_cndmask_b32_e64 v18, v21, v20, s[4:5]
	v_add_co_u32_e64 v20, s[4:5], 2, v16
	v_subb_co_u32_e32 v11, vcc, v19, v11, vcc
	v_addc_co_u32_e64 v21, s[4:5], 0, v17, s[4:5]
	v_cmp_le_u32_e32 vcc, s41, v11
	v_add_co_u32_e64 v22, s[4:5], 1, v16
	v_cndmask_b32_e64 v19, 0, -1, vcc
	v_cmp_le_u32_e32 vcc, s40, v10
	v_addc_co_u32_e64 v23, s[4:5], 0, v17, s[4:5]
	v_cndmask_b32_e64 v10, 0, -1, vcc
	v_cmp_eq_u32_e32 vcc, s41, v11
	v_cmp_ne_u32_e64 s[4:5], 0, v18
	v_cndmask_b32_e32 v10, v19, v10, vcc
	v_cndmask_b32_e64 v18, v23, v21, s[4:5]
	v_cmp_ne_u32_e32 vcc, 0, v10
	v_cndmask_b32_e64 v11, v22, v20, s[4:5]
	v_cndmask_b32_e32 v10, v17, v18, vcc
	v_cndmask_b32_e32 v11, v16, v11, vcc
	v_xor_b32_e32 v16, v10, v5
	v_xor_b32_e32 v10, v11, v5
	v_sub_co_u32_e32 v10, vcc, v10, v5
	v_subb_co_u32_e32 v11, vcc, v16, v5, vcc
.LBB18_13:                              ;   in Loop: Header=BB18_11 Depth=2
	s_andn2_saveexec_b64 s[4:5], s[36:37]
	s_cbranch_execz .LBB18_15
; %bb.14:                               ;   in Loop: Header=BB18_11 Depth=2
	v_cvt_f32_u32_e32 v5, s34
	s_sub_i32 s36, 0, s34
	v_rcp_iflag_f32_e32 v5, v5
	v_mul_f32_e32 v5, 0x4f7ffffe, v5
	v_cvt_u32_f32_e32 v5, v5
	v_mul_lo_u32 v10, s36, v5
	v_mul_hi_u32 v10, v5, v10
	v_add_u32_e32 v5, v5, v10
	v_mul_hi_u32 v5, v8, v5
	v_mul_lo_u32 v10, v5, s34
	v_add_u32_e32 v11, 1, v5
	v_sub_u32_e32 v10, v8, v10
	v_subrev_u32_e32 v16, s34, v10
	v_cmp_le_u32_e32 vcc, s34, v10
	v_cndmask_b32_e32 v10, v10, v16, vcc
	v_cndmask_b32_e32 v5, v5, v11, vcc
	v_add_u32_e32 v11, 1, v5
	v_cmp_le_u32_e32 vcc, s34, v10
	v_cndmask_b32_e32 v10, v5, v11, vcc
	v_mov_b32_e32 v11, v4
.LBB18_15:                              ;   in Loop: Header=BB18_11 Depth=2
	s_or_b64 exec, exec, s[4:5]
	v_mul_lo_u32 v5, v11, s34
	v_mul_lo_u32 v18, v10, s35
	v_mad_u64_u32 v[16:17], s[4:5], v10, s34, 0
	s_load_dwordx2 s[4:5], s[30:31], 0xc8
	s_add_i32 s44, s44, -1
	v_add3_u32 v5, v17, v18, v5
	v_sub_co_u32_e32 v8, vcc, v8, v16
	v_subb_co_u32_e32 v5, vcc, v9, v5, vcc
	s_waitcnt lgkmcnt(0)
	v_mul_lo_u32 v5, s4, v5
	v_mul_lo_u32 v9, s5, v8
	v_mad_u64_u32 v[6:7], s[4:5], s4, v8, v[6:7]
	s_add_u32 s30, s30, -8
	s_addc_u32 s31, s31, -1
	s_cmp_gt_u32 s44, 2
	v_add3_u32 v7, v9, v7, v5
	s_cbranch_scc0 .LBB18_17
; %bb.16:                               ;   in Loop: Header=BB18_11 Depth=2
	v_mov_b32_e32 v8, v10
	v_mov_b32_e32 v9, v11
	s_branch .LBB18_11
.LBB18_17:                              ;   in Loop: Header=BB18_10 Depth=1
	v_mov_b32_e32 v8, s24
	v_mov_b32_e32 v9, s25
	v_mul_lo_u32 v5, s22, v11
	v_mul_lo_u32 v11, s23, v10
	v_mad_u64_u32 v[8:9], s[4:5], s22, v10, v[8:9]
	v_add3_u32 v9, v11, v9, v5
	v_add_co_u32_e32 v5, vcc, v8, v6
	v_addc_co_u32_e32 v6, vcc, v9, v7, vcc
	global_load_sbyte v5, v[5:6], off
	s_waitcnt vmcnt(0)
	v_bfe_i32 v5, v5, 0, 16
	v_ashrrev_i32_e32 v6, 31, v5
	v_cmp_le_i64_e32 vcc, s[10:11], v[5:6]
	v_cmp_ge_i64_e64 s[4:5], s[12:13], v[5:6]
	s_and_b64 s[4:5], vcc, s[4:5]
	s_and_saveexec_b64 s[30:31], s[4:5]
	s_cbranch_execz .LBB18_9
; %bb.18:                               ;   in Loop: Header=BB18_10 Depth=1
	v_mov_b32_e32 v7, s11
	v_subrev_co_u32_e32 v5, vcc, s10, v5
	v_subb_co_u32_e32 v6, vcc, v6, v7, vcc
	v_mul_lo_u32 v8, v6, s8
	v_mul_lo_u32 v9, v5, s9
	v_mad_u64_u32 v[6:7], s[4:5], v5, s8, 0
	v_add3_u32 v7, v7, v9, v8
	v_or_b32_e32 v5, s42, v7
	v_cmp_ne_u64_e32 vcc, 0, v[4:5]
                                        ; implicit-def: $vgpr8_vgpr9
	s_and_saveexec_b64 s[4:5], vcc
	s_xor_b64 s[34:35], exec, s[4:5]
	s_cbranch_execz .LBB18_20
; %bb.19:                               ;   in Loop: Header=BB18_10 Depth=1
	s_ashr_i32 s36, s42, 31
	s_add_u32 s4, s33, s36
	s_mov_b32 s37, s36
	s_addc_u32 s5, s42, s36
	s_xor_b64 s[38:39], s[4:5], s[36:37]
	v_cvt_f32_u32_e32 v5, s38
	v_cvt_f32_u32_e32 v8, s39
	s_sub_u32 s37, 0, s38
	s_subb_u32 s40, 0, s39
	v_ashrrev_i32_e32 v9, 31, v7
	v_mac_f32_e32 v5, 0x4f800000, v8
	v_rcp_f32_e32 v5, v5
	v_mul_f32_e32 v5, 0x5f7ffffc, v5
	v_mul_f32_e32 v8, 0x2f800000, v5
	v_trunc_f32_e32 v8, v8
	v_mac_f32_e32 v5, 0xcf800000, v8
	v_cvt_u32_f32_e32 v8, v8
	v_cvt_u32_f32_e32 v5, v5
	v_readfirstlane_b32 s41, v8
	v_readfirstlane_b32 s4, v5
	s_mul_i32 s5, s37, s41
	s_mul_hi_u32 s45, s37, s4
	s_mul_i32 s44, s40, s4
	s_add_i32 s5, s45, s5
	s_add_i32 s5, s5, s44
	s_mul_i32 s46, s37, s4
	s_mul_i32 s45, s4, s5
	s_mul_hi_u32 s47, s4, s46
	s_mul_hi_u32 s44, s4, s5
	s_add_u32 s45, s47, s45
	s_addc_u32 s44, 0, s44
	s_mul_hi_u32 s48, s41, s46
	s_mul_i32 s46, s41, s46
	s_add_u32 s45, s45, s46
	s_mul_hi_u32 s47, s41, s5
	s_addc_u32 s44, s44, s48
	s_addc_u32 s45, s47, 0
	s_mul_i32 s5, s41, s5
	s_add_u32 s5, s44, s5
	s_addc_u32 s44, 0, s45
	s_add_u32 s45, s4, s5
	s_cselect_b64 s[4:5], -1, 0
	s_cmp_lg_u64 s[4:5], 0
	s_addc_u32 s41, s41, s44
	s_mul_i32 s4, s37, s41
	s_mul_hi_u32 s5, s37, s45
	s_add_i32 s4, s5, s4
	s_mul_i32 s40, s40, s45
	s_add_i32 s4, s4, s40
	s_mul_i32 s37, s37, s45
	s_mul_hi_u32 s40, s41, s37
	s_mul_i32 s44, s41, s37
	s_mul_i32 s47, s45, s4
	s_mul_hi_u32 s37, s45, s37
	s_mul_hi_u32 s46, s45, s4
	s_add_u32 s37, s37, s47
	s_addc_u32 s46, 0, s46
	s_add_u32 s37, s37, s44
	s_mul_hi_u32 s5, s41, s4
	s_addc_u32 s37, s46, s40
	s_addc_u32 s5, s5, 0
	s_mul_i32 s4, s41, s4
	s_add_u32 s4, s37, s4
	s_addc_u32 s37, 0, s5
	s_add_u32 s40, s45, s4
	s_cselect_b64 s[4:5], -1, 0
	s_cmp_lg_u64 s[4:5], 0
	v_add_co_u32_e32 v5, vcc, v6, v9
	s_addc_u32 s37, s41, s37
	v_xor_b32_e32 v10, v5, v9
	v_mad_u64_u32 v[5:6], s[4:5], v10, s37, 0
	v_mul_hi_u32 v8, v10, s40
	v_addc_co_u32_e32 v7, vcc, v7, v9, vcc
	v_xor_b32_e32 v11, v7, v9
	v_add_co_u32_e32 v16, vcc, v8, v5
	v_addc_co_u32_e32 v17, vcc, 0, v6, vcc
	v_mad_u64_u32 v[5:6], s[4:5], v11, s40, 0
	v_mad_u64_u32 v[7:8], s[4:5], v11, s37, 0
	v_add_co_u32_e32 v5, vcc, v16, v5
	v_addc_co_u32_e32 v5, vcc, v17, v6, vcc
	v_addc_co_u32_e32 v6, vcc, 0, v8, vcc
	v_add_co_u32_e32 v7, vcc, v5, v7
	v_addc_co_u32_e32 v5, vcc, 0, v6, vcc
	v_mul_lo_u32 v8, s39, v7
	v_mul_lo_u32 v16, s38, v5
	v_mad_u64_u32 v[5:6], s[4:5], s38, v7, 0
	v_add3_u32 v6, v6, v16, v8
	v_sub_u32_e32 v8, v11, v6
	v_mov_b32_e32 v16, s39
	v_sub_co_u32_e32 v5, vcc, v10, v5
	v_subb_co_u32_e64 v8, s[4:5], v8, v16, vcc
	v_subrev_co_u32_e64 v10, s[4:5], s38, v5
	v_subbrev_co_u32_e64 v8, s[4:5], 0, v8, s[4:5]
	v_cmp_le_u32_e64 s[4:5], s39, v8
	v_subb_co_u32_e32 v6, vcc, v11, v6, vcc
	v_cndmask_b32_e64 v16, 0, -1, s[4:5]
	v_cmp_le_u32_e64 s[4:5], s38, v10
	v_cmp_le_u32_e32 vcc, s39, v6
	v_cndmask_b32_e64 v10, 0, -1, s[4:5]
	v_cmp_eq_u32_e64 s[4:5], s39, v8
	v_cndmask_b32_e64 v11, 0, -1, vcc
	v_cmp_le_u32_e32 vcc, s38, v5
	v_cndmask_b32_e64 v8, v16, v10, s[4:5]
	v_cndmask_b32_e64 v5, 0, -1, vcc
	v_cmp_eq_u32_e32 vcc, s39, v6
	v_add_co_u32_e64 v10, s[4:5], 2, v7
	v_add_co_u32_e64 v16, s[4:5], 1, v7
	v_cndmask_b32_e32 v5, v11, v5, vcc
	v_cmp_ne_u32_e32 vcc, 0, v8
	v_cndmask_b32_e32 v6, v16, v10, vcc
	v_cmp_ne_u32_e32 vcc, 0, v5
	v_cndmask_b32_e32 v5, v7, v6, vcc
	v_xor_b32_e32 v6, s36, v9
	v_xor_b32_e32 v5, v5, v6
	v_sub_co_u32_e32 v8, vcc, v5, v6
                                        ; implicit-def: $vgpr6_vgpr7
.LBB18_20:                              ;   in Loop: Header=BB18_10 Depth=1
	s_andn2_saveexec_b64 s[4:5], s[34:35]
	s_cbranch_execz .LBB18_8
; %bb.21:                               ;   in Loop: Header=BB18_10 Depth=1
	v_cvt_f32_u32_e32 v5, s33
	s_sub_i32 s34, 0, s33
	v_rcp_iflag_f32_e32 v5, v5
	v_mul_f32_e32 v5, 0x4f7ffffe, v5
	v_cvt_u32_f32_e32 v5, v5
	v_mul_lo_u32 v7, s34, v5
	v_mul_hi_u32 v7, v5, v7
	v_add_u32_e32 v5, v5, v7
	v_mul_hi_u32 v5, v6, v5
	v_mul_lo_u32 v7, v5, s33
	v_add_u32_e32 v8, 1, v5
	v_sub_u32_e32 v6, v6, v7
	v_subrev_u32_e32 v7, s33, v6
	v_cmp_le_u32_e32 vcc, s33, v6
	v_cndmask_b32_e32 v6, v6, v7, vcc
	v_cndmask_b32_e32 v5, v5, v8, vcc
	v_add_u32_e32 v7, 1, v5
	v_cmp_le_u32_e32 vcc, s33, v6
	v_cndmask_b32_e32 v8, v5, v7, vcc
	s_branch .LBB18_8
.LBB18_22:
	s_or_b64 exec, exec, s[6:7]
; %bb.23:
	s_waitcnt lgkmcnt(0)
	s_barrier
	s_and_saveexec_b64 s[2:3], s[0:1]
	s_cbranch_execz .LBB18_26
; %bb.24:
	v_mad_u64_u32 v[2:3], s[0:1], s20, v0, 0
	v_and_b32_e32 v6, 0xffff, v14
	v_mov_b32_e32 v9, s17
	v_mad_u64_u32 v[3:4], s[0:1], s21, v0, v[3:4]
	v_mad_u64_u32 v[4:5], s[0:1], s20, v6, 0
	v_lshlrev_b64 v[2:3], 3, v[2:3]
	v_mad_u64_u32 v[7:8], s[0:1], s21, v6, v[5:6]
	v_add_co_u32_e32 v2, vcc, s16, v2
	v_mov_b32_e32 v5, v7
	v_lshlrev_b64 v[4:5], 3, v[4:5]
	v_addc_co_u32_e32 v3, vcc, v9, v3, vcc
	v_lshlrev_b32_e32 v7, 3, v13
	s_mov_b64 s[0:1], 0
.LBB18_25:                              ; =>This Inner Loop Header: Depth=1
	ds_read_b64 v[8:9], v12
	v_add_co_u32_e32 v0, vcc, v0, v6
	v_addc_co_u32_e32 v1, vcc, 0, v1, vcc
	s_waitcnt lgkmcnt(0)
	global_atomic_add_x2 v[2:3], v[8:9], off
	v_cmp_le_i64_e32 vcc, s[18:19], v[0:1]
	v_add_u32_e32 v12, v12, v7
	s_or_b64 s[0:1], vcc, s[0:1]
	v_add_co_u32_e32 v2, vcc, v2, v4
	v_addc_co_u32_e32 v3, vcc, v3, v5, vcc
	s_andn2_b64 exec, exec, s[0:1]
	s_cbranch_execnz .LBB18_25
.LBB18_26:
	s_endpgm
	.section	.rodata,"a",@progbits
	.p2align	6, 0x0
	.amdhsa_kernel _ZN2at4cuda17kernelHistogram1DIlalLi1ELi2ELin1ELNS0_23CUDAHistogramMemoryTypeE0EZNS0_21CUDA_tensor_histogramIlaLb0EEEbNS_6TensorES4_S4_lNS_14AccumulateTypeIT0_Lb1EE4typeES8_NS0_13TensorArgTypeES9_S9_EUllE0_EEvNS0_6detail10TensorInfoIT_T1_EESF_NSC_IKS6_SE_EElS8_S8_SE_T6_
		.amdhsa_group_segment_fixed_size 0
		.amdhsa_private_segment_fixed_size 0
		.amdhsa_kernarg_size 1544
		.amdhsa_user_sgpr_count 6
		.amdhsa_user_sgpr_private_segment_buffer 1
		.amdhsa_user_sgpr_dispatch_ptr 0
		.amdhsa_user_sgpr_queue_ptr 0
		.amdhsa_user_sgpr_kernarg_segment_ptr 1
		.amdhsa_user_sgpr_dispatch_id 0
		.amdhsa_user_sgpr_flat_scratch_init 0
		.amdhsa_user_sgpr_private_segment_size 0
		.amdhsa_uses_dynamic_stack 0
		.amdhsa_system_sgpr_private_segment_wavefront_offset 0
		.amdhsa_system_sgpr_workgroup_id_x 1
		.amdhsa_system_sgpr_workgroup_id_y 0
		.amdhsa_system_sgpr_workgroup_id_z 0
		.amdhsa_system_sgpr_workgroup_info 0
		.amdhsa_system_vgpr_workitem_id 0
		.amdhsa_next_free_vgpr 24
		.amdhsa_next_free_sgpr 52
		.amdhsa_reserve_vcc 1
		.amdhsa_reserve_flat_scratch 0
		.amdhsa_float_round_mode_32 0
		.amdhsa_float_round_mode_16_64 0
		.amdhsa_float_denorm_mode_32 3
		.amdhsa_float_denorm_mode_16_64 3
		.amdhsa_dx10_clamp 1
		.amdhsa_ieee_mode 1
		.amdhsa_fp16_overflow 0
		.amdhsa_exception_fp_ieee_invalid_op 0
		.amdhsa_exception_fp_denorm_src 0
		.amdhsa_exception_fp_ieee_div_zero 0
		.amdhsa_exception_fp_ieee_overflow 0
		.amdhsa_exception_fp_ieee_underflow 0
		.amdhsa_exception_fp_ieee_inexact 0
		.amdhsa_exception_int_div_zero 0
	.end_amdhsa_kernel
	.section	.text._ZN2at4cuda17kernelHistogram1DIlalLi1ELi2ELin1ELNS0_23CUDAHistogramMemoryTypeE0EZNS0_21CUDA_tensor_histogramIlaLb0EEEbNS_6TensorES4_S4_lNS_14AccumulateTypeIT0_Lb1EE4typeES8_NS0_13TensorArgTypeES9_S9_EUllE0_EEvNS0_6detail10TensorInfoIT_T1_EESF_NSC_IKS6_SE_EElS8_S8_SE_T6_,"axG",@progbits,_ZN2at4cuda17kernelHistogram1DIlalLi1ELi2ELin1ELNS0_23CUDAHistogramMemoryTypeE0EZNS0_21CUDA_tensor_histogramIlaLb0EEEbNS_6TensorES4_S4_lNS_14AccumulateTypeIT0_Lb1EE4typeES8_NS0_13TensorArgTypeES9_S9_EUllE0_EEvNS0_6detail10TensorInfoIT_T1_EESF_NSC_IKS6_SE_EElS8_S8_SE_T6_,comdat
.Lfunc_end18:
	.size	_ZN2at4cuda17kernelHistogram1DIlalLi1ELi2ELin1ELNS0_23CUDAHistogramMemoryTypeE0EZNS0_21CUDA_tensor_histogramIlaLb0EEEbNS_6TensorES4_S4_lNS_14AccumulateTypeIT0_Lb1EE4typeES8_NS0_13TensorArgTypeES9_S9_EUllE0_EEvNS0_6detail10TensorInfoIT_T1_EESF_NSC_IKS6_SE_EElS8_S8_SE_T6_, .Lfunc_end18-_ZN2at4cuda17kernelHistogram1DIlalLi1ELi2ELin1ELNS0_23CUDAHistogramMemoryTypeE0EZNS0_21CUDA_tensor_histogramIlaLb0EEEbNS_6TensorES4_S4_lNS_14AccumulateTypeIT0_Lb1EE4typeES8_NS0_13TensorArgTypeES9_S9_EUllE0_EEvNS0_6detail10TensorInfoIT_T1_EESF_NSC_IKS6_SE_EElS8_S8_SE_T6_
                                        ; -- End function
	.set _ZN2at4cuda17kernelHistogram1DIlalLi1ELi2ELin1ELNS0_23CUDAHistogramMemoryTypeE0EZNS0_21CUDA_tensor_histogramIlaLb0EEEbNS_6TensorES4_S4_lNS_14AccumulateTypeIT0_Lb1EE4typeES8_NS0_13TensorArgTypeES9_S9_EUllE0_EEvNS0_6detail10TensorInfoIT_T1_EESF_NSC_IKS6_SE_EElS8_S8_SE_T6_.num_vgpr, 24
	.set _ZN2at4cuda17kernelHistogram1DIlalLi1ELi2ELin1ELNS0_23CUDAHistogramMemoryTypeE0EZNS0_21CUDA_tensor_histogramIlaLb0EEEbNS_6TensorES4_S4_lNS_14AccumulateTypeIT0_Lb1EE4typeES8_NS0_13TensorArgTypeES9_S9_EUllE0_EEvNS0_6detail10TensorInfoIT_T1_EESF_NSC_IKS6_SE_EElS8_S8_SE_T6_.num_agpr, 0
	.set _ZN2at4cuda17kernelHistogram1DIlalLi1ELi2ELin1ELNS0_23CUDAHistogramMemoryTypeE0EZNS0_21CUDA_tensor_histogramIlaLb0EEEbNS_6TensorES4_S4_lNS_14AccumulateTypeIT0_Lb1EE4typeES8_NS0_13TensorArgTypeES9_S9_EUllE0_EEvNS0_6detail10TensorInfoIT_T1_EESF_NSC_IKS6_SE_EElS8_S8_SE_T6_.numbered_sgpr, 52
	.set _ZN2at4cuda17kernelHistogram1DIlalLi1ELi2ELin1ELNS0_23CUDAHistogramMemoryTypeE0EZNS0_21CUDA_tensor_histogramIlaLb0EEEbNS_6TensorES4_S4_lNS_14AccumulateTypeIT0_Lb1EE4typeES8_NS0_13TensorArgTypeES9_S9_EUllE0_EEvNS0_6detail10TensorInfoIT_T1_EESF_NSC_IKS6_SE_EElS8_S8_SE_T6_.num_named_barrier, 0
	.set _ZN2at4cuda17kernelHistogram1DIlalLi1ELi2ELin1ELNS0_23CUDAHistogramMemoryTypeE0EZNS0_21CUDA_tensor_histogramIlaLb0EEEbNS_6TensorES4_S4_lNS_14AccumulateTypeIT0_Lb1EE4typeES8_NS0_13TensorArgTypeES9_S9_EUllE0_EEvNS0_6detail10TensorInfoIT_T1_EESF_NSC_IKS6_SE_EElS8_S8_SE_T6_.private_seg_size, 0
	.set _ZN2at4cuda17kernelHistogram1DIlalLi1ELi2ELin1ELNS0_23CUDAHistogramMemoryTypeE0EZNS0_21CUDA_tensor_histogramIlaLb0EEEbNS_6TensorES4_S4_lNS_14AccumulateTypeIT0_Lb1EE4typeES8_NS0_13TensorArgTypeES9_S9_EUllE0_EEvNS0_6detail10TensorInfoIT_T1_EESF_NSC_IKS6_SE_EElS8_S8_SE_T6_.uses_vcc, 1
	.set _ZN2at4cuda17kernelHistogram1DIlalLi1ELi2ELin1ELNS0_23CUDAHistogramMemoryTypeE0EZNS0_21CUDA_tensor_histogramIlaLb0EEEbNS_6TensorES4_S4_lNS_14AccumulateTypeIT0_Lb1EE4typeES8_NS0_13TensorArgTypeES9_S9_EUllE0_EEvNS0_6detail10TensorInfoIT_T1_EESF_NSC_IKS6_SE_EElS8_S8_SE_T6_.uses_flat_scratch, 0
	.set _ZN2at4cuda17kernelHistogram1DIlalLi1ELi2ELin1ELNS0_23CUDAHistogramMemoryTypeE0EZNS0_21CUDA_tensor_histogramIlaLb0EEEbNS_6TensorES4_S4_lNS_14AccumulateTypeIT0_Lb1EE4typeES8_NS0_13TensorArgTypeES9_S9_EUllE0_EEvNS0_6detail10TensorInfoIT_T1_EESF_NSC_IKS6_SE_EElS8_S8_SE_T6_.has_dyn_sized_stack, 0
	.set _ZN2at4cuda17kernelHistogram1DIlalLi1ELi2ELin1ELNS0_23CUDAHistogramMemoryTypeE0EZNS0_21CUDA_tensor_histogramIlaLb0EEEbNS_6TensorES4_S4_lNS_14AccumulateTypeIT0_Lb1EE4typeES8_NS0_13TensorArgTypeES9_S9_EUllE0_EEvNS0_6detail10TensorInfoIT_T1_EESF_NSC_IKS6_SE_EElS8_S8_SE_T6_.has_recursion, 0
	.set _ZN2at4cuda17kernelHistogram1DIlalLi1ELi2ELin1ELNS0_23CUDAHistogramMemoryTypeE0EZNS0_21CUDA_tensor_histogramIlaLb0EEEbNS_6TensorES4_S4_lNS_14AccumulateTypeIT0_Lb1EE4typeES8_NS0_13TensorArgTypeES9_S9_EUllE0_EEvNS0_6detail10TensorInfoIT_T1_EESF_NSC_IKS6_SE_EElS8_S8_SE_T6_.has_indirect_call, 0
	.section	.AMDGPU.csdata,"",@progbits
; Kernel info:
; codeLenInByte = 2344
; TotalNumSgprs: 56
; NumVgprs: 24
; ScratchSize: 0
; MemoryBound: 0
; FloatMode: 240
; IeeeMode: 1
; LDSByteSize: 0 bytes/workgroup (compile time only)
; SGPRBlocks: 6
; VGPRBlocks: 5
; NumSGPRsForWavesPerEU: 56
; NumVGPRsForWavesPerEU: 24
; Occupancy: 10
; WaveLimiterHint : 1
; COMPUTE_PGM_RSRC2:SCRATCH_EN: 0
; COMPUTE_PGM_RSRC2:USER_SGPR: 6
; COMPUTE_PGM_RSRC2:TRAP_HANDLER: 0
; COMPUTE_PGM_RSRC2:TGID_X_EN: 1
; COMPUTE_PGM_RSRC2:TGID_Y_EN: 0
; COMPUTE_PGM_RSRC2:TGID_Z_EN: 0
; COMPUTE_PGM_RSRC2:TIDIG_COMP_CNT: 0
	.section	.text._ZN2at4cuda17kernelHistogram1DIlalLi1ELi2ELin1ELNS0_23CUDAHistogramMemoryTypeE1EZNS0_21CUDA_tensor_histogramIlaLb0EEEbNS_6TensorES4_S4_lNS_14AccumulateTypeIT0_Lb1EE4typeES8_NS0_13TensorArgTypeES9_S9_EUllE0_EEvNS0_6detail10TensorInfoIT_T1_EESF_NSC_IKS6_SE_EElS8_S8_SE_T6_,"axG",@progbits,_ZN2at4cuda17kernelHistogram1DIlalLi1ELi2ELin1ELNS0_23CUDAHistogramMemoryTypeE1EZNS0_21CUDA_tensor_histogramIlaLb0EEEbNS_6TensorES4_S4_lNS_14AccumulateTypeIT0_Lb1EE4typeES8_NS0_13TensorArgTypeES9_S9_EUllE0_EEvNS0_6detail10TensorInfoIT_T1_EESF_NSC_IKS6_SE_EElS8_S8_SE_T6_,comdat
	.protected	_ZN2at4cuda17kernelHistogram1DIlalLi1ELi2ELin1ELNS0_23CUDAHistogramMemoryTypeE1EZNS0_21CUDA_tensor_histogramIlaLb0EEEbNS_6TensorES4_S4_lNS_14AccumulateTypeIT0_Lb1EE4typeES8_NS0_13TensorArgTypeES9_S9_EUllE0_EEvNS0_6detail10TensorInfoIT_T1_EESF_NSC_IKS6_SE_EElS8_S8_SE_T6_ ; -- Begin function _ZN2at4cuda17kernelHistogram1DIlalLi1ELi2ELin1ELNS0_23CUDAHistogramMemoryTypeE1EZNS0_21CUDA_tensor_histogramIlaLb0EEEbNS_6TensorES4_S4_lNS_14AccumulateTypeIT0_Lb1EE4typeES8_NS0_13TensorArgTypeES9_S9_EUllE0_EEvNS0_6detail10TensorInfoIT_T1_EESF_NSC_IKS6_SE_EElS8_S8_SE_T6_
	.globl	_ZN2at4cuda17kernelHistogram1DIlalLi1ELi2ELin1ELNS0_23CUDAHistogramMemoryTypeE1EZNS0_21CUDA_tensor_histogramIlaLb0EEEbNS_6TensorES4_S4_lNS_14AccumulateTypeIT0_Lb1EE4typeES8_NS0_13TensorArgTypeES9_S9_EUllE0_EEvNS0_6detail10TensorInfoIT_T1_EESF_NSC_IKS6_SE_EElS8_S8_SE_T6_
	.p2align	8
	.type	_ZN2at4cuda17kernelHistogram1DIlalLi1ELi2ELin1ELNS0_23CUDAHistogramMemoryTypeE1EZNS0_21CUDA_tensor_histogramIlaLb0EEEbNS_6TensorES4_S4_lNS_14AccumulateTypeIT0_Lb1EE4typeES8_NS0_13TensorArgTypeES9_S9_EUllE0_EEvNS0_6detail10TensorInfoIT_T1_EESF_NSC_IKS6_SE_EElS8_S8_SE_T6_,@function
_ZN2at4cuda17kernelHistogram1DIlalLi1ELi2ELin1ELNS0_23CUDAHistogramMemoryTypeE1EZNS0_21CUDA_tensor_histogramIlaLb0EEEbNS_6TensorES4_S4_lNS_14AccumulateTypeIT0_Lb1EE4typeES8_NS0_13TensorArgTypeES9_S9_EUllE0_EEvNS0_6detail10TensorInfoIT_T1_EESF_NSC_IKS6_SE_EElS8_S8_SE_T6_: ; @_ZN2at4cuda17kernelHistogram1DIlalLi1ELi2ELin1ELNS0_23CUDAHistogramMemoryTypeE1EZNS0_21CUDA_tensor_histogramIlaLb0EEEbNS_6TensorES4_S4_lNS_14AccumulateTypeIT0_Lb1EE4typeES8_NS0_13TensorArgTypeES9_S9_EUllE0_EEvNS0_6detail10TensorInfoIT_T1_EESF_NSC_IKS6_SE_EElS8_S8_SE_T6_
; %bb.0:
	s_load_dword s2, s[4:5], 0x514
	s_load_dwordx8 s[8:15], s[4:5], 0x4e0
	s_add_u32 s0, s4, 0x508
	s_addc_u32 s1, s5, 0
	v_mov_b32_e32 v2, 0
	s_waitcnt lgkmcnt(0)
	s_and_b32 s2, s2, 0xffff
	s_mul_i32 s6, s6, s2
	v_add_u32_e32 v0, s6, v0
	v_mov_b32_e32 v1, v2
	v_cmp_gt_i64_e32 vcc, s[14:15], v[0:1]
	s_and_saveexec_b64 s[6:7], vcc
	s_cbranch_execz .LBB19_16
; %bb.1:
	s_load_dword s22, s[4:5], 0x4d8
	s_load_dword s3, s[0:1], 0x0
	s_add_u32 s23, s4, 0x340
	s_addc_u32 s24, s5, 0
	s_load_dwordx2 s[6:7], s[4:5], 0x0
	s_load_dwordx2 s[16:17], s[4:5], 0xd0
	;; [unrolled: 1-line block ×4, first 2 shown]
	s_waitcnt lgkmcnt(0)
	s_cmp_gt_i32 s22, 1
	s_cselect_b64 s[0:1], -1, 0
	s_sub_u32 s33, s12, s10
	s_subb_u32 s36, s13, s11
	s_mul_i32 s37, s3, s2
	s_mov_b32 s3, 0
	s_add_i32 s2, s22, -1
	s_add_i32 s38, s22, 1
	s_lshl_b64 s[2:3], s[2:3], 3
	s_add_u32 s2, s23, s2
	s_addc_u32 s3, s24, s3
	s_add_u32 s4, s2, 8
	v_cndmask_b32_e64 v3, 0, 1, s[0:1]
	v_mov_b32_e32 v4, 1
	s_addc_u32 s5, s3, 0
	s_mov_b64 s[22:23], 0
	v_mov_b32_e32 v5, 0
	v_cmp_ne_u32_e64 s[0:1], 1, v3
	s_branch .LBB19_4
.LBB19_2:                               ;   in Loop: Header=BB19_4 Depth=1
	s_or_b64 exec, exec, s[2:3]
	v_ashrrev_i32_e32 v9, 31, v8
	v_cmp_eq_u64_e32 vcc, s[8:9], v[8:9]
	v_cndmask_b32_e64 v3, 0, 1, vcc
	v_sub_co_u32_e32 v3, vcc, v8, v3
	v_subbrev_co_u32_e32 v6, vcc, 0, v9, vcc
	v_mul_lo_u32 v8, v6, s16
	v_mul_lo_u32 v9, v3, s17
	v_mad_u64_u32 v[6:7], s[2:3], v3, s16, 0
	v_mov_b32_e32 v3, s7
	v_add3_u32 v7, v7, v9, v8
	v_lshlrev_b64 v[6:7], 3, v[6:7]
	v_add_co_u32_e32 v6, vcc, s6, v6
	v_addc_co_u32_e32 v7, vcc, v3, v7, vcc
	global_atomic_add_x2 v[6:7], v[4:5], off
.LBB19_3:                               ;   in Loop: Header=BB19_4 Depth=1
	s_or_b64 exec, exec, s[24:25]
	v_add_co_u32_e32 v0, vcc, s37, v0
	v_addc_co_u32_e32 v1, vcc, 0, v1, vcc
	v_cmp_le_i64_e32 vcc, s[14:15], v[0:1]
	s_or_b64 s[22:23], vcc, s[22:23]
	s_andn2_b64 exec, exec, s[22:23]
	s_cbranch_execz .LBB19_16
.LBB19_4:                               ; =>This Loop Header: Depth=1
                                        ;     Child Loop BB19_5 Depth 2
	v_mov_b32_e32 v6, 0
	v_mov_b32_e32 v9, v1
	;; [unrolled: 1-line block ×4, first 2 shown]
	s_and_b64 vcc, exec, s[0:1]
	s_mov_b64 s[24:25], s[4:5]
	s_mov_b32 s39, s38
	v_mov_b32_e32 v8, v0
	v_mov_b32_e32 v10, v0
	s_cbranch_vccnz .LBB19_11
.LBB19_5:                               ;   Parent Loop BB19_4 Depth=1
                                        ; =>  This Inner Loop Header: Depth=2
	s_load_dwordx2 s[26:27], s[24:25], 0x0
                                        ; implicit-def: $vgpr10_vgpr11
	s_waitcnt lgkmcnt(0)
	v_or_b32_e32 v3, s27, v9
	v_cmp_ne_u64_e32 vcc, 0, v[2:3]
	s_and_saveexec_b64 s[2:3], vcc
	s_xor_b64 s[28:29], exec, s[2:3]
	s_cbranch_execz .LBB19_7
; %bb.6:                                ;   in Loop: Header=BB19_5 Depth=2
	s_ashr_i32 s30, s27, 31
	s_add_u32 s2, s26, s30
	s_mov_b32 s31, s30
	s_addc_u32 s3, s27, s30
	s_xor_b64 s[34:35], s[2:3], s[30:31]
	v_cvt_f32_u32_e32 v3, s34
	v_cvt_f32_u32_e32 v10, s35
	s_sub_u32 s31, 0, s34
	s_subb_u32 s40, 0, s35
	v_mac_f32_e32 v3, 0x4f800000, v10
	v_rcp_f32_e32 v3, v3
	v_mul_f32_e32 v3, 0x5f7ffffc, v3
	v_mul_f32_e32 v10, 0x2f800000, v3
	v_trunc_f32_e32 v10, v10
	v_mac_f32_e32 v3, 0xcf800000, v10
	v_cvt_u32_f32_e32 v10, v10
	v_cvt_u32_f32_e32 v3, v3
	v_readfirstlane_b32 s41, v10
	v_readfirstlane_b32 s2, v3
	s_mul_i32 s3, s31, s41
	s_mul_hi_u32 s43, s31, s2
	s_mul_i32 s42, s40, s2
	s_add_i32 s3, s43, s3
	s_add_i32 s3, s3, s42
	s_mul_i32 s44, s31, s2
	s_mul_i32 s43, s2, s3
	s_mul_hi_u32 s45, s2, s44
	s_mul_hi_u32 s42, s2, s3
	s_add_u32 s43, s45, s43
	s_addc_u32 s42, 0, s42
	s_mul_hi_u32 s46, s41, s44
	s_mul_i32 s44, s41, s44
	s_add_u32 s43, s43, s44
	s_mul_hi_u32 s45, s41, s3
	s_addc_u32 s42, s42, s46
	s_addc_u32 s43, s45, 0
	s_mul_i32 s3, s41, s3
	s_add_u32 s3, s42, s3
	s_addc_u32 s42, 0, s43
	s_add_u32 s43, s2, s3
	s_cselect_b64 s[2:3], -1, 0
	s_cmp_lg_u64 s[2:3], 0
	s_addc_u32 s41, s41, s42
	s_mul_i32 s2, s31, s41
	s_mul_hi_u32 s3, s31, s43
	s_add_i32 s2, s3, s2
	s_mul_i32 s40, s40, s43
	s_add_i32 s2, s2, s40
	s_mul_i32 s31, s31, s43
	s_mul_hi_u32 s40, s41, s31
	s_mul_i32 s42, s41, s31
	s_mul_i32 s45, s43, s2
	s_mul_hi_u32 s31, s43, s31
	s_mul_hi_u32 s44, s43, s2
	s_add_u32 s31, s31, s45
	s_addc_u32 s44, 0, s44
	s_add_u32 s31, s31, s42
	s_mul_hi_u32 s3, s41, s2
	s_addc_u32 s31, s44, s40
	s_addc_u32 s3, s3, 0
	s_mul_i32 s2, s41, s2
	s_add_u32 s2, s31, s2
	s_addc_u32 s31, 0, s3
	s_add_u32 s40, s43, s2
	s_cselect_b64 s[2:3], -1, 0
	v_ashrrev_i32_e32 v3, 31, v9
	s_cmp_lg_u64 s[2:3], 0
	v_add_co_u32_e32 v10, vcc, v8, v3
	s_addc_u32 s31, s41, s31
	v_xor_b32_e32 v14, v10, v3
	v_mad_u64_u32 v[10:11], s[2:3], v14, s31, 0
	v_mul_hi_u32 v13, v14, s40
	v_addc_co_u32_e32 v12, vcc, v9, v3, vcc
	v_xor_b32_e32 v15, v12, v3
	v_add_co_u32_e32 v16, vcc, v13, v10
	v_addc_co_u32_e32 v17, vcc, 0, v11, vcc
	v_mad_u64_u32 v[10:11], s[2:3], v15, s40, 0
	v_mad_u64_u32 v[12:13], s[2:3], v15, s31, 0
	v_add_co_u32_e32 v10, vcc, v16, v10
	v_addc_co_u32_e32 v10, vcc, v17, v11, vcc
	v_addc_co_u32_e32 v11, vcc, 0, v13, vcc
	v_add_co_u32_e32 v12, vcc, v10, v12
	v_addc_co_u32_e32 v13, vcc, 0, v11, vcc
	v_mul_lo_u32 v16, s35, v12
	v_mul_lo_u32 v17, s34, v13
	v_mad_u64_u32 v[10:11], s[2:3], s34, v12, 0
	v_xor_b32_e32 v3, s30, v3
	v_add3_u32 v11, v11, v17, v16
	v_sub_u32_e32 v16, v15, v11
	v_mov_b32_e32 v17, s35
	v_sub_co_u32_e32 v10, vcc, v14, v10
	v_subb_co_u32_e64 v14, s[2:3], v16, v17, vcc
	v_subrev_co_u32_e64 v16, s[2:3], s34, v10
	v_subbrev_co_u32_e64 v14, s[2:3], 0, v14, s[2:3]
	v_cmp_le_u32_e64 s[2:3], s35, v14
	v_cndmask_b32_e64 v17, 0, -1, s[2:3]
	v_cmp_le_u32_e64 s[2:3], s34, v16
	v_cndmask_b32_e64 v16, 0, -1, s[2:3]
	v_cmp_eq_u32_e64 s[2:3], s35, v14
	v_cndmask_b32_e64 v14, v17, v16, s[2:3]
	v_add_co_u32_e64 v16, s[2:3], 2, v12
	v_subb_co_u32_e32 v11, vcc, v15, v11, vcc
	v_addc_co_u32_e64 v17, s[2:3], 0, v13, s[2:3]
	v_cmp_le_u32_e32 vcc, s35, v11
	v_add_co_u32_e64 v18, s[2:3], 1, v12
	v_cndmask_b32_e64 v15, 0, -1, vcc
	v_cmp_le_u32_e32 vcc, s34, v10
	v_addc_co_u32_e64 v19, s[2:3], 0, v13, s[2:3]
	v_cndmask_b32_e64 v10, 0, -1, vcc
	v_cmp_eq_u32_e32 vcc, s35, v11
	v_cmp_ne_u32_e64 s[2:3], 0, v14
	v_cndmask_b32_e32 v10, v15, v10, vcc
	v_cndmask_b32_e64 v14, v19, v17, s[2:3]
	v_cmp_ne_u32_e32 vcc, 0, v10
	v_cndmask_b32_e64 v11, v18, v16, s[2:3]
	v_cndmask_b32_e32 v10, v13, v14, vcc
	v_cndmask_b32_e32 v11, v12, v11, vcc
	v_xor_b32_e32 v12, v10, v3
	v_xor_b32_e32 v10, v11, v3
	v_sub_co_u32_e32 v10, vcc, v10, v3
	v_subb_co_u32_e32 v11, vcc, v12, v3, vcc
.LBB19_7:                               ;   in Loop: Header=BB19_5 Depth=2
	s_andn2_saveexec_b64 s[2:3], s[28:29]
	s_cbranch_execz .LBB19_9
; %bb.8:                                ;   in Loop: Header=BB19_5 Depth=2
	v_cvt_f32_u32_e32 v3, s26
	s_sub_i32 s28, 0, s26
	v_rcp_iflag_f32_e32 v3, v3
	v_mul_f32_e32 v3, 0x4f7ffffe, v3
	v_cvt_u32_f32_e32 v3, v3
	v_mul_lo_u32 v10, s28, v3
	v_mul_hi_u32 v10, v3, v10
	v_add_u32_e32 v3, v3, v10
	v_mul_hi_u32 v3, v8, v3
	v_mul_lo_u32 v10, v3, s26
	v_add_u32_e32 v11, 1, v3
	v_sub_u32_e32 v10, v8, v10
	v_subrev_u32_e32 v12, s26, v10
	v_cmp_le_u32_e32 vcc, s26, v10
	v_cndmask_b32_e32 v10, v10, v12, vcc
	v_cndmask_b32_e32 v3, v3, v11, vcc
	v_add_u32_e32 v11, 1, v3
	v_cmp_le_u32_e32 vcc, s26, v10
	v_cndmask_b32_e32 v10, v3, v11, vcc
	v_mov_b32_e32 v11, v2
.LBB19_9:                               ;   in Loop: Header=BB19_5 Depth=2
	s_or_b64 exec, exec, s[2:3]
	v_mul_lo_u32 v3, v11, s26
	v_mul_lo_u32 v14, v10, s27
	v_mad_u64_u32 v[12:13], s[2:3], v10, s26, 0
	s_load_dwordx2 s[2:3], s[24:25], 0xc8
	s_add_i32 s39, s39, -1
	v_add3_u32 v3, v13, v14, v3
	v_sub_co_u32_e32 v8, vcc, v8, v12
	v_subb_co_u32_e32 v3, vcc, v9, v3, vcc
	s_waitcnt lgkmcnt(0)
	v_mul_lo_u32 v3, s2, v3
	v_mul_lo_u32 v9, s3, v8
	v_mad_u64_u32 v[6:7], s[2:3], s2, v8, v[6:7]
	s_add_u32 s24, s24, -8
	s_addc_u32 s25, s25, -1
	s_cmp_gt_u32 s39, 2
	v_add3_u32 v7, v9, v7, v3
	s_cbranch_scc0 .LBB19_11
; %bb.10:                               ;   in Loop: Header=BB19_5 Depth=2
	v_mov_b32_e32 v8, v10
	v_mov_b32_e32 v9, v11
	s_branch .LBB19_5
.LBB19_11:                              ;   in Loop: Header=BB19_4 Depth=1
	v_mov_b32_e32 v8, s20
	v_mov_b32_e32 v9, s21
	v_mul_lo_u32 v3, s18, v11
	v_mul_lo_u32 v11, s19, v10
	v_mad_u64_u32 v[8:9], s[2:3], s18, v10, v[8:9]
	v_add3_u32 v3, v11, v9, v3
	v_add_co_u32_e32 v6, vcc, v8, v6
	v_addc_co_u32_e32 v7, vcc, v3, v7, vcc
	global_load_sbyte v3, v[6:7], off
	s_waitcnt vmcnt(0)
	v_bfe_i32 v6, v3, 0, 16
	v_ashrrev_i32_e32 v7, 31, v6
	v_cmp_le_i64_e32 vcc, s[10:11], v[6:7]
	v_cmp_ge_i64_e64 s[2:3], s[12:13], v[6:7]
	s_and_b64 s[2:3], vcc, s[2:3]
	s_and_saveexec_b64 s[24:25], s[2:3]
	s_cbranch_execz .LBB19_3
; %bb.12:                               ;   in Loop: Header=BB19_4 Depth=1
	v_mov_b32_e32 v3, s11
	v_subrev_co_u32_e32 v6, vcc, s10, v6
	v_subb_co_u32_e32 v3, vcc, v7, v3, vcc
	v_mul_lo_u32 v3, v3, s8
	v_mul_lo_u32 v8, v6, s9
	v_mad_u64_u32 v[6:7], s[2:3], v6, s8, 0
	v_add3_u32 v7, v7, v8, v3
	v_or_b32_e32 v3, s36, v7
	v_cmp_ne_u64_e32 vcc, 0, v[2:3]
                                        ; implicit-def: $vgpr8_vgpr9
	s_and_saveexec_b64 s[2:3], vcc
	s_xor_b64 s[26:27], exec, s[2:3]
	s_cbranch_execz .LBB19_14
; %bb.13:                               ;   in Loop: Header=BB19_4 Depth=1
	s_ashr_i32 s28, s36, 31
	s_add_u32 s2, s33, s28
	s_mov_b32 s29, s28
	s_addc_u32 s3, s36, s28
	s_xor_b64 s[30:31], s[2:3], s[28:29]
	v_cvt_f32_u32_e32 v3, s30
	v_cvt_f32_u32_e32 v8, s31
	s_sub_u32 s29, 0, s30
	s_subb_u32 s34, 0, s31
	v_mac_f32_e32 v3, 0x4f800000, v8
	v_rcp_f32_e32 v3, v3
	v_mul_f32_e32 v3, 0x5f7ffffc, v3
	v_mul_f32_e32 v8, 0x2f800000, v3
	v_trunc_f32_e32 v8, v8
	v_mac_f32_e32 v3, 0xcf800000, v8
	v_cvt_u32_f32_e32 v8, v8
	v_cvt_u32_f32_e32 v3, v3
	v_readfirstlane_b32 s35, v8
	v_readfirstlane_b32 s2, v3
	s_mul_i32 s3, s29, s35
	s_mul_hi_u32 s40, s29, s2
	s_mul_i32 s39, s34, s2
	s_add_i32 s3, s40, s3
	s_add_i32 s3, s3, s39
	s_mul_i32 s41, s29, s2
	s_mul_i32 s40, s2, s3
	s_mul_hi_u32 s42, s2, s41
	s_mul_hi_u32 s39, s2, s3
	s_add_u32 s40, s42, s40
	s_addc_u32 s39, 0, s39
	s_mul_hi_u32 s43, s35, s41
	s_mul_i32 s41, s35, s41
	s_add_u32 s40, s40, s41
	s_mul_hi_u32 s42, s35, s3
	s_addc_u32 s39, s39, s43
	s_addc_u32 s40, s42, 0
	s_mul_i32 s3, s35, s3
	s_add_u32 s3, s39, s3
	s_addc_u32 s39, 0, s40
	s_add_u32 s40, s2, s3
	s_cselect_b64 s[2:3], -1, 0
	s_cmp_lg_u64 s[2:3], 0
	s_addc_u32 s35, s35, s39
	s_mul_i32 s2, s29, s35
	s_mul_hi_u32 s3, s29, s40
	s_add_i32 s2, s3, s2
	s_mul_i32 s34, s34, s40
	s_add_i32 s2, s2, s34
	s_mul_i32 s29, s29, s40
	s_mul_hi_u32 s34, s35, s29
	s_mul_i32 s39, s35, s29
	s_mul_i32 s42, s40, s2
	s_mul_hi_u32 s29, s40, s29
	s_mul_hi_u32 s41, s40, s2
	s_add_u32 s29, s29, s42
	s_addc_u32 s41, 0, s41
	s_add_u32 s29, s29, s39
	s_mul_hi_u32 s3, s35, s2
	s_addc_u32 s29, s41, s34
	s_addc_u32 s3, s3, 0
	s_mul_i32 s2, s35, s2
	s_add_u32 s2, s29, s2
	s_addc_u32 s29, 0, s3
	s_add_u32 s34, s40, s2
	s_cselect_b64 s[2:3], -1, 0
	v_ashrrev_i32_e32 v3, 31, v7
	s_cmp_lg_u64 s[2:3], 0
	v_add_co_u32_e32 v6, vcc, v6, v3
	s_addc_u32 s29, s35, s29
	v_xor_b32_e32 v10, v6, v3
	v_addc_co_u32_e32 v8, vcc, v7, v3, vcc
	v_mad_u64_u32 v[6:7], s[2:3], v10, s29, 0
	v_mul_hi_u32 v9, v10, s34
	v_xor_b32_e32 v11, v8, v3
	v_xor_b32_e32 v3, s28, v3
	v_add_co_u32_e32 v12, vcc, v9, v6
	v_addc_co_u32_e32 v13, vcc, 0, v7, vcc
	v_mad_u64_u32 v[6:7], s[2:3], v11, s34, 0
	v_mad_u64_u32 v[8:9], s[2:3], v11, s29, 0
	v_add_co_u32_e32 v6, vcc, v12, v6
	v_addc_co_u32_e32 v6, vcc, v13, v7, vcc
	v_addc_co_u32_e32 v7, vcc, 0, v9, vcc
	v_add_co_u32_e32 v8, vcc, v6, v8
	v_addc_co_u32_e32 v6, vcc, 0, v7, vcc
	v_mul_lo_u32 v9, s31, v8
	v_mul_lo_u32 v12, s30, v6
	v_mad_u64_u32 v[6:7], s[2:3], s30, v8, 0
	v_add3_u32 v7, v7, v12, v9
	v_sub_u32_e32 v9, v11, v7
	v_mov_b32_e32 v12, s31
	v_sub_co_u32_e32 v6, vcc, v10, v6
	v_subb_co_u32_e64 v9, s[2:3], v9, v12, vcc
	v_subrev_co_u32_e64 v10, s[2:3], s30, v6
	v_subbrev_co_u32_e64 v9, s[2:3], 0, v9, s[2:3]
	v_cmp_le_u32_e64 s[2:3], s31, v9
	v_subb_co_u32_e32 v7, vcc, v11, v7, vcc
	v_cndmask_b32_e64 v12, 0, -1, s[2:3]
	v_cmp_le_u32_e64 s[2:3], s30, v10
	v_cmp_le_u32_e32 vcc, s31, v7
	v_cndmask_b32_e64 v10, 0, -1, s[2:3]
	v_cmp_eq_u32_e64 s[2:3], s31, v9
	v_cndmask_b32_e64 v11, 0, -1, vcc
	v_cmp_le_u32_e32 vcc, s30, v6
	v_cndmask_b32_e64 v9, v12, v10, s[2:3]
	v_cndmask_b32_e64 v6, 0, -1, vcc
	v_cmp_eq_u32_e32 vcc, s31, v7
	v_add_co_u32_e64 v10, s[2:3], 2, v8
	v_add_co_u32_e64 v12, s[2:3], 1, v8
	v_cndmask_b32_e32 v6, v11, v6, vcc
	v_cmp_ne_u32_e32 vcc, 0, v9
	v_cndmask_b32_e32 v7, v12, v10, vcc
	v_cmp_ne_u32_e32 vcc, 0, v6
	v_cndmask_b32_e32 v6, v8, v7, vcc
	v_xor_b32_e32 v6, v6, v3
	v_sub_co_u32_e32 v8, vcc, v6, v3
                                        ; implicit-def: $vgpr6_vgpr7
.LBB19_14:                              ;   in Loop: Header=BB19_4 Depth=1
	s_andn2_saveexec_b64 s[2:3], s[26:27]
	s_cbranch_execz .LBB19_2
; %bb.15:                               ;   in Loop: Header=BB19_4 Depth=1
	v_cvt_f32_u32_e32 v3, s33
	s_sub_i32 s26, 0, s33
	v_rcp_iflag_f32_e32 v3, v3
	v_mul_f32_e32 v3, 0x4f7ffffe, v3
	v_cvt_u32_f32_e32 v3, v3
	v_mul_lo_u32 v7, s26, v3
	v_mul_hi_u32 v7, v3, v7
	v_add_u32_e32 v3, v3, v7
	v_mul_hi_u32 v3, v6, v3
	v_mul_lo_u32 v7, v3, s33
	v_add_u32_e32 v8, 1, v3
	v_sub_u32_e32 v6, v6, v7
	v_subrev_u32_e32 v7, s33, v6
	v_cmp_le_u32_e32 vcc, s33, v6
	v_cndmask_b32_e32 v6, v6, v7, vcc
	v_cndmask_b32_e32 v3, v3, v8, vcc
	v_add_u32_e32 v7, 1, v3
	v_cmp_le_u32_e32 vcc, s33, v6
	v_cndmask_b32_e32 v8, v3, v7, vcc
	s_branch .LBB19_2
.LBB19_16:
	s_endpgm
	.section	.rodata,"a",@progbits
	.p2align	6, 0x0
	.amdhsa_kernel _ZN2at4cuda17kernelHistogram1DIlalLi1ELi2ELin1ELNS0_23CUDAHistogramMemoryTypeE1EZNS0_21CUDA_tensor_histogramIlaLb0EEEbNS_6TensorES4_S4_lNS_14AccumulateTypeIT0_Lb1EE4typeES8_NS0_13TensorArgTypeES9_S9_EUllE0_EEvNS0_6detail10TensorInfoIT_T1_EESF_NSC_IKS6_SE_EElS8_S8_SE_T6_
		.amdhsa_group_segment_fixed_size 0
		.amdhsa_private_segment_fixed_size 0
		.amdhsa_kernarg_size 1544
		.amdhsa_user_sgpr_count 6
		.amdhsa_user_sgpr_private_segment_buffer 1
		.amdhsa_user_sgpr_dispatch_ptr 0
		.amdhsa_user_sgpr_queue_ptr 0
		.amdhsa_user_sgpr_kernarg_segment_ptr 1
		.amdhsa_user_sgpr_dispatch_id 0
		.amdhsa_user_sgpr_flat_scratch_init 0
		.amdhsa_user_sgpr_private_segment_size 0
		.amdhsa_uses_dynamic_stack 0
		.amdhsa_system_sgpr_private_segment_wavefront_offset 0
		.amdhsa_system_sgpr_workgroup_id_x 1
		.amdhsa_system_sgpr_workgroup_id_y 0
		.amdhsa_system_sgpr_workgroup_id_z 0
		.amdhsa_system_sgpr_workgroup_info 0
		.amdhsa_system_vgpr_workitem_id 0
		.amdhsa_next_free_vgpr 20
		.amdhsa_next_free_sgpr 47
		.amdhsa_reserve_vcc 1
		.amdhsa_reserve_flat_scratch 0
		.amdhsa_float_round_mode_32 0
		.amdhsa_float_round_mode_16_64 0
		.amdhsa_float_denorm_mode_32 3
		.amdhsa_float_denorm_mode_16_64 3
		.amdhsa_dx10_clamp 1
		.amdhsa_ieee_mode 1
		.amdhsa_fp16_overflow 0
		.amdhsa_exception_fp_ieee_invalid_op 0
		.amdhsa_exception_fp_denorm_src 0
		.amdhsa_exception_fp_ieee_div_zero 0
		.amdhsa_exception_fp_ieee_overflow 0
		.amdhsa_exception_fp_ieee_underflow 0
		.amdhsa_exception_fp_ieee_inexact 0
		.amdhsa_exception_int_div_zero 0
	.end_amdhsa_kernel
	.section	.text._ZN2at4cuda17kernelHistogram1DIlalLi1ELi2ELin1ELNS0_23CUDAHistogramMemoryTypeE1EZNS0_21CUDA_tensor_histogramIlaLb0EEEbNS_6TensorES4_S4_lNS_14AccumulateTypeIT0_Lb1EE4typeES8_NS0_13TensorArgTypeES9_S9_EUllE0_EEvNS0_6detail10TensorInfoIT_T1_EESF_NSC_IKS6_SE_EElS8_S8_SE_T6_,"axG",@progbits,_ZN2at4cuda17kernelHistogram1DIlalLi1ELi2ELin1ELNS0_23CUDAHistogramMemoryTypeE1EZNS0_21CUDA_tensor_histogramIlaLb0EEEbNS_6TensorES4_S4_lNS_14AccumulateTypeIT0_Lb1EE4typeES8_NS0_13TensorArgTypeES9_S9_EUllE0_EEvNS0_6detail10TensorInfoIT_T1_EESF_NSC_IKS6_SE_EElS8_S8_SE_T6_,comdat
.Lfunc_end19:
	.size	_ZN2at4cuda17kernelHistogram1DIlalLi1ELi2ELin1ELNS0_23CUDAHistogramMemoryTypeE1EZNS0_21CUDA_tensor_histogramIlaLb0EEEbNS_6TensorES4_S4_lNS_14AccumulateTypeIT0_Lb1EE4typeES8_NS0_13TensorArgTypeES9_S9_EUllE0_EEvNS0_6detail10TensorInfoIT_T1_EESF_NSC_IKS6_SE_EElS8_S8_SE_T6_, .Lfunc_end19-_ZN2at4cuda17kernelHistogram1DIlalLi1ELi2ELin1ELNS0_23CUDAHistogramMemoryTypeE1EZNS0_21CUDA_tensor_histogramIlaLb0EEEbNS_6TensorES4_S4_lNS_14AccumulateTypeIT0_Lb1EE4typeES8_NS0_13TensorArgTypeES9_S9_EUllE0_EEvNS0_6detail10TensorInfoIT_T1_EESF_NSC_IKS6_SE_EElS8_S8_SE_T6_
                                        ; -- End function
	.set _ZN2at4cuda17kernelHistogram1DIlalLi1ELi2ELin1ELNS0_23CUDAHistogramMemoryTypeE1EZNS0_21CUDA_tensor_histogramIlaLb0EEEbNS_6TensorES4_S4_lNS_14AccumulateTypeIT0_Lb1EE4typeES8_NS0_13TensorArgTypeES9_S9_EUllE0_EEvNS0_6detail10TensorInfoIT_T1_EESF_NSC_IKS6_SE_EElS8_S8_SE_T6_.num_vgpr, 20
	.set _ZN2at4cuda17kernelHistogram1DIlalLi1ELi2ELin1ELNS0_23CUDAHistogramMemoryTypeE1EZNS0_21CUDA_tensor_histogramIlaLb0EEEbNS_6TensorES4_S4_lNS_14AccumulateTypeIT0_Lb1EE4typeES8_NS0_13TensorArgTypeES9_S9_EUllE0_EEvNS0_6detail10TensorInfoIT_T1_EESF_NSC_IKS6_SE_EElS8_S8_SE_T6_.num_agpr, 0
	.set _ZN2at4cuda17kernelHistogram1DIlalLi1ELi2ELin1ELNS0_23CUDAHistogramMemoryTypeE1EZNS0_21CUDA_tensor_histogramIlaLb0EEEbNS_6TensorES4_S4_lNS_14AccumulateTypeIT0_Lb1EE4typeES8_NS0_13TensorArgTypeES9_S9_EUllE0_EEvNS0_6detail10TensorInfoIT_T1_EESF_NSC_IKS6_SE_EElS8_S8_SE_T6_.numbered_sgpr, 47
	.set _ZN2at4cuda17kernelHistogram1DIlalLi1ELi2ELin1ELNS0_23CUDAHistogramMemoryTypeE1EZNS0_21CUDA_tensor_histogramIlaLb0EEEbNS_6TensorES4_S4_lNS_14AccumulateTypeIT0_Lb1EE4typeES8_NS0_13TensorArgTypeES9_S9_EUllE0_EEvNS0_6detail10TensorInfoIT_T1_EESF_NSC_IKS6_SE_EElS8_S8_SE_T6_.num_named_barrier, 0
	.set _ZN2at4cuda17kernelHistogram1DIlalLi1ELi2ELin1ELNS0_23CUDAHistogramMemoryTypeE1EZNS0_21CUDA_tensor_histogramIlaLb0EEEbNS_6TensorES4_S4_lNS_14AccumulateTypeIT0_Lb1EE4typeES8_NS0_13TensorArgTypeES9_S9_EUllE0_EEvNS0_6detail10TensorInfoIT_T1_EESF_NSC_IKS6_SE_EElS8_S8_SE_T6_.private_seg_size, 0
	.set _ZN2at4cuda17kernelHistogram1DIlalLi1ELi2ELin1ELNS0_23CUDAHistogramMemoryTypeE1EZNS0_21CUDA_tensor_histogramIlaLb0EEEbNS_6TensorES4_S4_lNS_14AccumulateTypeIT0_Lb1EE4typeES8_NS0_13TensorArgTypeES9_S9_EUllE0_EEvNS0_6detail10TensorInfoIT_T1_EESF_NSC_IKS6_SE_EElS8_S8_SE_T6_.uses_vcc, 1
	.set _ZN2at4cuda17kernelHistogram1DIlalLi1ELi2ELin1ELNS0_23CUDAHistogramMemoryTypeE1EZNS0_21CUDA_tensor_histogramIlaLb0EEEbNS_6TensorES4_S4_lNS_14AccumulateTypeIT0_Lb1EE4typeES8_NS0_13TensorArgTypeES9_S9_EUllE0_EEvNS0_6detail10TensorInfoIT_T1_EESF_NSC_IKS6_SE_EElS8_S8_SE_T6_.uses_flat_scratch, 0
	.set _ZN2at4cuda17kernelHistogram1DIlalLi1ELi2ELin1ELNS0_23CUDAHistogramMemoryTypeE1EZNS0_21CUDA_tensor_histogramIlaLb0EEEbNS_6TensorES4_S4_lNS_14AccumulateTypeIT0_Lb1EE4typeES8_NS0_13TensorArgTypeES9_S9_EUllE0_EEvNS0_6detail10TensorInfoIT_T1_EESF_NSC_IKS6_SE_EElS8_S8_SE_T6_.has_dyn_sized_stack, 0
	.set _ZN2at4cuda17kernelHistogram1DIlalLi1ELi2ELin1ELNS0_23CUDAHistogramMemoryTypeE1EZNS0_21CUDA_tensor_histogramIlaLb0EEEbNS_6TensorES4_S4_lNS_14AccumulateTypeIT0_Lb1EE4typeES8_NS0_13TensorArgTypeES9_S9_EUllE0_EEvNS0_6detail10TensorInfoIT_T1_EESF_NSC_IKS6_SE_EElS8_S8_SE_T6_.has_recursion, 0
	.set _ZN2at4cuda17kernelHistogram1DIlalLi1ELi2ELin1ELNS0_23CUDAHistogramMemoryTypeE1EZNS0_21CUDA_tensor_histogramIlaLb0EEEbNS_6TensorES4_S4_lNS_14AccumulateTypeIT0_Lb1EE4typeES8_NS0_13TensorArgTypeES9_S9_EUllE0_EEvNS0_6detail10TensorInfoIT_T1_EESF_NSC_IKS6_SE_EElS8_S8_SE_T6_.has_indirect_call, 0
	.section	.AMDGPU.csdata,"",@progbits
; Kernel info:
; codeLenInByte = 2068
; TotalNumSgprs: 51
; NumVgprs: 20
; ScratchSize: 0
; MemoryBound: 0
; FloatMode: 240
; IeeeMode: 1
; LDSByteSize: 0 bytes/workgroup (compile time only)
; SGPRBlocks: 6
; VGPRBlocks: 4
; NumSGPRsForWavesPerEU: 51
; NumVGPRsForWavesPerEU: 20
; Occupancy: 10
; WaveLimiterHint : 1
; COMPUTE_PGM_RSRC2:SCRATCH_EN: 0
; COMPUTE_PGM_RSRC2:USER_SGPR: 6
; COMPUTE_PGM_RSRC2:TRAP_HANDLER: 0
; COMPUTE_PGM_RSRC2:TGID_X_EN: 1
; COMPUTE_PGM_RSRC2:TGID_Y_EN: 0
; COMPUTE_PGM_RSRC2:TGID_Z_EN: 0
; COMPUTE_PGM_RSRC2:TIDIG_COMP_CNT: 0
	.section	.text._ZN2at4cuda17kernelHistogram1DIdalLi1ELi2ELin1ELNS0_23CUDAHistogramMemoryTypeE0EZNS0_21CUDA_tensor_histogramIdaLb1EEEbNS_6TensorES4_S4_lNS_14AccumulateTypeIT0_Lb1EE4typeES8_NS0_13TensorArgTypeES9_S9_EUllE_EEvNS0_6detail10TensorInfoIT_T1_EESF_NSC_IKS6_SE_EElS8_S8_SE_T6_,"axG",@progbits,_ZN2at4cuda17kernelHistogram1DIdalLi1ELi2ELin1ELNS0_23CUDAHistogramMemoryTypeE0EZNS0_21CUDA_tensor_histogramIdaLb1EEEbNS_6TensorES4_S4_lNS_14AccumulateTypeIT0_Lb1EE4typeES8_NS0_13TensorArgTypeES9_S9_EUllE_EEvNS0_6detail10TensorInfoIT_T1_EESF_NSC_IKS6_SE_EElS8_S8_SE_T6_,comdat
	.protected	_ZN2at4cuda17kernelHistogram1DIdalLi1ELi2ELin1ELNS0_23CUDAHistogramMemoryTypeE0EZNS0_21CUDA_tensor_histogramIdaLb1EEEbNS_6TensorES4_S4_lNS_14AccumulateTypeIT0_Lb1EE4typeES8_NS0_13TensorArgTypeES9_S9_EUllE_EEvNS0_6detail10TensorInfoIT_T1_EESF_NSC_IKS6_SE_EElS8_S8_SE_T6_ ; -- Begin function _ZN2at4cuda17kernelHistogram1DIdalLi1ELi2ELin1ELNS0_23CUDAHistogramMemoryTypeE0EZNS0_21CUDA_tensor_histogramIdaLb1EEEbNS_6TensorES4_S4_lNS_14AccumulateTypeIT0_Lb1EE4typeES8_NS0_13TensorArgTypeES9_S9_EUllE_EEvNS0_6detail10TensorInfoIT_T1_EESF_NSC_IKS6_SE_EElS8_S8_SE_T6_
	.globl	_ZN2at4cuda17kernelHistogram1DIdalLi1ELi2ELin1ELNS0_23CUDAHistogramMemoryTypeE0EZNS0_21CUDA_tensor_histogramIdaLb1EEEbNS_6TensorES4_S4_lNS_14AccumulateTypeIT0_Lb1EE4typeES8_NS0_13TensorArgTypeES9_S9_EUllE_EEvNS0_6detail10TensorInfoIT_T1_EESF_NSC_IKS6_SE_EElS8_S8_SE_T6_
	.p2align	8
	.type	_ZN2at4cuda17kernelHistogram1DIdalLi1ELi2ELin1ELNS0_23CUDAHistogramMemoryTypeE0EZNS0_21CUDA_tensor_histogramIdaLb1EEEbNS_6TensorES4_S4_lNS_14AccumulateTypeIT0_Lb1EE4typeES8_NS0_13TensorArgTypeES9_S9_EUllE_EEvNS0_6detail10TensorInfoIT_T1_EESF_NSC_IKS6_SE_EElS8_S8_SE_T6_,@function
_ZN2at4cuda17kernelHistogram1DIdalLi1ELi2ELin1ELNS0_23CUDAHistogramMemoryTypeE0EZNS0_21CUDA_tensor_histogramIdaLb1EEEbNS_6TensorES4_S4_lNS_14AccumulateTypeIT0_Lb1EE4typeES8_NS0_13TensorArgTypeES9_S9_EUllE_EEvNS0_6detail10TensorInfoIT_T1_EESF_NSC_IKS6_SE_EElS8_S8_SE_T6_: ; @_ZN2at4cuda17kernelHistogram1DIdalLi1ELi2ELin1ELNS0_23CUDAHistogramMemoryTypeE0EZNS0_21CUDA_tensor_histogramIdaLb1EEEbNS_6TensorES4_S4_lNS_14AccumulateTypeIT0_Lb1EE4typeES8_NS0_13TensorArgTypeES9_S9_EUllE_EEvNS0_6detail10TensorInfoIT_T1_EESF_NSC_IKS6_SE_EElS8_S8_SE_T6_
; %bb.0:
	s_load_dwordx4 s[16:19], s[4:5], 0x0
	s_load_dwordx2 s[22:23], s[4:5], 0x500
	s_load_dwordx8 s[8:15], s[4:5], 0x4e0
	v_mov_b32_e32 v1, 0
	s_add_u32 s2, s4, 0x6a0
	s_waitcnt lgkmcnt(0)
	v_cmp_gt_i64_e64 s[0:1], s[18:19], v[0:1]
	v_cmp_le_i64_e32 vcc, s[18:19], v[0:1]
	s_addc_u32 s3, s5, 0
                                        ; implicit-def: $sgpr28
                                        ; implicit-def: $sgpr7
	s_and_saveexec_b64 s[20:21], vcc
	s_xor_b64 s[20:21], exec, s[20:21]
	s_cbranch_execz .LBB20_2
; %bb.1:
	s_load_dword s28, s[2:3], 0xc
	s_waitcnt lgkmcnt(0)
	s_and_b32 s7, s28, 0xffff
.LBB20_2:
	s_or_saveexec_b64 s[26:27], s[20:21]
	s_load_dwordx2 s[20:21], s[4:5], 0xd0
	s_load_dwordx2 s[24:25], s[4:5], 0x5d0
	v_mov_b32_e32 v12, s28
	v_mov_b32_e32 v5, s7
	s_xor_b64 exec, exec, s[26:27]
	s_cbranch_execz .LBB20_6
; %bb.3:
	s_load_dword s7, s[2:3], 0xc
	v_mov_b32_e32 v2, 0
	v_mov_b32_e32 v5, v1
	v_lshl_add_u32 v6, v0, 3, 0
	s_mov_b64 s[28:29], 0
	s_waitcnt lgkmcnt(0)
	s_and_b32 s30, s7, 0xffff
	v_mov_b32_e32 v3, v2
	s_lshl_b32 s31, s30, 3
	v_mov_b32_e32 v4, v0
.LBB20_4:                               ; =>This Inner Loop Header: Depth=1
	v_add_co_u32_e32 v4, vcc, s30, v4
	v_addc_co_u32_e32 v5, vcc, 0, v5, vcc
	v_cmp_le_i64_e32 vcc, s[18:19], v[4:5]
	ds_write_b64 v6, v[2:3]
	s_or_b64 s[28:29], vcc, s[28:29]
	v_add_u32_e32 v6, s31, v6
	s_andn2_b64 exec, exec, s[28:29]
	s_cbranch_execnz .LBB20_4
; %bb.5:
	s_or_b64 exec, exec, s[28:29]
	v_mov_b32_e32 v12, s7
	v_mov_b32_e32 v5, s30
.LBB20_6:
	s_or_b64 exec, exec, s[26:27]
	v_mad_u64_u32 v[2:3], s[6:7], s6, v5, v[0:1]
	v_mov_b32_e32 v4, 0
	v_mov_b32_e32 v3, v4
	v_cmp_gt_i64_e32 vcc, s[14:15], v[2:3]
	s_waitcnt lgkmcnt(0)
	s_barrier
	s_and_saveexec_b64 s[6:7], vcc
	s_cbranch_execz .LBB20_23
; %bb.7:
	s_load_dword s30, s[4:5], 0x4d8
	s_load_dwordx2 s[28:29], s[4:5], 0x340
	s_add_u32 s31, s4, 0x340
	s_addc_u32 s35, s5, 0
	s_load_dword s34, s[2:3], 0x0
	s_load_dwordx2 s[26:27], s[4:5], 0x410
	s_waitcnt lgkmcnt(0)
	s_cmp_gt_i32 s30, 1
	s_cselect_b64 s[2:3], -1, 0
	s_sub_u32 s33, s12, s10
	s_subb_u32 s46, s13, s11
	s_mov_b32 s5, 0
	s_add_i32 s4, s30, -1
	s_add_i32 s47, s30, 1
	s_lshl_b64 s[4:5], s[4:5], 3
	v_mul_lo_u32 v13, s34, v5
	s_add_u32 s4, s31, s4
	s_addc_u32 s5, s35, s5
	s_add_u32 s30, s4, 8
	v_cndmask_b32_e64 v5, 0, 1, s[2:3]
	s_addc_u32 s31, s5, 0
	s_mov_b64 s[34:35], 0
	v_cmp_ne_u32_e64 s[2:3], 1, v5
	s_branch .LBB20_9
.LBB20_8:                               ;   in Loop: Header=BB20_9 Depth=1
	s_or_b64 exec, exec, s[36:37]
	v_add_co_u32_e32 v2, vcc, v2, v13
	v_addc_co_u32_e32 v3, vcc, 0, v3, vcc
	v_cmp_le_i64_e32 vcc, s[14:15], v[2:3]
	s_or_b64 s[34:35], vcc, s[34:35]
	s_andn2_b64 exec, exec, s[34:35]
	s_cbranch_execz .LBB20_23
.LBB20_9:                               ; =>This Loop Header: Depth=1
                                        ;     Child Loop BB20_10 Depth 2
                                        ;     Child Loop BB20_22 Depth 2
	v_mov_b32_e32 v6, 0
	v_mov_b32_e32 v9, v3
	;; [unrolled: 1-line block ×4, first 2 shown]
	s_and_b64 vcc, exec, s[2:3]
	s_mov_b64 s[36:37], s[30:31]
	s_mov_b32 s48, s47
	v_mov_b32_e32 v8, v2
	v_mov_b32_e32 v10, v2
	s_cbranch_vccnz .LBB20_16
.LBB20_10:                              ;   Parent Loop BB20_9 Depth=1
                                        ; =>  This Inner Loop Header: Depth=2
	s_load_dwordx2 s[38:39], s[36:37], 0x0
                                        ; implicit-def: $vgpr10_vgpr11
	s_waitcnt lgkmcnt(0)
	v_or_b32_e32 v5, s39, v9
	v_cmp_ne_u64_e32 vcc, 0, v[4:5]
	s_and_saveexec_b64 s[4:5], vcc
	s_xor_b64 s[40:41], exec, s[4:5]
	s_cbranch_execz .LBB20_12
; %bb.11:                               ;   in Loop: Header=BB20_10 Depth=2
	s_ashr_i32 s42, s39, 31
	s_add_u32 s4, s38, s42
	s_mov_b32 s43, s42
	s_addc_u32 s5, s39, s42
	s_xor_b64 s[44:45], s[4:5], s[42:43]
	v_cvt_f32_u32_e32 v5, s44
	v_cvt_f32_u32_e32 v10, s45
	s_sub_u32 s43, 0, s44
	s_subb_u32 s49, 0, s45
	v_mac_f32_e32 v5, 0x4f800000, v10
	v_rcp_f32_e32 v5, v5
	v_mul_f32_e32 v5, 0x5f7ffffc, v5
	v_mul_f32_e32 v10, 0x2f800000, v5
	v_trunc_f32_e32 v10, v10
	v_mac_f32_e32 v5, 0xcf800000, v10
	v_cvt_u32_f32_e32 v10, v10
	v_cvt_u32_f32_e32 v5, v5
	v_readfirstlane_b32 s50, v10
	v_readfirstlane_b32 s4, v5
	s_mul_i32 s5, s43, s50
	s_mul_hi_u32 s52, s43, s4
	s_mul_i32 s51, s49, s4
	s_add_i32 s5, s52, s5
	s_add_i32 s5, s5, s51
	s_mul_i32 s53, s43, s4
	s_mul_i32 s52, s4, s5
	s_mul_hi_u32 s54, s4, s53
	s_mul_hi_u32 s51, s4, s5
	s_add_u32 s52, s54, s52
	s_addc_u32 s51, 0, s51
	s_mul_hi_u32 s55, s50, s53
	s_mul_i32 s53, s50, s53
	s_add_u32 s52, s52, s53
	s_mul_hi_u32 s54, s50, s5
	s_addc_u32 s51, s51, s55
	s_addc_u32 s52, s54, 0
	s_mul_i32 s5, s50, s5
	s_add_u32 s5, s51, s5
	s_addc_u32 s51, 0, s52
	s_add_u32 s52, s4, s5
	s_cselect_b64 s[4:5], -1, 0
	s_cmp_lg_u64 s[4:5], 0
	s_addc_u32 s50, s50, s51
	s_mul_i32 s4, s43, s50
	s_mul_hi_u32 s5, s43, s52
	s_add_i32 s4, s5, s4
	s_mul_i32 s49, s49, s52
	s_add_i32 s4, s4, s49
	s_mul_i32 s43, s43, s52
	s_mul_hi_u32 s49, s50, s43
	s_mul_i32 s51, s50, s43
	s_mul_i32 s54, s52, s4
	s_mul_hi_u32 s43, s52, s43
	s_mul_hi_u32 s53, s52, s4
	s_add_u32 s43, s43, s54
	s_addc_u32 s53, 0, s53
	s_add_u32 s43, s43, s51
	s_mul_hi_u32 s5, s50, s4
	s_addc_u32 s43, s53, s49
	s_addc_u32 s5, s5, 0
	s_mul_i32 s4, s50, s4
	s_add_u32 s4, s43, s4
	s_addc_u32 s43, 0, s5
	s_add_u32 s49, s52, s4
	s_cselect_b64 s[4:5], -1, 0
	v_ashrrev_i32_e32 v5, 31, v9
	s_cmp_lg_u64 s[4:5], 0
	v_add_co_u32_e32 v10, vcc, v8, v5
	s_addc_u32 s43, s50, s43
	v_xor_b32_e32 v16, v10, v5
	v_mad_u64_u32 v[10:11], s[4:5], v16, s43, 0
	v_mul_hi_u32 v15, v16, s49
	v_addc_co_u32_e32 v14, vcc, v9, v5, vcc
	v_xor_b32_e32 v17, v14, v5
	v_add_co_u32_e32 v18, vcc, v15, v10
	v_addc_co_u32_e32 v19, vcc, 0, v11, vcc
	v_mad_u64_u32 v[10:11], s[4:5], v17, s49, 0
	v_mad_u64_u32 v[14:15], s[4:5], v17, s43, 0
	v_add_co_u32_e32 v10, vcc, v18, v10
	v_addc_co_u32_e32 v10, vcc, v19, v11, vcc
	v_addc_co_u32_e32 v11, vcc, 0, v15, vcc
	v_add_co_u32_e32 v14, vcc, v10, v14
	v_addc_co_u32_e32 v15, vcc, 0, v11, vcc
	v_mul_lo_u32 v18, s45, v14
	v_mul_lo_u32 v19, s44, v15
	v_mad_u64_u32 v[10:11], s[4:5], s44, v14, 0
	v_xor_b32_e32 v5, s42, v5
	v_add3_u32 v11, v11, v19, v18
	v_sub_u32_e32 v18, v17, v11
	v_mov_b32_e32 v19, s45
	v_sub_co_u32_e32 v10, vcc, v16, v10
	v_subb_co_u32_e64 v16, s[4:5], v18, v19, vcc
	v_subrev_co_u32_e64 v18, s[4:5], s44, v10
	v_subbrev_co_u32_e64 v16, s[4:5], 0, v16, s[4:5]
	v_cmp_le_u32_e64 s[4:5], s45, v16
	v_cndmask_b32_e64 v19, 0, -1, s[4:5]
	v_cmp_le_u32_e64 s[4:5], s44, v18
	v_cndmask_b32_e64 v18, 0, -1, s[4:5]
	v_cmp_eq_u32_e64 s[4:5], s45, v16
	v_cndmask_b32_e64 v16, v19, v18, s[4:5]
	v_add_co_u32_e64 v18, s[4:5], 2, v14
	v_subb_co_u32_e32 v11, vcc, v17, v11, vcc
	v_addc_co_u32_e64 v19, s[4:5], 0, v15, s[4:5]
	v_cmp_le_u32_e32 vcc, s45, v11
	v_add_co_u32_e64 v20, s[4:5], 1, v14
	v_cndmask_b32_e64 v17, 0, -1, vcc
	v_cmp_le_u32_e32 vcc, s44, v10
	v_addc_co_u32_e64 v21, s[4:5], 0, v15, s[4:5]
	v_cndmask_b32_e64 v10, 0, -1, vcc
	v_cmp_eq_u32_e32 vcc, s45, v11
	v_cmp_ne_u32_e64 s[4:5], 0, v16
	v_cndmask_b32_e32 v10, v17, v10, vcc
	v_cndmask_b32_e64 v16, v21, v19, s[4:5]
	v_cmp_ne_u32_e32 vcc, 0, v10
	v_cndmask_b32_e64 v11, v20, v18, s[4:5]
	v_cndmask_b32_e32 v10, v15, v16, vcc
	v_cndmask_b32_e32 v11, v14, v11, vcc
	v_xor_b32_e32 v14, v10, v5
	v_xor_b32_e32 v10, v11, v5
	v_sub_co_u32_e32 v10, vcc, v10, v5
	v_subb_co_u32_e32 v11, vcc, v14, v5, vcc
.LBB20_12:                              ;   in Loop: Header=BB20_10 Depth=2
	s_andn2_saveexec_b64 s[4:5], s[40:41]
	s_cbranch_execz .LBB20_14
; %bb.13:                               ;   in Loop: Header=BB20_10 Depth=2
	v_cvt_f32_u32_e32 v5, s38
	s_sub_i32 s40, 0, s38
	v_rcp_iflag_f32_e32 v5, v5
	v_mul_f32_e32 v5, 0x4f7ffffe, v5
	v_cvt_u32_f32_e32 v5, v5
	v_mul_lo_u32 v10, s40, v5
	v_mul_hi_u32 v10, v5, v10
	v_add_u32_e32 v5, v5, v10
	v_mul_hi_u32 v5, v8, v5
	v_mul_lo_u32 v10, v5, s38
	v_add_u32_e32 v11, 1, v5
	v_sub_u32_e32 v10, v8, v10
	v_subrev_u32_e32 v14, s38, v10
	v_cmp_le_u32_e32 vcc, s38, v10
	v_cndmask_b32_e32 v10, v10, v14, vcc
	v_cndmask_b32_e32 v5, v5, v11, vcc
	v_add_u32_e32 v11, 1, v5
	v_cmp_le_u32_e32 vcc, s38, v10
	v_cndmask_b32_e32 v10, v5, v11, vcc
	v_mov_b32_e32 v11, v4
.LBB20_14:                              ;   in Loop: Header=BB20_10 Depth=2
	s_or_b64 exec, exec, s[4:5]
	v_mul_lo_u32 v5, v11, s38
	v_mul_lo_u32 v16, v10, s39
	v_mad_u64_u32 v[14:15], s[4:5], v10, s38, 0
	s_load_dwordx2 s[4:5], s[36:37], 0xc8
	s_add_i32 s48, s48, -1
	v_add3_u32 v5, v15, v16, v5
	v_sub_co_u32_e32 v8, vcc, v8, v14
	v_subb_co_u32_e32 v5, vcc, v9, v5, vcc
	s_waitcnt lgkmcnt(0)
	v_mul_lo_u32 v5, s4, v5
	v_mul_lo_u32 v9, s5, v8
	v_mad_u64_u32 v[6:7], s[4:5], s4, v8, v[6:7]
	s_add_u32 s36, s36, -8
	s_addc_u32 s37, s37, -1
	s_cmp_gt_u32 s48, 2
	v_add3_u32 v7, v9, v7, v5
	s_cbranch_scc0 .LBB20_16
; %bb.15:                               ;   in Loop: Header=BB20_10 Depth=2
	v_mov_b32_e32 v8, v10
	v_mov_b32_e32 v9, v11
	s_branch .LBB20_10
.LBB20_16:                              ;   in Loop: Header=BB20_9 Depth=1
	v_mov_b32_e32 v8, s28
	v_mov_b32_e32 v9, s29
	v_mul_lo_u32 v5, s26, v11
	v_mul_lo_u32 v11, s27, v10
	v_mad_u64_u32 v[8:9], s[4:5], s26, v10, v[8:9]
	v_add3_u32 v9, v11, v9, v5
	v_add_co_u32_e32 v5, vcc, v8, v6
	v_addc_co_u32_e32 v6, vcc, v9, v7, vcc
	global_load_sbyte v5, v[5:6], off
	s_waitcnt vmcnt(0)
	v_bfe_i32 v5, v5, 0, 16
	v_ashrrev_i32_e32 v6, 31, v5
	v_cmp_le_i64_e32 vcc, s[10:11], v[5:6]
	v_cmp_ge_i64_e64 s[4:5], s[12:13], v[5:6]
	s_and_b64 s[4:5], vcc, s[4:5]
	s_and_saveexec_b64 s[36:37], s[4:5]
	s_cbranch_execz .LBB20_8
; %bb.17:                               ;   in Loop: Header=BB20_9 Depth=1
	v_mov_b32_e32 v7, s11
	v_subrev_co_u32_e32 v5, vcc, s10, v5
	v_subb_co_u32_e32 v6, vcc, v6, v7, vcc
	v_mul_lo_u32 v8, v6, s8
	v_mul_lo_u32 v9, v5, s9
	v_mad_u64_u32 v[6:7], s[4:5], v5, s8, 0
	v_add3_u32 v7, v7, v9, v8
	v_or_b32_e32 v5, s46, v7
	v_cmp_ne_u64_e32 vcc, 0, v[4:5]
                                        ; implicit-def: $vgpr8_vgpr9
	s_and_saveexec_b64 s[4:5], vcc
	s_xor_b64 s[38:39], exec, s[4:5]
	s_cbranch_execz .LBB20_19
; %bb.18:                               ;   in Loop: Header=BB20_9 Depth=1
	s_ashr_i32 s40, s46, 31
	s_add_u32 s4, s33, s40
	s_mov_b32 s41, s40
	s_addc_u32 s5, s46, s40
	s_xor_b64 s[42:43], s[4:5], s[40:41]
	v_cvt_f32_u32_e32 v5, s42
	v_cvt_f32_u32_e32 v8, s43
	s_sub_u32 s41, 0, s42
	s_subb_u32 s44, 0, s43
	v_ashrrev_i32_e32 v9, 31, v7
	v_mac_f32_e32 v5, 0x4f800000, v8
	v_rcp_f32_e32 v5, v5
	v_mul_f32_e32 v5, 0x5f7ffffc, v5
	v_mul_f32_e32 v8, 0x2f800000, v5
	v_trunc_f32_e32 v8, v8
	v_mac_f32_e32 v5, 0xcf800000, v8
	v_cvt_u32_f32_e32 v8, v8
	v_cvt_u32_f32_e32 v5, v5
	v_readfirstlane_b32 s45, v8
	v_readfirstlane_b32 s4, v5
	s_mul_i32 s5, s41, s45
	s_mul_hi_u32 s49, s41, s4
	s_mul_i32 s48, s44, s4
	s_add_i32 s5, s49, s5
	s_add_i32 s5, s5, s48
	s_mul_i32 s50, s41, s4
	s_mul_i32 s49, s4, s5
	s_mul_hi_u32 s51, s4, s50
	s_mul_hi_u32 s48, s4, s5
	s_add_u32 s49, s51, s49
	s_addc_u32 s48, 0, s48
	s_mul_hi_u32 s52, s45, s50
	s_mul_i32 s50, s45, s50
	s_add_u32 s49, s49, s50
	s_mul_hi_u32 s51, s45, s5
	s_addc_u32 s48, s48, s52
	s_addc_u32 s49, s51, 0
	s_mul_i32 s5, s45, s5
	s_add_u32 s5, s48, s5
	s_addc_u32 s48, 0, s49
	s_add_u32 s49, s4, s5
	s_cselect_b64 s[4:5], -1, 0
	s_cmp_lg_u64 s[4:5], 0
	s_addc_u32 s45, s45, s48
	s_mul_i32 s4, s41, s45
	s_mul_hi_u32 s5, s41, s49
	s_add_i32 s4, s5, s4
	s_mul_i32 s44, s44, s49
	s_add_i32 s4, s4, s44
	s_mul_i32 s41, s41, s49
	s_mul_hi_u32 s44, s45, s41
	s_mul_i32 s48, s45, s41
	s_mul_i32 s51, s49, s4
	s_mul_hi_u32 s41, s49, s41
	s_mul_hi_u32 s50, s49, s4
	s_add_u32 s41, s41, s51
	s_addc_u32 s50, 0, s50
	s_add_u32 s41, s41, s48
	s_mul_hi_u32 s5, s45, s4
	s_addc_u32 s41, s50, s44
	s_addc_u32 s5, s5, 0
	s_mul_i32 s4, s45, s4
	s_add_u32 s4, s41, s4
	s_addc_u32 s41, 0, s5
	s_add_u32 s44, s49, s4
	s_cselect_b64 s[4:5], -1, 0
	s_cmp_lg_u64 s[4:5], 0
	v_add_co_u32_e32 v5, vcc, v6, v9
	s_addc_u32 s41, s45, s41
	v_xor_b32_e32 v10, v5, v9
	v_mad_u64_u32 v[5:6], s[4:5], v10, s41, 0
	v_mul_hi_u32 v8, v10, s44
	v_addc_co_u32_e32 v7, vcc, v7, v9, vcc
	v_xor_b32_e32 v11, v7, v9
	v_add_co_u32_e32 v14, vcc, v8, v5
	v_addc_co_u32_e32 v15, vcc, 0, v6, vcc
	v_mad_u64_u32 v[5:6], s[4:5], v11, s44, 0
	v_mad_u64_u32 v[7:8], s[4:5], v11, s41, 0
	v_add_co_u32_e32 v5, vcc, v14, v5
	v_addc_co_u32_e32 v5, vcc, v15, v6, vcc
	v_addc_co_u32_e32 v6, vcc, 0, v8, vcc
	v_add_co_u32_e32 v7, vcc, v5, v7
	v_addc_co_u32_e32 v5, vcc, 0, v6, vcc
	v_mul_lo_u32 v8, s43, v7
	v_mul_lo_u32 v14, s42, v5
	v_mad_u64_u32 v[5:6], s[4:5], s42, v7, 0
	v_add3_u32 v6, v6, v14, v8
	v_sub_u32_e32 v8, v11, v6
	v_mov_b32_e32 v14, s43
	v_sub_co_u32_e32 v5, vcc, v10, v5
	v_subb_co_u32_e64 v8, s[4:5], v8, v14, vcc
	v_subrev_co_u32_e64 v10, s[4:5], s42, v5
	v_subbrev_co_u32_e64 v8, s[4:5], 0, v8, s[4:5]
	v_cmp_le_u32_e64 s[4:5], s43, v8
	v_subb_co_u32_e32 v6, vcc, v11, v6, vcc
	v_cndmask_b32_e64 v14, 0, -1, s[4:5]
	v_cmp_le_u32_e64 s[4:5], s42, v10
	v_cmp_le_u32_e32 vcc, s43, v6
	v_cndmask_b32_e64 v10, 0, -1, s[4:5]
	v_cmp_eq_u32_e64 s[4:5], s43, v8
	v_cndmask_b32_e64 v11, 0, -1, vcc
	v_cmp_le_u32_e32 vcc, s42, v5
	v_cndmask_b32_e64 v8, v14, v10, s[4:5]
	v_cndmask_b32_e64 v5, 0, -1, vcc
	v_cmp_eq_u32_e32 vcc, s43, v6
	v_add_co_u32_e64 v10, s[4:5], 2, v7
	v_add_co_u32_e64 v14, s[4:5], 1, v7
	v_cndmask_b32_e32 v5, v11, v5, vcc
	v_cmp_ne_u32_e32 vcc, 0, v8
	v_cndmask_b32_e32 v6, v14, v10, vcc
	v_cmp_ne_u32_e32 vcc, 0, v5
	v_cndmask_b32_e32 v5, v7, v6, vcc
	v_xor_b32_e32 v6, s40, v9
	v_xor_b32_e32 v5, v5, v6
	v_sub_co_u32_e32 v8, vcc, v5, v6
                                        ; implicit-def: $vgpr6_vgpr7
.LBB20_19:                              ;   in Loop: Header=BB20_9 Depth=1
	s_andn2_saveexec_b64 s[4:5], s[38:39]
	s_cbranch_execz .LBB20_21
; %bb.20:                               ;   in Loop: Header=BB20_9 Depth=1
	v_cvt_f32_u32_e32 v5, s33
	s_sub_i32 s38, 0, s33
	v_rcp_iflag_f32_e32 v5, v5
	v_mul_f32_e32 v5, 0x4f7ffffe, v5
	v_cvt_u32_f32_e32 v5, v5
	v_mul_lo_u32 v7, s38, v5
	v_mul_hi_u32 v7, v5, v7
	v_add_u32_e32 v5, v5, v7
	v_mul_hi_u32 v5, v6, v5
	v_mul_lo_u32 v7, v5, s33
	v_add_u32_e32 v8, 1, v5
	v_sub_u32_e32 v6, v6, v7
	v_subrev_u32_e32 v7, s33, v6
	v_cmp_le_u32_e32 vcc, s33, v6
	v_cndmask_b32_e32 v6, v6, v7, vcc
	v_cndmask_b32_e32 v5, v5, v8, vcc
	v_add_u32_e32 v7, 1, v5
	v_cmp_le_u32_e32 vcc, s33, v6
	v_cndmask_b32_e32 v8, v5, v7, vcc
.LBB20_21:                              ;   in Loop: Header=BB20_9 Depth=1
	s_or_b64 exec, exec, s[4:5]
	v_mul_lo_u32 v7, v3, s24
	v_mul_lo_u32 v9, v2, s25
	v_mad_u64_u32 v[5:6], s[4:5], v2, s24, 0
	s_mov_b64 s[4:5], 0
	v_add3_u32 v6, v6, v9, v7
	v_lshlrev_b64 v[5:6], 3, v[5:6]
	v_mov_b32_e32 v7, s23
	v_add_co_u32_e32 v5, vcc, s22, v5
	v_addc_co_u32_e32 v6, vcc, v7, v6, vcc
	global_load_dwordx2 v[5:6], v[5:6], off
	v_ashrrev_i32_e32 v9, 31, v8
	v_cmp_eq_u64_e32 vcc, s[8:9], v[8:9]
	v_subbrev_co_u32_e32 v7, vcc, 0, v8, vcc
	v_lshl_add_u32 v9, v7, 3, 0
	ds_read_b64 v[7:8], v9
.LBB20_22:                              ;   Parent Loop BB20_9 Depth=1
                                        ; =>  This Inner Loop Header: Depth=2
	s_waitcnt vmcnt(0) lgkmcnt(0)
	v_add_f64 v[10:11], v[7:8], v[5:6]
	ds_cmpst_rtn_b64 v[10:11], v9, v[7:8], v[10:11]
	s_waitcnt lgkmcnt(0)
	v_cmp_eq_u64_e32 vcc, v[10:11], v[7:8]
	v_mov_b32_e32 v7, v10
	s_or_b64 s[4:5], vcc, s[4:5]
	v_mov_b32_e32 v8, v11
	s_andn2_b64 exec, exec, s[4:5]
	s_cbranch_execnz .LBB20_22
	s_branch .LBB20_8
.LBB20_23:
	s_or_b64 exec, exec, s[6:7]
; %bb.24:
	s_barrier
	s_and_saveexec_b64 s[2:3], s[0:1]
	s_cbranch_execz .LBB20_29
; %bb.25:
	v_and_b32_e32 v10, 0xffff, v12
	s_mov_b64 s[0:1], 0
	v_mov_b32_e32 v11, s17
.LBB20_26:                              ; =>This Loop Header: Depth=1
                                        ;     Child Loop BB20_27 Depth 2
	v_mul_lo_u32 v4, v1, s20
	v_mul_lo_u32 v5, v0, s21
	v_mad_u64_u32 v[2:3], s[2:3], v0, s20, 0
	s_mov_b64 s[2:3], 0
	v_add3_u32 v3, v3, v5, v4
	v_lshlrev_b64 v[2:3], 3, v[2:3]
	v_add_co_u32_e32 v6, vcc, s16, v2
	v_addc_co_u32_e32 v7, vcc, v11, v3, vcc
	global_load_dwordx2 v[4:5], v[6:7], off
	v_lshl_add_u32 v2, v0, 3, 0
	ds_read_b64 v[8:9], v2
.LBB20_27:                              ;   Parent Loop BB20_26 Depth=1
                                        ; =>  This Inner Loop Header: Depth=2
	s_waitcnt vmcnt(0) lgkmcnt(0)
	v_add_f64 v[2:3], v[4:5], v[8:9]
	global_atomic_cmpswap_x2 v[2:3], v[6:7], v[2:5], off glc
	s_waitcnt vmcnt(0)
	v_cmp_eq_u64_e32 vcc, v[2:3], v[4:5]
	v_mov_b32_e32 v5, v3
	s_or_b64 s[2:3], vcc, s[2:3]
	v_mov_b32_e32 v4, v2
	s_andn2_b64 exec, exec, s[2:3]
	s_cbranch_execnz .LBB20_27
; %bb.28:                               ;   in Loop: Header=BB20_26 Depth=1
	s_or_b64 exec, exec, s[2:3]
	v_add_co_u32_e32 v0, vcc, v0, v10
	v_addc_co_u32_e32 v1, vcc, 0, v1, vcc
	v_cmp_le_i64_e32 vcc, s[18:19], v[0:1]
	s_or_b64 s[0:1], vcc, s[0:1]
	s_andn2_b64 exec, exec, s[0:1]
	s_cbranch_execnz .LBB20_26
.LBB20_29:
	s_endpgm
	.section	.rodata,"a",@progbits
	.p2align	6, 0x0
	.amdhsa_kernel _ZN2at4cuda17kernelHistogram1DIdalLi1ELi2ELin1ELNS0_23CUDAHistogramMemoryTypeE0EZNS0_21CUDA_tensor_histogramIdaLb1EEEbNS_6TensorES4_S4_lNS_14AccumulateTypeIT0_Lb1EE4typeES8_NS0_13TensorArgTypeES9_S9_EUllE_EEvNS0_6detail10TensorInfoIT_T1_EESF_NSC_IKS6_SE_EElS8_S8_SE_T6_
		.amdhsa_group_segment_fixed_size 0
		.amdhsa_private_segment_fixed_size 0
		.amdhsa_kernarg_size 1952
		.amdhsa_user_sgpr_count 6
		.amdhsa_user_sgpr_private_segment_buffer 1
		.amdhsa_user_sgpr_dispatch_ptr 0
		.amdhsa_user_sgpr_queue_ptr 0
		.amdhsa_user_sgpr_kernarg_segment_ptr 1
		.amdhsa_user_sgpr_dispatch_id 0
		.amdhsa_user_sgpr_flat_scratch_init 0
		.amdhsa_user_sgpr_private_segment_size 0
		.amdhsa_uses_dynamic_stack 0
		.amdhsa_system_sgpr_private_segment_wavefront_offset 0
		.amdhsa_system_sgpr_workgroup_id_x 1
		.amdhsa_system_sgpr_workgroup_id_y 0
		.amdhsa_system_sgpr_workgroup_id_z 0
		.amdhsa_system_sgpr_workgroup_info 0
		.amdhsa_system_vgpr_workitem_id 0
		.amdhsa_next_free_vgpr 22
		.amdhsa_next_free_sgpr 56
		.amdhsa_reserve_vcc 1
		.amdhsa_reserve_flat_scratch 0
		.amdhsa_float_round_mode_32 0
		.amdhsa_float_round_mode_16_64 0
		.amdhsa_float_denorm_mode_32 3
		.amdhsa_float_denorm_mode_16_64 3
		.amdhsa_dx10_clamp 1
		.amdhsa_ieee_mode 1
		.amdhsa_fp16_overflow 0
		.amdhsa_exception_fp_ieee_invalid_op 0
		.amdhsa_exception_fp_denorm_src 0
		.amdhsa_exception_fp_ieee_div_zero 0
		.amdhsa_exception_fp_ieee_overflow 0
		.amdhsa_exception_fp_ieee_underflow 0
		.amdhsa_exception_fp_ieee_inexact 0
		.amdhsa_exception_int_div_zero 0
	.end_amdhsa_kernel
	.section	.text._ZN2at4cuda17kernelHistogram1DIdalLi1ELi2ELin1ELNS0_23CUDAHistogramMemoryTypeE0EZNS0_21CUDA_tensor_histogramIdaLb1EEEbNS_6TensorES4_S4_lNS_14AccumulateTypeIT0_Lb1EE4typeES8_NS0_13TensorArgTypeES9_S9_EUllE_EEvNS0_6detail10TensorInfoIT_T1_EESF_NSC_IKS6_SE_EElS8_S8_SE_T6_,"axG",@progbits,_ZN2at4cuda17kernelHistogram1DIdalLi1ELi2ELin1ELNS0_23CUDAHistogramMemoryTypeE0EZNS0_21CUDA_tensor_histogramIdaLb1EEEbNS_6TensorES4_S4_lNS_14AccumulateTypeIT0_Lb1EE4typeES8_NS0_13TensorArgTypeES9_S9_EUllE_EEvNS0_6detail10TensorInfoIT_T1_EESF_NSC_IKS6_SE_EElS8_S8_SE_T6_,comdat
.Lfunc_end20:
	.size	_ZN2at4cuda17kernelHistogram1DIdalLi1ELi2ELin1ELNS0_23CUDAHistogramMemoryTypeE0EZNS0_21CUDA_tensor_histogramIdaLb1EEEbNS_6TensorES4_S4_lNS_14AccumulateTypeIT0_Lb1EE4typeES8_NS0_13TensorArgTypeES9_S9_EUllE_EEvNS0_6detail10TensorInfoIT_T1_EESF_NSC_IKS6_SE_EElS8_S8_SE_T6_, .Lfunc_end20-_ZN2at4cuda17kernelHistogram1DIdalLi1ELi2ELin1ELNS0_23CUDAHistogramMemoryTypeE0EZNS0_21CUDA_tensor_histogramIdaLb1EEEbNS_6TensorES4_S4_lNS_14AccumulateTypeIT0_Lb1EE4typeES8_NS0_13TensorArgTypeES9_S9_EUllE_EEvNS0_6detail10TensorInfoIT_T1_EESF_NSC_IKS6_SE_EElS8_S8_SE_T6_
                                        ; -- End function
	.set _ZN2at4cuda17kernelHistogram1DIdalLi1ELi2ELin1ELNS0_23CUDAHistogramMemoryTypeE0EZNS0_21CUDA_tensor_histogramIdaLb1EEEbNS_6TensorES4_S4_lNS_14AccumulateTypeIT0_Lb1EE4typeES8_NS0_13TensorArgTypeES9_S9_EUllE_EEvNS0_6detail10TensorInfoIT_T1_EESF_NSC_IKS6_SE_EElS8_S8_SE_T6_.num_vgpr, 22
	.set _ZN2at4cuda17kernelHistogram1DIdalLi1ELi2ELin1ELNS0_23CUDAHistogramMemoryTypeE0EZNS0_21CUDA_tensor_histogramIdaLb1EEEbNS_6TensorES4_S4_lNS_14AccumulateTypeIT0_Lb1EE4typeES8_NS0_13TensorArgTypeES9_S9_EUllE_EEvNS0_6detail10TensorInfoIT_T1_EESF_NSC_IKS6_SE_EElS8_S8_SE_T6_.num_agpr, 0
	.set _ZN2at4cuda17kernelHistogram1DIdalLi1ELi2ELin1ELNS0_23CUDAHistogramMemoryTypeE0EZNS0_21CUDA_tensor_histogramIdaLb1EEEbNS_6TensorES4_S4_lNS_14AccumulateTypeIT0_Lb1EE4typeES8_NS0_13TensorArgTypeES9_S9_EUllE_EEvNS0_6detail10TensorInfoIT_T1_EESF_NSC_IKS6_SE_EElS8_S8_SE_T6_.numbered_sgpr, 56
	.set _ZN2at4cuda17kernelHistogram1DIdalLi1ELi2ELin1ELNS0_23CUDAHistogramMemoryTypeE0EZNS0_21CUDA_tensor_histogramIdaLb1EEEbNS_6TensorES4_S4_lNS_14AccumulateTypeIT0_Lb1EE4typeES8_NS0_13TensorArgTypeES9_S9_EUllE_EEvNS0_6detail10TensorInfoIT_T1_EESF_NSC_IKS6_SE_EElS8_S8_SE_T6_.num_named_barrier, 0
	.set _ZN2at4cuda17kernelHistogram1DIdalLi1ELi2ELin1ELNS0_23CUDAHistogramMemoryTypeE0EZNS0_21CUDA_tensor_histogramIdaLb1EEEbNS_6TensorES4_S4_lNS_14AccumulateTypeIT0_Lb1EE4typeES8_NS0_13TensorArgTypeES9_S9_EUllE_EEvNS0_6detail10TensorInfoIT_T1_EESF_NSC_IKS6_SE_EElS8_S8_SE_T6_.private_seg_size, 0
	.set _ZN2at4cuda17kernelHistogram1DIdalLi1ELi2ELin1ELNS0_23CUDAHistogramMemoryTypeE0EZNS0_21CUDA_tensor_histogramIdaLb1EEEbNS_6TensorES4_S4_lNS_14AccumulateTypeIT0_Lb1EE4typeES8_NS0_13TensorArgTypeES9_S9_EUllE_EEvNS0_6detail10TensorInfoIT_T1_EESF_NSC_IKS6_SE_EElS8_S8_SE_T6_.uses_vcc, 1
	.set _ZN2at4cuda17kernelHistogram1DIdalLi1ELi2ELin1ELNS0_23CUDAHistogramMemoryTypeE0EZNS0_21CUDA_tensor_histogramIdaLb1EEEbNS_6TensorES4_S4_lNS_14AccumulateTypeIT0_Lb1EE4typeES8_NS0_13TensorArgTypeES9_S9_EUllE_EEvNS0_6detail10TensorInfoIT_T1_EESF_NSC_IKS6_SE_EElS8_S8_SE_T6_.uses_flat_scratch, 0
	.set _ZN2at4cuda17kernelHistogram1DIdalLi1ELi2ELin1ELNS0_23CUDAHistogramMemoryTypeE0EZNS0_21CUDA_tensor_histogramIdaLb1EEEbNS_6TensorES4_S4_lNS_14AccumulateTypeIT0_Lb1EE4typeES8_NS0_13TensorArgTypeES9_S9_EUllE_EEvNS0_6detail10TensorInfoIT_T1_EESF_NSC_IKS6_SE_EElS8_S8_SE_T6_.has_dyn_sized_stack, 0
	.set _ZN2at4cuda17kernelHistogram1DIdalLi1ELi2ELin1ELNS0_23CUDAHistogramMemoryTypeE0EZNS0_21CUDA_tensor_histogramIdaLb1EEEbNS_6TensorES4_S4_lNS_14AccumulateTypeIT0_Lb1EE4typeES8_NS0_13TensorArgTypeES9_S9_EUllE_EEvNS0_6detail10TensorInfoIT_T1_EESF_NSC_IKS6_SE_EElS8_S8_SE_T6_.has_recursion, 0
	.set _ZN2at4cuda17kernelHistogram1DIdalLi1ELi2ELin1ELNS0_23CUDAHistogramMemoryTypeE0EZNS0_21CUDA_tensor_histogramIdaLb1EEEbNS_6TensorES4_S4_lNS_14AccumulateTypeIT0_Lb1EE4typeES8_NS0_13TensorArgTypeES9_S9_EUllE_EEvNS0_6detail10TensorInfoIT_T1_EESF_NSC_IKS6_SE_EElS8_S8_SE_T6_.has_indirect_call, 0
	.section	.AMDGPU.csdata,"",@progbits
; Kernel info:
; codeLenInByte = 2484
; TotalNumSgprs: 60
; NumVgprs: 22
; ScratchSize: 0
; MemoryBound: 0
; FloatMode: 240
; IeeeMode: 1
; LDSByteSize: 0 bytes/workgroup (compile time only)
; SGPRBlocks: 7
; VGPRBlocks: 5
; NumSGPRsForWavesPerEU: 60
; NumVGPRsForWavesPerEU: 22
; Occupancy: 10
; WaveLimiterHint : 1
; COMPUTE_PGM_RSRC2:SCRATCH_EN: 0
; COMPUTE_PGM_RSRC2:USER_SGPR: 6
; COMPUTE_PGM_RSRC2:TRAP_HANDLER: 0
; COMPUTE_PGM_RSRC2:TGID_X_EN: 1
; COMPUTE_PGM_RSRC2:TGID_Y_EN: 0
; COMPUTE_PGM_RSRC2:TGID_Z_EN: 0
; COMPUTE_PGM_RSRC2:TIDIG_COMP_CNT: 0
	.section	.text._ZN2at4cuda17kernelHistogram1DIdalLi1ELi2ELin1ELNS0_23CUDAHistogramMemoryTypeE1EZNS0_21CUDA_tensor_histogramIdaLb1EEEbNS_6TensorES4_S4_lNS_14AccumulateTypeIT0_Lb1EE4typeES8_NS0_13TensorArgTypeES9_S9_EUllE_EEvNS0_6detail10TensorInfoIT_T1_EESF_NSC_IKS6_SE_EElS8_S8_SE_T6_,"axG",@progbits,_ZN2at4cuda17kernelHistogram1DIdalLi1ELi2ELin1ELNS0_23CUDAHistogramMemoryTypeE1EZNS0_21CUDA_tensor_histogramIdaLb1EEEbNS_6TensorES4_S4_lNS_14AccumulateTypeIT0_Lb1EE4typeES8_NS0_13TensorArgTypeES9_S9_EUllE_EEvNS0_6detail10TensorInfoIT_T1_EESF_NSC_IKS6_SE_EElS8_S8_SE_T6_,comdat
	.protected	_ZN2at4cuda17kernelHistogram1DIdalLi1ELi2ELin1ELNS0_23CUDAHistogramMemoryTypeE1EZNS0_21CUDA_tensor_histogramIdaLb1EEEbNS_6TensorES4_S4_lNS_14AccumulateTypeIT0_Lb1EE4typeES8_NS0_13TensorArgTypeES9_S9_EUllE_EEvNS0_6detail10TensorInfoIT_T1_EESF_NSC_IKS6_SE_EElS8_S8_SE_T6_ ; -- Begin function _ZN2at4cuda17kernelHistogram1DIdalLi1ELi2ELin1ELNS0_23CUDAHistogramMemoryTypeE1EZNS0_21CUDA_tensor_histogramIdaLb1EEEbNS_6TensorES4_S4_lNS_14AccumulateTypeIT0_Lb1EE4typeES8_NS0_13TensorArgTypeES9_S9_EUllE_EEvNS0_6detail10TensorInfoIT_T1_EESF_NSC_IKS6_SE_EElS8_S8_SE_T6_
	.globl	_ZN2at4cuda17kernelHistogram1DIdalLi1ELi2ELin1ELNS0_23CUDAHistogramMemoryTypeE1EZNS0_21CUDA_tensor_histogramIdaLb1EEEbNS_6TensorES4_S4_lNS_14AccumulateTypeIT0_Lb1EE4typeES8_NS0_13TensorArgTypeES9_S9_EUllE_EEvNS0_6detail10TensorInfoIT_T1_EESF_NSC_IKS6_SE_EElS8_S8_SE_T6_
	.p2align	8
	.type	_ZN2at4cuda17kernelHistogram1DIdalLi1ELi2ELin1ELNS0_23CUDAHistogramMemoryTypeE1EZNS0_21CUDA_tensor_histogramIdaLb1EEEbNS_6TensorES4_S4_lNS_14AccumulateTypeIT0_Lb1EE4typeES8_NS0_13TensorArgTypeES9_S9_EUllE_EEvNS0_6detail10TensorInfoIT_T1_EESF_NSC_IKS6_SE_EElS8_S8_SE_T6_,@function
_ZN2at4cuda17kernelHistogram1DIdalLi1ELi2ELin1ELNS0_23CUDAHistogramMemoryTypeE1EZNS0_21CUDA_tensor_histogramIdaLb1EEEbNS_6TensorES4_S4_lNS_14AccumulateTypeIT0_Lb1EE4typeES8_NS0_13TensorArgTypeES9_S9_EUllE_EEvNS0_6detail10TensorInfoIT_T1_EESF_NSC_IKS6_SE_EElS8_S8_SE_T6_: ; @_ZN2at4cuda17kernelHistogram1DIdalLi1ELi2ELin1ELNS0_23CUDAHistogramMemoryTypeE1EZNS0_21CUDA_tensor_histogramIdaLb1EEEbNS_6TensorES4_S4_lNS_14AccumulateTypeIT0_Lb1EE4typeES8_NS0_13TensorArgTypeES9_S9_EUllE_EEvNS0_6detail10TensorInfoIT_T1_EESF_NSC_IKS6_SE_EElS8_S8_SE_T6_
; %bb.0:
	s_load_dword s2, s[4:5], 0x6ac
	s_load_dwordx8 s[8:15], s[4:5], 0x4e0
	s_add_u32 s0, s4, 0x6a0
	s_addc_u32 s1, s5, 0
	v_mov_b32_e32 v6, 0
	s_waitcnt lgkmcnt(0)
	s_and_b32 s2, s2, 0xffff
	s_mul_i32 s6, s6, s2
	v_add_u32_e32 v4, s6, v0
	v_mov_b32_e32 v5, v6
	v_cmp_gt_i64_e32 vcc, s[14:15], v[4:5]
	s_and_saveexec_b64 s[6:7], vcc
	s_cbranch_execz .LBB21_17
; %bb.1:
	s_load_dwordx2 s[6:7], s[4:5], 0x5d0
	s_load_dword s26, s[4:5], 0x4d8
	s_load_dwordx2 s[16:17], s[4:5], 0x500
	s_load_dword s3, s[0:1], 0x0
	s_add_u32 s27, s4, 0x340
	s_addc_u32 s28, s5, 0
	s_waitcnt lgkmcnt(0)
	s_cmp_gt_i32 s26, 1
	s_cselect_b64 s[0:1], -1, 0
	s_load_dwordx2 s[18:19], s[4:5], 0x0
	s_load_dwordx2 s[20:21], s[4:5], 0xd0
	;; [unrolled: 1-line block ×4, first 2 shown]
	s_sub_u32 s33, s12, s10
	s_subb_u32 s40, s13, s11
	s_mul_i32 s41, s3, s2
	s_mov_b32 s3, 0
	s_add_i32 s2, s26, -1
	s_add_i32 s42, s26, 1
	s_lshl_b64 s[2:3], s[2:3], 3
	s_add_u32 s2, s27, s2
	s_addc_u32 s3, s28, s3
	s_add_u32 s4, s2, 8
	v_cndmask_b32_e64 v0, 0, 1, s[0:1]
	s_addc_u32 s5, s3, 0
	s_mov_b64 s[26:27], 0
	v_cmp_ne_u32_e64 s[0:1], 1, v0
	s_branch .LBB21_3
.LBB21_2:                               ;   in Loop: Header=BB21_3 Depth=1
	s_or_b64 exec, exec, s[28:29]
	v_add_co_u32_e32 v4, vcc, s41, v4
	v_addc_co_u32_e32 v5, vcc, 0, v5, vcc
	v_cmp_le_i64_e32 vcc, s[14:15], v[4:5]
	s_or_b64 s[26:27], vcc, s[26:27]
	s_andn2_b64 exec, exec, s[26:27]
	s_cbranch_execz .LBB21_17
.LBB21_3:                               ; =>This Loop Header: Depth=1
                                        ;     Child Loop BB21_4 Depth 2
                                        ;     Child Loop BB21_16 Depth 2
	v_mov_b32_e32 v0, 0
	v_mov_b32_e32 v2, v4
	;; [unrolled: 1-line block ×4, first 2 shown]
	s_and_b64 vcc, exec, s[0:1]
	s_mov_b64 s[28:29], s[4:5]
	s_mov_b32 s43, s42
	v_mov_b32_e32 v3, v5
	v_mov_b32_e32 v7, v4
	s_cbranch_vccnz .LBB21_10
.LBB21_4:                               ;   Parent Loop BB21_3 Depth=1
                                        ; =>  This Inner Loop Header: Depth=2
	s_load_dwordx2 s[30:31], s[28:29], 0x0
	s_waitcnt lgkmcnt(0)
	v_or_b32_e32 v7, s31, v3
	v_cmp_ne_u64_e32 vcc, 0, v[6:7]
                                        ; implicit-def: $vgpr7_vgpr8
	s_and_saveexec_b64 s[2:3], vcc
	s_xor_b64 s[34:35], exec, s[2:3]
	s_cbranch_execz .LBB21_6
; %bb.5:                                ;   in Loop: Header=BB21_4 Depth=2
	s_ashr_i32 s36, s31, 31
	s_add_u32 s2, s30, s36
	s_mov_b32 s37, s36
	s_addc_u32 s3, s31, s36
	s_xor_b64 s[38:39], s[2:3], s[36:37]
	v_cvt_f32_u32_e32 v7, s38
	v_cvt_f32_u32_e32 v8, s39
	s_sub_u32 s37, 0, s38
	s_subb_u32 s44, 0, s39
	v_ashrrev_i32_e32 v11, 31, v3
	v_mac_f32_e32 v7, 0x4f800000, v8
	v_rcp_f32_e32 v7, v7
	v_mul_f32_e32 v7, 0x5f7ffffc, v7
	v_mul_f32_e32 v8, 0x2f800000, v7
	v_trunc_f32_e32 v8, v8
	v_mac_f32_e32 v7, 0xcf800000, v8
	v_cvt_u32_f32_e32 v8, v8
	v_cvt_u32_f32_e32 v7, v7
	v_readfirstlane_b32 s45, v8
	v_readfirstlane_b32 s2, v7
	s_mul_i32 s3, s37, s45
	s_mul_hi_u32 s47, s37, s2
	s_mul_i32 s46, s44, s2
	s_add_i32 s3, s47, s3
	s_add_i32 s3, s3, s46
	s_mul_i32 s48, s37, s2
	s_mul_i32 s47, s2, s3
	s_mul_hi_u32 s49, s2, s48
	s_mul_hi_u32 s46, s2, s3
	s_add_u32 s47, s49, s47
	s_addc_u32 s46, 0, s46
	s_mul_hi_u32 s50, s45, s48
	s_mul_i32 s48, s45, s48
	s_add_u32 s47, s47, s48
	s_mul_hi_u32 s49, s45, s3
	s_addc_u32 s46, s46, s50
	s_addc_u32 s47, s49, 0
	s_mul_i32 s3, s45, s3
	s_add_u32 s3, s46, s3
	s_addc_u32 s46, 0, s47
	s_add_u32 s47, s2, s3
	s_cselect_b64 s[2:3], -1, 0
	s_cmp_lg_u64 s[2:3], 0
	s_addc_u32 s45, s45, s46
	s_mul_i32 s2, s37, s45
	s_mul_hi_u32 s3, s37, s47
	s_add_i32 s2, s3, s2
	s_mul_i32 s44, s44, s47
	s_add_i32 s2, s2, s44
	s_mul_i32 s37, s37, s47
	s_mul_hi_u32 s44, s45, s37
	s_mul_i32 s46, s45, s37
	s_mul_i32 s49, s47, s2
	s_mul_hi_u32 s37, s47, s37
	s_mul_hi_u32 s48, s47, s2
	s_add_u32 s37, s37, s49
	s_addc_u32 s48, 0, s48
	s_add_u32 s37, s37, s46
	s_mul_hi_u32 s3, s45, s2
	s_addc_u32 s37, s48, s44
	s_addc_u32 s3, s3, 0
	s_mul_i32 s2, s45, s2
	s_add_u32 s2, s37, s2
	s_addc_u32 s37, 0, s3
	s_add_u32 s44, s47, s2
	s_cselect_b64 s[2:3], -1, 0
	s_cmp_lg_u64 s[2:3], 0
	v_add_co_u32_e32 v7, vcc, v2, v11
	s_addc_u32 s37, s45, s37
	v_xor_b32_e32 v12, v7, v11
	v_mad_u64_u32 v[7:8], s[2:3], v12, s37, 0
	v_mul_hi_u32 v10, v12, s44
	v_addc_co_u32_e32 v9, vcc, v3, v11, vcc
	v_xor_b32_e32 v13, v9, v11
	v_add_co_u32_e32 v14, vcc, v10, v7
	v_addc_co_u32_e32 v15, vcc, 0, v8, vcc
	v_mad_u64_u32 v[7:8], s[2:3], v13, s44, 0
	v_mad_u64_u32 v[9:10], s[2:3], v13, s37, 0
	v_add_co_u32_e32 v7, vcc, v14, v7
	v_addc_co_u32_e32 v7, vcc, v15, v8, vcc
	v_addc_co_u32_e32 v8, vcc, 0, v10, vcc
	v_add_co_u32_e32 v9, vcc, v7, v9
	v_addc_co_u32_e32 v10, vcc, 0, v8, vcc
	v_mul_lo_u32 v14, s39, v9
	v_mul_lo_u32 v15, s38, v10
	v_mad_u64_u32 v[7:8], s[2:3], s38, v9, 0
	v_add3_u32 v8, v8, v15, v14
	v_sub_u32_e32 v14, v13, v8
	v_mov_b32_e32 v15, s39
	v_sub_co_u32_e32 v7, vcc, v12, v7
	v_subb_co_u32_e64 v12, s[2:3], v14, v15, vcc
	v_subrev_co_u32_e64 v14, s[2:3], s38, v7
	v_subbrev_co_u32_e64 v12, s[2:3], 0, v12, s[2:3]
	v_cmp_le_u32_e64 s[2:3], s39, v12
	v_cndmask_b32_e64 v15, 0, -1, s[2:3]
	v_cmp_le_u32_e64 s[2:3], s38, v14
	v_cndmask_b32_e64 v14, 0, -1, s[2:3]
	v_cmp_eq_u32_e64 s[2:3], s39, v12
	v_cndmask_b32_e64 v12, v15, v14, s[2:3]
	v_add_co_u32_e64 v14, s[2:3], 2, v9
	v_subb_co_u32_e32 v8, vcc, v13, v8, vcc
	v_addc_co_u32_e64 v15, s[2:3], 0, v10, s[2:3]
	v_cmp_le_u32_e32 vcc, s39, v8
	v_add_co_u32_e64 v16, s[2:3], 1, v9
	v_cndmask_b32_e64 v13, 0, -1, vcc
	v_cmp_le_u32_e32 vcc, s38, v7
	v_addc_co_u32_e64 v17, s[2:3], 0, v10, s[2:3]
	v_cndmask_b32_e64 v7, 0, -1, vcc
	v_cmp_eq_u32_e32 vcc, s39, v8
	v_cmp_ne_u32_e64 s[2:3], 0, v12
	v_cndmask_b32_e32 v7, v13, v7, vcc
	v_cndmask_b32_e64 v12, v17, v15, s[2:3]
	v_cmp_ne_u32_e32 vcc, 0, v7
	v_cndmask_b32_e64 v8, v16, v14, s[2:3]
	v_cndmask_b32_e32 v7, v10, v12, vcc
	v_cndmask_b32_e32 v8, v9, v8, vcc
	v_xor_b32_e32 v9, s36, v11
	v_xor_b32_e32 v10, v7, v9
	;; [unrolled: 1-line block ×3, first 2 shown]
	v_sub_co_u32_e32 v7, vcc, v7, v9
	v_subb_co_u32_e32 v8, vcc, v10, v9, vcc
.LBB21_6:                               ;   in Loop: Header=BB21_4 Depth=2
	s_andn2_saveexec_b64 s[2:3], s[34:35]
	s_cbranch_execz .LBB21_8
; %bb.7:                                ;   in Loop: Header=BB21_4 Depth=2
	v_cvt_f32_u32_e32 v7, s30
	s_sub_i32 s34, 0, s30
	v_rcp_iflag_f32_e32 v7, v7
	v_mul_f32_e32 v7, 0x4f7ffffe, v7
	v_cvt_u32_f32_e32 v7, v7
	v_mul_lo_u32 v8, s34, v7
	v_mul_hi_u32 v8, v7, v8
	v_add_u32_e32 v7, v7, v8
	v_mul_hi_u32 v7, v2, v7
	v_mul_lo_u32 v8, v7, s30
	v_add_u32_e32 v9, 1, v7
	v_sub_u32_e32 v8, v2, v8
	v_subrev_u32_e32 v10, s30, v8
	v_cmp_le_u32_e32 vcc, s30, v8
	v_cndmask_b32_e32 v8, v8, v10, vcc
	v_cndmask_b32_e32 v7, v7, v9, vcc
	v_add_u32_e32 v9, 1, v7
	v_cmp_le_u32_e32 vcc, s30, v8
	v_cndmask_b32_e32 v7, v7, v9, vcc
	v_mov_b32_e32 v8, v6
.LBB21_8:                               ;   in Loop: Header=BB21_4 Depth=2
	s_or_b64 exec, exec, s[2:3]
	v_mul_lo_u32 v11, v8, s30
	v_mul_lo_u32 v12, v7, s31
	v_mad_u64_u32 v[9:10], s[2:3], v7, s30, 0
	s_load_dwordx2 s[2:3], s[28:29], 0xc8
	s_add_i32 s43, s43, -1
	v_add3_u32 v10, v10, v12, v11
	v_sub_co_u32_e32 v2, vcc, v2, v9
	v_subb_co_u32_e32 v3, vcc, v3, v10, vcc
	s_waitcnt lgkmcnt(0)
	v_mul_lo_u32 v3, s2, v3
	v_mul_lo_u32 v9, s3, v2
	v_mad_u64_u32 v[0:1], s[2:3], s2, v2, v[0:1]
	s_add_u32 s28, s28, -8
	s_addc_u32 s29, s29, -1
	s_cmp_gt_u32 s43, 2
	v_add3_u32 v1, v9, v1, v3
	s_cbranch_scc0 .LBB21_10
; %bb.9:                                ;   in Loop: Header=BB21_4 Depth=2
	v_mov_b32_e32 v2, v7
	v_mov_b32_e32 v3, v8
	s_branch .LBB21_4
.LBB21_10:                              ;   in Loop: Header=BB21_3 Depth=1
	s_waitcnt lgkmcnt(0)
	v_mov_b32_e32 v2, s24
	v_mov_b32_e32 v3, s25
	v_mul_lo_u32 v8, s22, v8
	v_mul_lo_u32 v9, s23, v7
	v_mad_u64_u32 v[2:3], s[2:3], s22, v7, v[2:3]
	v_add3_u32 v3, v9, v3, v8
	v_add_co_u32_e32 v0, vcc, v2, v0
	v_addc_co_u32_e32 v1, vcc, v3, v1, vcc
	global_load_sbyte v0, v[0:1], off
	s_waitcnt vmcnt(0)
	v_bfe_i32 v0, v0, 0, 16
	v_ashrrev_i32_e32 v1, 31, v0
	v_cmp_le_i64_e32 vcc, s[10:11], v[0:1]
	v_cmp_ge_i64_e64 s[2:3], s[12:13], v[0:1]
	s_and_b64 s[2:3], vcc, s[2:3]
	s_and_saveexec_b64 s[28:29], s[2:3]
	s_cbranch_execz .LBB21_2
; %bb.11:                               ;   in Loop: Header=BB21_3 Depth=1
	v_mov_b32_e32 v2, s11
	v_subrev_co_u32_e32 v0, vcc, s10, v0
	v_subb_co_u32_e32 v1, vcc, v1, v2, vcc
	v_mul_lo_u32 v2, v1, s8
	v_mul_lo_u32 v3, v0, s9
	v_mad_u64_u32 v[0:1], s[2:3], v0, s8, 0
	v_add3_u32 v1, v1, v3, v2
	v_or_b32_e32 v7, s40, v1
	v_cmp_ne_u64_e32 vcc, 0, v[6:7]
                                        ; implicit-def: $vgpr2_vgpr3
	s_and_saveexec_b64 s[2:3], vcc
	s_xor_b64 s[30:31], exec, s[2:3]
	s_cbranch_execz .LBB21_13
; %bb.12:                               ;   in Loop: Header=BB21_3 Depth=1
	s_ashr_i32 s34, s40, 31
	s_add_u32 s2, s33, s34
	s_mov_b32 s35, s34
	s_addc_u32 s3, s40, s34
	s_xor_b64 s[36:37], s[2:3], s[34:35]
	v_cvt_f32_u32_e32 v2, s36
	v_cvt_f32_u32_e32 v3, s37
	s_sub_u32 s35, 0, s36
	s_subb_u32 s38, 0, s37
	v_ashrrev_i32_e32 v7, 31, v1
	v_mac_f32_e32 v2, 0x4f800000, v3
	v_rcp_f32_e32 v2, v2
	v_add_co_u32_e32 v0, vcc, v0, v7
	v_xor_b32_e32 v8, v0, v7
	v_mul_f32_e32 v2, 0x5f7ffffc, v2
	v_mul_f32_e32 v3, 0x2f800000, v2
	v_trunc_f32_e32 v3, v3
	v_mac_f32_e32 v2, 0xcf800000, v3
	v_cvt_u32_f32_e32 v3, v3
	v_cvt_u32_f32_e32 v2, v2
	v_readfirstlane_b32 s39, v3
	v_readfirstlane_b32 s2, v2
	s_mul_i32 s3, s35, s39
	s_mul_hi_u32 s44, s35, s2
	s_mul_i32 s43, s38, s2
	s_add_i32 s3, s44, s3
	s_add_i32 s3, s3, s43
	s_mul_i32 s45, s35, s2
	s_mul_i32 s44, s2, s3
	s_mul_hi_u32 s46, s2, s45
	s_mul_hi_u32 s43, s2, s3
	s_add_u32 s44, s46, s44
	s_addc_u32 s43, 0, s43
	s_mul_hi_u32 s47, s39, s45
	s_mul_i32 s45, s39, s45
	s_add_u32 s44, s44, s45
	s_mul_hi_u32 s46, s39, s3
	s_addc_u32 s43, s43, s47
	s_addc_u32 s44, s46, 0
	s_mul_i32 s3, s39, s3
	s_add_u32 s3, s43, s3
	s_addc_u32 s43, 0, s44
	s_add_u32 s44, s2, s3
	s_cselect_b64 s[2:3], -1, 0
	s_cmp_lg_u64 s[2:3], 0
	s_addc_u32 s39, s39, s43
	s_mul_i32 s2, s35, s39
	s_mul_hi_u32 s3, s35, s44
	s_add_i32 s2, s3, s2
	s_mul_i32 s38, s38, s44
	s_add_i32 s2, s2, s38
	s_mul_i32 s35, s35, s44
	s_mul_hi_u32 s38, s39, s35
	s_mul_i32 s43, s39, s35
	s_mul_i32 s46, s44, s2
	s_mul_hi_u32 s35, s44, s35
	s_mul_hi_u32 s45, s44, s2
	s_add_u32 s35, s35, s46
	s_addc_u32 s45, 0, s45
	s_add_u32 s35, s35, s43
	s_mul_hi_u32 s3, s39, s2
	s_addc_u32 s35, s45, s38
	s_addc_u32 s3, s3, 0
	s_mul_i32 s2, s39, s2
	s_add_u32 s2, s35, s2
	s_addc_u32 s35, 0, s3
	s_add_u32 s38, s44, s2
	s_cselect_b64 s[2:3], -1, 0
	s_cmp_lg_u64 s[2:3], 0
	s_addc_u32 s35, s39, s35
	v_addc_co_u32_e32 v2, vcc, v1, v7, vcc
	v_mad_u64_u32 v[0:1], s[2:3], v8, s35, 0
	v_mul_hi_u32 v3, v8, s38
	v_xor_b32_e32 v9, v2, v7
	v_add_co_u32_e32 v10, vcc, v3, v0
	v_addc_co_u32_e32 v11, vcc, 0, v1, vcc
	v_mad_u64_u32 v[0:1], s[2:3], v9, s38, 0
	v_mad_u64_u32 v[2:3], s[2:3], v9, s35, 0
	v_add_co_u32_e32 v0, vcc, v10, v0
	v_addc_co_u32_e32 v0, vcc, v11, v1, vcc
	v_addc_co_u32_e32 v1, vcc, 0, v3, vcc
	v_add_co_u32_e32 v2, vcc, v0, v2
	v_addc_co_u32_e32 v0, vcc, 0, v1, vcc
	v_mul_lo_u32 v3, s37, v2
	v_mul_lo_u32 v10, s36, v0
	v_mad_u64_u32 v[0:1], s[2:3], s36, v2, 0
	v_add3_u32 v1, v1, v10, v3
	v_sub_u32_e32 v3, v9, v1
	v_mov_b32_e32 v10, s37
	v_sub_co_u32_e32 v0, vcc, v8, v0
	v_subb_co_u32_e64 v3, s[2:3], v3, v10, vcc
	v_subrev_co_u32_e64 v8, s[2:3], s36, v0
	v_subbrev_co_u32_e64 v3, s[2:3], 0, v3, s[2:3]
	v_cmp_le_u32_e64 s[2:3], s37, v3
	v_subb_co_u32_e32 v1, vcc, v9, v1, vcc
	v_cndmask_b32_e64 v10, 0, -1, s[2:3]
	v_cmp_le_u32_e64 s[2:3], s36, v8
	v_cmp_le_u32_e32 vcc, s37, v1
	v_cndmask_b32_e64 v8, 0, -1, s[2:3]
	v_cmp_eq_u32_e64 s[2:3], s37, v3
	v_cndmask_b32_e64 v9, 0, -1, vcc
	v_cmp_le_u32_e32 vcc, s36, v0
	v_cndmask_b32_e64 v3, v10, v8, s[2:3]
	v_cndmask_b32_e64 v0, 0, -1, vcc
	v_cmp_eq_u32_e32 vcc, s37, v1
	v_add_co_u32_e64 v8, s[2:3], 2, v2
	v_add_co_u32_e64 v10, s[2:3], 1, v2
	v_cndmask_b32_e32 v0, v9, v0, vcc
	v_cmp_ne_u32_e32 vcc, 0, v3
	v_cndmask_b32_e32 v1, v10, v8, vcc
	v_cmp_ne_u32_e32 vcc, 0, v0
	v_cndmask_b32_e32 v0, v2, v1, vcc
	v_xor_b32_e32 v1, s34, v7
	v_xor_b32_e32 v0, v0, v1
	v_sub_co_u32_e32 v2, vcc, v0, v1
                                        ; implicit-def: $vgpr0_vgpr1
.LBB21_13:                              ;   in Loop: Header=BB21_3 Depth=1
	s_andn2_saveexec_b64 s[2:3], s[30:31]
	s_cbranch_execz .LBB21_15
; %bb.14:                               ;   in Loop: Header=BB21_3 Depth=1
	v_cvt_f32_u32_e32 v1, s33
	s_sub_i32 s30, 0, s33
	v_rcp_iflag_f32_e32 v1, v1
	v_mul_f32_e32 v1, 0x4f7ffffe, v1
	v_cvt_u32_f32_e32 v1, v1
	v_mul_lo_u32 v2, s30, v1
	v_mul_hi_u32 v2, v1, v2
	v_add_u32_e32 v1, v1, v2
	v_mul_hi_u32 v1, v0, v1
	v_mul_lo_u32 v2, v1, s33
	v_add_u32_e32 v3, 1, v1
	v_sub_u32_e32 v0, v0, v2
	v_subrev_u32_e32 v2, s33, v0
	v_cmp_le_u32_e32 vcc, s33, v0
	v_cndmask_b32_e32 v0, v0, v2, vcc
	v_cndmask_b32_e32 v1, v1, v3, vcc
	v_add_u32_e32 v2, 1, v1
	v_cmp_le_u32_e32 vcc, s33, v0
	v_cndmask_b32_e32 v2, v1, v2, vcc
.LBB21_15:                              ;   in Loop: Header=BB21_3 Depth=1
	s_or_b64 exec, exec, s[2:3]
	v_ashrrev_i32_e32 v3, 31, v2
	v_cmp_eq_u64_e32 vcc, s[8:9], v[2:3]
	v_mul_lo_u32 v9, v5, s6
	v_cndmask_b32_e64 v0, 0, 1, vcc
	v_sub_co_u32_e32 v0, vcc, v2, v0
	v_subbrev_co_u32_e32 v1, vcc, 0, v3, vcc
	v_mul_lo_u32 v2, v1, s20
	v_mul_lo_u32 v3, v0, s21
	v_mad_u64_u32 v[0:1], s[2:3], v0, s20, 0
	v_mul_lo_u32 v10, v4, s7
	v_mov_b32_e32 v8, s19
	v_add3_u32 v1, v1, v3, v2
	v_mad_u64_u32 v[2:3], s[2:3], v4, s6, 0
	v_lshlrev_b64 v[0:1], 3, v[0:1]
	s_mov_b64 s[2:3], 0
	v_add_co_u32_e32 v7, vcc, s18, v0
	v_add3_u32 v3, v3, v10, v9
	v_addc_co_u32_e32 v8, vcc, v8, v1, vcc
	v_lshlrev_b64 v[0:1], 3, v[2:3]
	v_mov_b32_e32 v2, s17
	v_add_co_u32_e32 v0, vcc, s16, v0
	v_addc_co_u32_e32 v1, vcc, v2, v1, vcc
	global_load_dwordx2 v[9:10], v[0:1], off
	global_load_dwordx2 v[2:3], v[7:8], off
.LBB21_16:                              ;   Parent Loop BB21_3 Depth=1
                                        ; =>  This Inner Loop Header: Depth=2
	s_waitcnt vmcnt(0)
	v_add_f64 v[0:1], v[2:3], v[9:10]
	global_atomic_cmpswap_x2 v[0:1], v[7:8], v[0:3], off glc
	s_waitcnt vmcnt(0)
	v_cmp_eq_u64_e32 vcc, v[0:1], v[2:3]
	v_mov_b32_e32 v3, v1
	s_or_b64 s[2:3], vcc, s[2:3]
	v_mov_b32_e32 v2, v0
	s_andn2_b64 exec, exec, s[2:3]
	s_cbranch_execnz .LBB21_16
	s_branch .LBB21_2
.LBB21_17:
	s_endpgm
	.section	.rodata,"a",@progbits
	.p2align	6, 0x0
	.amdhsa_kernel _ZN2at4cuda17kernelHistogram1DIdalLi1ELi2ELin1ELNS0_23CUDAHistogramMemoryTypeE1EZNS0_21CUDA_tensor_histogramIdaLb1EEEbNS_6TensorES4_S4_lNS_14AccumulateTypeIT0_Lb1EE4typeES8_NS0_13TensorArgTypeES9_S9_EUllE_EEvNS0_6detail10TensorInfoIT_T1_EESF_NSC_IKS6_SE_EElS8_S8_SE_T6_
		.amdhsa_group_segment_fixed_size 0
		.amdhsa_private_segment_fixed_size 0
		.amdhsa_kernarg_size 1952
		.amdhsa_user_sgpr_count 6
		.amdhsa_user_sgpr_private_segment_buffer 1
		.amdhsa_user_sgpr_dispatch_ptr 0
		.amdhsa_user_sgpr_queue_ptr 0
		.amdhsa_user_sgpr_kernarg_segment_ptr 1
		.amdhsa_user_sgpr_dispatch_id 0
		.amdhsa_user_sgpr_flat_scratch_init 0
		.amdhsa_user_sgpr_private_segment_size 0
		.amdhsa_uses_dynamic_stack 0
		.amdhsa_system_sgpr_private_segment_wavefront_offset 0
		.amdhsa_system_sgpr_workgroup_id_x 1
		.amdhsa_system_sgpr_workgroup_id_y 0
		.amdhsa_system_sgpr_workgroup_id_z 0
		.amdhsa_system_sgpr_workgroup_info 0
		.amdhsa_system_vgpr_workitem_id 0
		.amdhsa_next_free_vgpr 18
		.amdhsa_next_free_sgpr 51
		.amdhsa_reserve_vcc 1
		.amdhsa_reserve_flat_scratch 0
		.amdhsa_float_round_mode_32 0
		.amdhsa_float_round_mode_16_64 0
		.amdhsa_float_denorm_mode_32 3
		.amdhsa_float_denorm_mode_16_64 3
		.amdhsa_dx10_clamp 1
		.amdhsa_ieee_mode 1
		.amdhsa_fp16_overflow 0
		.amdhsa_exception_fp_ieee_invalid_op 0
		.amdhsa_exception_fp_denorm_src 0
		.amdhsa_exception_fp_ieee_div_zero 0
		.amdhsa_exception_fp_ieee_overflow 0
		.amdhsa_exception_fp_ieee_underflow 0
		.amdhsa_exception_fp_ieee_inexact 0
		.amdhsa_exception_int_div_zero 0
	.end_amdhsa_kernel
	.section	.text._ZN2at4cuda17kernelHistogram1DIdalLi1ELi2ELin1ELNS0_23CUDAHistogramMemoryTypeE1EZNS0_21CUDA_tensor_histogramIdaLb1EEEbNS_6TensorES4_S4_lNS_14AccumulateTypeIT0_Lb1EE4typeES8_NS0_13TensorArgTypeES9_S9_EUllE_EEvNS0_6detail10TensorInfoIT_T1_EESF_NSC_IKS6_SE_EElS8_S8_SE_T6_,"axG",@progbits,_ZN2at4cuda17kernelHistogram1DIdalLi1ELi2ELin1ELNS0_23CUDAHistogramMemoryTypeE1EZNS0_21CUDA_tensor_histogramIdaLb1EEEbNS_6TensorES4_S4_lNS_14AccumulateTypeIT0_Lb1EE4typeES8_NS0_13TensorArgTypeES9_S9_EUllE_EEvNS0_6detail10TensorInfoIT_T1_EESF_NSC_IKS6_SE_EElS8_S8_SE_T6_,comdat
.Lfunc_end21:
	.size	_ZN2at4cuda17kernelHistogram1DIdalLi1ELi2ELin1ELNS0_23CUDAHistogramMemoryTypeE1EZNS0_21CUDA_tensor_histogramIdaLb1EEEbNS_6TensorES4_S4_lNS_14AccumulateTypeIT0_Lb1EE4typeES8_NS0_13TensorArgTypeES9_S9_EUllE_EEvNS0_6detail10TensorInfoIT_T1_EESF_NSC_IKS6_SE_EElS8_S8_SE_T6_, .Lfunc_end21-_ZN2at4cuda17kernelHistogram1DIdalLi1ELi2ELin1ELNS0_23CUDAHistogramMemoryTypeE1EZNS0_21CUDA_tensor_histogramIdaLb1EEEbNS_6TensorES4_S4_lNS_14AccumulateTypeIT0_Lb1EE4typeES8_NS0_13TensorArgTypeES9_S9_EUllE_EEvNS0_6detail10TensorInfoIT_T1_EESF_NSC_IKS6_SE_EElS8_S8_SE_T6_
                                        ; -- End function
	.set _ZN2at4cuda17kernelHistogram1DIdalLi1ELi2ELin1ELNS0_23CUDAHistogramMemoryTypeE1EZNS0_21CUDA_tensor_histogramIdaLb1EEEbNS_6TensorES4_S4_lNS_14AccumulateTypeIT0_Lb1EE4typeES8_NS0_13TensorArgTypeES9_S9_EUllE_EEvNS0_6detail10TensorInfoIT_T1_EESF_NSC_IKS6_SE_EElS8_S8_SE_T6_.num_vgpr, 18
	.set _ZN2at4cuda17kernelHistogram1DIdalLi1ELi2ELin1ELNS0_23CUDAHistogramMemoryTypeE1EZNS0_21CUDA_tensor_histogramIdaLb1EEEbNS_6TensorES4_S4_lNS_14AccumulateTypeIT0_Lb1EE4typeES8_NS0_13TensorArgTypeES9_S9_EUllE_EEvNS0_6detail10TensorInfoIT_T1_EESF_NSC_IKS6_SE_EElS8_S8_SE_T6_.num_agpr, 0
	.set _ZN2at4cuda17kernelHistogram1DIdalLi1ELi2ELin1ELNS0_23CUDAHistogramMemoryTypeE1EZNS0_21CUDA_tensor_histogramIdaLb1EEEbNS_6TensorES4_S4_lNS_14AccumulateTypeIT0_Lb1EE4typeES8_NS0_13TensorArgTypeES9_S9_EUllE_EEvNS0_6detail10TensorInfoIT_T1_EESF_NSC_IKS6_SE_EElS8_S8_SE_T6_.numbered_sgpr, 51
	.set _ZN2at4cuda17kernelHistogram1DIdalLi1ELi2ELin1ELNS0_23CUDAHistogramMemoryTypeE1EZNS0_21CUDA_tensor_histogramIdaLb1EEEbNS_6TensorES4_S4_lNS_14AccumulateTypeIT0_Lb1EE4typeES8_NS0_13TensorArgTypeES9_S9_EUllE_EEvNS0_6detail10TensorInfoIT_T1_EESF_NSC_IKS6_SE_EElS8_S8_SE_T6_.num_named_barrier, 0
	.set _ZN2at4cuda17kernelHistogram1DIdalLi1ELi2ELin1ELNS0_23CUDAHistogramMemoryTypeE1EZNS0_21CUDA_tensor_histogramIdaLb1EEEbNS_6TensorES4_S4_lNS_14AccumulateTypeIT0_Lb1EE4typeES8_NS0_13TensorArgTypeES9_S9_EUllE_EEvNS0_6detail10TensorInfoIT_T1_EESF_NSC_IKS6_SE_EElS8_S8_SE_T6_.private_seg_size, 0
	.set _ZN2at4cuda17kernelHistogram1DIdalLi1ELi2ELin1ELNS0_23CUDAHistogramMemoryTypeE1EZNS0_21CUDA_tensor_histogramIdaLb1EEEbNS_6TensorES4_S4_lNS_14AccumulateTypeIT0_Lb1EE4typeES8_NS0_13TensorArgTypeES9_S9_EUllE_EEvNS0_6detail10TensorInfoIT_T1_EESF_NSC_IKS6_SE_EElS8_S8_SE_T6_.uses_vcc, 1
	.set _ZN2at4cuda17kernelHistogram1DIdalLi1ELi2ELin1ELNS0_23CUDAHistogramMemoryTypeE1EZNS0_21CUDA_tensor_histogramIdaLb1EEEbNS_6TensorES4_S4_lNS_14AccumulateTypeIT0_Lb1EE4typeES8_NS0_13TensorArgTypeES9_S9_EUllE_EEvNS0_6detail10TensorInfoIT_T1_EESF_NSC_IKS6_SE_EElS8_S8_SE_T6_.uses_flat_scratch, 0
	.set _ZN2at4cuda17kernelHistogram1DIdalLi1ELi2ELin1ELNS0_23CUDAHistogramMemoryTypeE1EZNS0_21CUDA_tensor_histogramIdaLb1EEEbNS_6TensorES4_S4_lNS_14AccumulateTypeIT0_Lb1EE4typeES8_NS0_13TensorArgTypeES9_S9_EUllE_EEvNS0_6detail10TensorInfoIT_T1_EESF_NSC_IKS6_SE_EElS8_S8_SE_T6_.has_dyn_sized_stack, 0
	.set _ZN2at4cuda17kernelHistogram1DIdalLi1ELi2ELin1ELNS0_23CUDAHistogramMemoryTypeE1EZNS0_21CUDA_tensor_histogramIdaLb1EEEbNS_6TensorES4_S4_lNS_14AccumulateTypeIT0_Lb1EE4typeES8_NS0_13TensorArgTypeES9_S9_EUllE_EEvNS0_6detail10TensorInfoIT_T1_EESF_NSC_IKS6_SE_EElS8_S8_SE_T6_.has_recursion, 0
	.set _ZN2at4cuda17kernelHistogram1DIdalLi1ELi2ELin1ELNS0_23CUDAHistogramMemoryTypeE1EZNS0_21CUDA_tensor_histogramIdaLb1EEEbNS_6TensorES4_S4_lNS_14AccumulateTypeIT0_Lb1EE4typeES8_NS0_13TensorArgTypeES9_S9_EUllE_EEvNS0_6detail10TensorInfoIT_T1_EESF_NSC_IKS6_SE_EElS8_S8_SE_T6_.has_indirect_call, 0
	.section	.AMDGPU.csdata,"",@progbits
; Kernel info:
; codeLenInByte = 2192
; TotalNumSgprs: 55
; NumVgprs: 18
; ScratchSize: 0
; MemoryBound: 0
; FloatMode: 240
; IeeeMode: 1
; LDSByteSize: 0 bytes/workgroup (compile time only)
; SGPRBlocks: 6
; VGPRBlocks: 4
; NumSGPRsForWavesPerEU: 55
; NumVGPRsForWavesPerEU: 18
; Occupancy: 10
; WaveLimiterHint : 1
; COMPUTE_PGM_RSRC2:SCRATCH_EN: 0
; COMPUTE_PGM_RSRC2:USER_SGPR: 6
; COMPUTE_PGM_RSRC2:TRAP_HANDLER: 0
; COMPUTE_PGM_RSRC2:TGID_X_EN: 1
; COMPUTE_PGM_RSRC2:TGID_Y_EN: 0
; COMPUTE_PGM_RSRC2:TGID_Z_EN: 0
; COMPUTE_PGM_RSRC2:TIDIG_COMP_CNT: 0
	.section	.text._ZN2at4cuda17kernelHistogram1DIdalLi1ELi2ELin1ELNS0_23CUDAHistogramMemoryTypeE0EZNS0_21CUDA_tensor_histogramIdaLb1EEEbNS_6TensorES4_S4_lNS_14AccumulateTypeIT0_Lb1EE4typeES8_NS0_13TensorArgTypeES9_S9_EUllE0_EEvNS0_6detail10TensorInfoIT_T1_EESF_NSC_IKS6_SE_EElS8_S8_SE_T6_,"axG",@progbits,_ZN2at4cuda17kernelHistogram1DIdalLi1ELi2ELin1ELNS0_23CUDAHistogramMemoryTypeE0EZNS0_21CUDA_tensor_histogramIdaLb1EEEbNS_6TensorES4_S4_lNS_14AccumulateTypeIT0_Lb1EE4typeES8_NS0_13TensorArgTypeES9_S9_EUllE0_EEvNS0_6detail10TensorInfoIT_T1_EESF_NSC_IKS6_SE_EElS8_S8_SE_T6_,comdat
	.protected	_ZN2at4cuda17kernelHistogram1DIdalLi1ELi2ELin1ELNS0_23CUDAHistogramMemoryTypeE0EZNS0_21CUDA_tensor_histogramIdaLb1EEEbNS_6TensorES4_S4_lNS_14AccumulateTypeIT0_Lb1EE4typeES8_NS0_13TensorArgTypeES9_S9_EUllE0_EEvNS0_6detail10TensorInfoIT_T1_EESF_NSC_IKS6_SE_EElS8_S8_SE_T6_ ; -- Begin function _ZN2at4cuda17kernelHistogram1DIdalLi1ELi2ELin1ELNS0_23CUDAHistogramMemoryTypeE0EZNS0_21CUDA_tensor_histogramIdaLb1EEEbNS_6TensorES4_S4_lNS_14AccumulateTypeIT0_Lb1EE4typeES8_NS0_13TensorArgTypeES9_S9_EUllE0_EEvNS0_6detail10TensorInfoIT_T1_EESF_NSC_IKS6_SE_EElS8_S8_SE_T6_
	.globl	_ZN2at4cuda17kernelHistogram1DIdalLi1ELi2ELin1ELNS0_23CUDAHistogramMemoryTypeE0EZNS0_21CUDA_tensor_histogramIdaLb1EEEbNS_6TensorES4_S4_lNS_14AccumulateTypeIT0_Lb1EE4typeES8_NS0_13TensorArgTypeES9_S9_EUllE0_EEvNS0_6detail10TensorInfoIT_T1_EESF_NSC_IKS6_SE_EElS8_S8_SE_T6_
	.p2align	8
	.type	_ZN2at4cuda17kernelHistogram1DIdalLi1ELi2ELin1ELNS0_23CUDAHistogramMemoryTypeE0EZNS0_21CUDA_tensor_histogramIdaLb1EEEbNS_6TensorES4_S4_lNS_14AccumulateTypeIT0_Lb1EE4typeES8_NS0_13TensorArgTypeES9_S9_EUllE0_EEvNS0_6detail10TensorInfoIT_T1_EESF_NSC_IKS6_SE_EElS8_S8_SE_T6_,@function
_ZN2at4cuda17kernelHistogram1DIdalLi1ELi2ELin1ELNS0_23CUDAHistogramMemoryTypeE0EZNS0_21CUDA_tensor_histogramIdaLb1EEEbNS_6TensorES4_S4_lNS_14AccumulateTypeIT0_Lb1EE4typeES8_NS0_13TensorArgTypeES9_S9_EUllE0_EEvNS0_6detail10TensorInfoIT_T1_EESF_NSC_IKS6_SE_EElS8_S8_SE_T6_: ; @_ZN2at4cuda17kernelHistogram1DIdalLi1ELi2ELin1ELNS0_23CUDAHistogramMemoryTypeE0EZNS0_21CUDA_tensor_histogramIdaLb1EEEbNS_6TensorES4_S4_lNS_14AccumulateTypeIT0_Lb1EE4typeES8_NS0_13TensorArgTypeES9_S9_EUllE0_EEvNS0_6detail10TensorInfoIT_T1_EESF_NSC_IKS6_SE_EElS8_S8_SE_T6_
; %bb.0:
	s_load_dwordx4 s[16:19], s[4:5], 0x0
	v_mov_b32_e32 v1, 0
	s_add_u32 s2, s4, 0x508
	s_addc_u32 s3, s5, 0
                                        ; implicit-def: $sgpr10
                                        ; implicit-def: $sgpr7
	s_waitcnt lgkmcnt(0)
	v_cmp_gt_i64_e64 s[0:1], s[18:19], v[0:1]
	v_cmp_le_i64_e32 vcc, s[18:19], v[0:1]
	s_and_saveexec_b64 s[8:9], vcc
	s_xor_b64 s[8:9], exec, s[8:9]
	s_cbranch_execz .LBB22_2
; %bb.1:
	s_load_dword s10, s[2:3], 0xc
	s_waitcnt lgkmcnt(0)
	s_and_b32 s7, s10, 0xffff
.LBB22_2:
	s_or_saveexec_b64 s[8:9], s[8:9]
	s_load_dwordx2 s[20:21], s[4:5], 0xd0
	v_mov_b32_e32 v12, s10
	v_mov_b32_e32 v5, s7
	s_xor_b64 exec, exec, s[8:9]
	s_cbranch_execz .LBB22_6
; %bb.3:
	s_load_dword s7, s[2:3], 0xc
	v_mov_b32_e32 v2, 0
	v_mov_b32_e32 v5, v1
	v_lshl_add_u32 v6, v0, 3, 0
	s_mov_b64 s[10:11], 0
	s_waitcnt lgkmcnt(0)
	s_and_b32 s12, s7, 0xffff
	v_mov_b32_e32 v3, v2
	s_lshl_b32 s13, s12, 3
	v_mov_b32_e32 v4, v0
.LBB22_4:                               ; =>This Inner Loop Header: Depth=1
	v_add_co_u32_e32 v4, vcc, s12, v4
	v_addc_co_u32_e32 v5, vcc, 0, v5, vcc
	v_cmp_le_i64_e32 vcc, s[18:19], v[4:5]
	ds_write_b64 v6, v[2:3]
	s_or_b64 s[10:11], vcc, s[10:11]
	v_add_u32_e32 v6, s13, v6
	s_andn2_b64 exec, exec, s[10:11]
	s_cbranch_execnz .LBB22_4
; %bb.5:
	s_or_b64 exec, exec, s[10:11]
	v_mov_b32_e32 v12, s7
	v_mov_b32_e32 v5, s12
.LBB22_6:
	s_or_b64 exec, exec, s[8:9]
	s_load_dwordx8 s[8:15], s[4:5], 0x4e0
	v_mad_u64_u32 v[2:3], s[6:7], s6, v5, v[0:1]
	v_mov_b32_e32 v4, 0
	v_mov_b32_e32 v3, v4
	s_waitcnt lgkmcnt(0)
	v_cmp_gt_i64_e32 vcc, s[14:15], v[2:3]
	s_barrier
	s_and_saveexec_b64 s[6:7], vcc
	s_cbranch_execz .LBB22_23
; %bb.7:
	s_load_dword s26, s[4:5], 0x4d8
	s_load_dwordx2 s[24:25], s[4:5], 0x340
	s_add_u32 s27, s4, 0x340
	s_addc_u32 s29, s5, 0
	s_load_dword s28, s[2:3], 0x0
	s_load_dwordx2 s[22:23], s[4:5], 0x410
	s_waitcnt lgkmcnt(0)
	s_cmp_gt_i32 s26, 1
	s_cselect_b64 s[2:3], -1, 0
	s_sub_u32 s33, s12, s10
	s_subb_u32 s42, s13, s11
	s_mov_b32 s5, 0
	s_add_i32 s4, s26, -1
	s_add_i32 s43, s26, 1
	s_lshl_b64 s[4:5], s[4:5], 3
	v_mul_lo_u32 v13, s28, v5
	s_add_u32 s4, s27, s4
	s_addc_u32 s5, s29, s5
	s_add_u32 s26, s4, 8
	v_cndmask_b32_e64 v5, 0, 1, s[2:3]
	s_addc_u32 s27, s5, 0
	s_mov_b64 s[28:29], 0
	v_cmp_ne_u32_e64 s[2:3], 1, v5
	s_branch .LBB22_9
.LBB22_8:                               ;   in Loop: Header=BB22_9 Depth=1
	s_or_b64 exec, exec, s[30:31]
	v_add_co_u32_e32 v2, vcc, v2, v13
	v_addc_co_u32_e32 v3, vcc, 0, v3, vcc
	v_cmp_le_i64_e32 vcc, s[14:15], v[2:3]
	s_or_b64 s[28:29], vcc, s[28:29]
	s_andn2_b64 exec, exec, s[28:29]
	s_cbranch_execz .LBB22_23
.LBB22_9:                               ; =>This Loop Header: Depth=1
                                        ;     Child Loop BB22_10 Depth 2
                                        ;     Child Loop BB22_22 Depth 2
	v_mov_b32_e32 v6, 0
	v_mov_b32_e32 v9, v3
	;; [unrolled: 1-line block ×4, first 2 shown]
	s_and_b64 vcc, exec, s[2:3]
	s_mov_b64 s[30:31], s[26:27]
	s_mov_b32 s44, s43
	v_mov_b32_e32 v8, v2
	v_mov_b32_e32 v10, v2
	s_cbranch_vccnz .LBB22_16
.LBB22_10:                              ;   Parent Loop BB22_9 Depth=1
                                        ; =>  This Inner Loop Header: Depth=2
	s_load_dwordx2 s[34:35], s[30:31], 0x0
                                        ; implicit-def: $vgpr10_vgpr11
	s_waitcnt lgkmcnt(0)
	v_or_b32_e32 v5, s35, v9
	v_cmp_ne_u64_e32 vcc, 0, v[4:5]
	s_and_saveexec_b64 s[4:5], vcc
	s_xor_b64 s[36:37], exec, s[4:5]
	s_cbranch_execz .LBB22_12
; %bb.11:                               ;   in Loop: Header=BB22_10 Depth=2
	s_ashr_i32 s38, s35, 31
	s_add_u32 s4, s34, s38
	s_mov_b32 s39, s38
	s_addc_u32 s5, s35, s38
	s_xor_b64 s[40:41], s[4:5], s[38:39]
	v_cvt_f32_u32_e32 v5, s40
	v_cvt_f32_u32_e32 v10, s41
	s_sub_u32 s39, 0, s40
	s_subb_u32 s45, 0, s41
	v_mac_f32_e32 v5, 0x4f800000, v10
	v_rcp_f32_e32 v5, v5
	v_mul_f32_e32 v5, 0x5f7ffffc, v5
	v_mul_f32_e32 v10, 0x2f800000, v5
	v_trunc_f32_e32 v10, v10
	v_mac_f32_e32 v5, 0xcf800000, v10
	v_cvt_u32_f32_e32 v10, v10
	v_cvt_u32_f32_e32 v5, v5
	v_readfirstlane_b32 s46, v10
	v_readfirstlane_b32 s4, v5
	s_mul_i32 s5, s39, s46
	s_mul_hi_u32 s48, s39, s4
	s_mul_i32 s47, s45, s4
	s_add_i32 s5, s48, s5
	s_add_i32 s5, s5, s47
	s_mul_i32 s49, s39, s4
	s_mul_i32 s48, s4, s5
	s_mul_hi_u32 s50, s4, s49
	s_mul_hi_u32 s47, s4, s5
	s_add_u32 s48, s50, s48
	s_addc_u32 s47, 0, s47
	s_mul_hi_u32 s51, s46, s49
	s_mul_i32 s49, s46, s49
	s_add_u32 s48, s48, s49
	s_mul_hi_u32 s50, s46, s5
	s_addc_u32 s47, s47, s51
	s_addc_u32 s48, s50, 0
	s_mul_i32 s5, s46, s5
	s_add_u32 s5, s47, s5
	s_addc_u32 s47, 0, s48
	s_add_u32 s48, s4, s5
	s_cselect_b64 s[4:5], -1, 0
	s_cmp_lg_u64 s[4:5], 0
	s_addc_u32 s46, s46, s47
	s_mul_i32 s4, s39, s46
	s_mul_hi_u32 s5, s39, s48
	s_add_i32 s4, s5, s4
	s_mul_i32 s45, s45, s48
	s_add_i32 s4, s4, s45
	s_mul_i32 s39, s39, s48
	s_mul_hi_u32 s45, s46, s39
	s_mul_i32 s47, s46, s39
	s_mul_i32 s50, s48, s4
	s_mul_hi_u32 s39, s48, s39
	s_mul_hi_u32 s49, s48, s4
	s_add_u32 s39, s39, s50
	s_addc_u32 s49, 0, s49
	s_add_u32 s39, s39, s47
	s_mul_hi_u32 s5, s46, s4
	s_addc_u32 s39, s49, s45
	s_addc_u32 s5, s5, 0
	s_mul_i32 s4, s46, s4
	s_add_u32 s4, s39, s4
	s_addc_u32 s39, 0, s5
	s_add_u32 s45, s48, s4
	s_cselect_b64 s[4:5], -1, 0
	v_ashrrev_i32_e32 v5, 31, v9
	s_cmp_lg_u64 s[4:5], 0
	v_add_co_u32_e32 v10, vcc, v8, v5
	s_addc_u32 s39, s46, s39
	v_xor_b32_e32 v16, v10, v5
	v_mad_u64_u32 v[10:11], s[4:5], v16, s39, 0
	v_mul_hi_u32 v15, v16, s45
	v_addc_co_u32_e32 v14, vcc, v9, v5, vcc
	v_xor_b32_e32 v17, v14, v5
	v_add_co_u32_e32 v18, vcc, v15, v10
	v_addc_co_u32_e32 v19, vcc, 0, v11, vcc
	v_mad_u64_u32 v[10:11], s[4:5], v17, s45, 0
	v_mad_u64_u32 v[14:15], s[4:5], v17, s39, 0
	v_add_co_u32_e32 v10, vcc, v18, v10
	v_addc_co_u32_e32 v10, vcc, v19, v11, vcc
	v_addc_co_u32_e32 v11, vcc, 0, v15, vcc
	v_add_co_u32_e32 v14, vcc, v10, v14
	v_addc_co_u32_e32 v15, vcc, 0, v11, vcc
	v_mul_lo_u32 v18, s41, v14
	v_mul_lo_u32 v19, s40, v15
	v_mad_u64_u32 v[10:11], s[4:5], s40, v14, 0
	v_xor_b32_e32 v5, s38, v5
	v_add3_u32 v11, v11, v19, v18
	v_sub_u32_e32 v18, v17, v11
	v_mov_b32_e32 v19, s41
	v_sub_co_u32_e32 v10, vcc, v16, v10
	v_subb_co_u32_e64 v16, s[4:5], v18, v19, vcc
	v_subrev_co_u32_e64 v18, s[4:5], s40, v10
	v_subbrev_co_u32_e64 v16, s[4:5], 0, v16, s[4:5]
	v_cmp_le_u32_e64 s[4:5], s41, v16
	v_cndmask_b32_e64 v19, 0, -1, s[4:5]
	v_cmp_le_u32_e64 s[4:5], s40, v18
	v_cndmask_b32_e64 v18, 0, -1, s[4:5]
	v_cmp_eq_u32_e64 s[4:5], s41, v16
	v_cndmask_b32_e64 v16, v19, v18, s[4:5]
	v_add_co_u32_e64 v18, s[4:5], 2, v14
	v_subb_co_u32_e32 v11, vcc, v17, v11, vcc
	v_addc_co_u32_e64 v19, s[4:5], 0, v15, s[4:5]
	v_cmp_le_u32_e32 vcc, s41, v11
	v_add_co_u32_e64 v20, s[4:5], 1, v14
	v_cndmask_b32_e64 v17, 0, -1, vcc
	v_cmp_le_u32_e32 vcc, s40, v10
	v_addc_co_u32_e64 v21, s[4:5], 0, v15, s[4:5]
	v_cndmask_b32_e64 v10, 0, -1, vcc
	v_cmp_eq_u32_e32 vcc, s41, v11
	v_cmp_ne_u32_e64 s[4:5], 0, v16
	v_cndmask_b32_e32 v10, v17, v10, vcc
	v_cndmask_b32_e64 v16, v21, v19, s[4:5]
	v_cmp_ne_u32_e32 vcc, 0, v10
	v_cndmask_b32_e64 v11, v20, v18, s[4:5]
	v_cndmask_b32_e32 v10, v15, v16, vcc
	v_cndmask_b32_e32 v11, v14, v11, vcc
	v_xor_b32_e32 v14, v10, v5
	v_xor_b32_e32 v10, v11, v5
	v_sub_co_u32_e32 v10, vcc, v10, v5
	v_subb_co_u32_e32 v11, vcc, v14, v5, vcc
.LBB22_12:                              ;   in Loop: Header=BB22_10 Depth=2
	s_andn2_saveexec_b64 s[4:5], s[36:37]
	s_cbranch_execz .LBB22_14
; %bb.13:                               ;   in Loop: Header=BB22_10 Depth=2
	v_cvt_f32_u32_e32 v5, s34
	s_sub_i32 s36, 0, s34
	v_rcp_iflag_f32_e32 v5, v5
	v_mul_f32_e32 v5, 0x4f7ffffe, v5
	v_cvt_u32_f32_e32 v5, v5
	v_mul_lo_u32 v10, s36, v5
	v_mul_hi_u32 v10, v5, v10
	v_add_u32_e32 v5, v5, v10
	v_mul_hi_u32 v5, v8, v5
	v_mul_lo_u32 v10, v5, s34
	v_add_u32_e32 v11, 1, v5
	v_sub_u32_e32 v10, v8, v10
	v_subrev_u32_e32 v14, s34, v10
	v_cmp_le_u32_e32 vcc, s34, v10
	v_cndmask_b32_e32 v10, v10, v14, vcc
	v_cndmask_b32_e32 v5, v5, v11, vcc
	v_add_u32_e32 v11, 1, v5
	v_cmp_le_u32_e32 vcc, s34, v10
	v_cndmask_b32_e32 v10, v5, v11, vcc
	v_mov_b32_e32 v11, v4
.LBB22_14:                              ;   in Loop: Header=BB22_10 Depth=2
	s_or_b64 exec, exec, s[4:5]
	v_mul_lo_u32 v5, v11, s34
	v_mul_lo_u32 v16, v10, s35
	v_mad_u64_u32 v[14:15], s[4:5], v10, s34, 0
	s_load_dwordx2 s[4:5], s[30:31], 0xc8
	s_add_i32 s44, s44, -1
	v_add3_u32 v5, v15, v16, v5
	v_sub_co_u32_e32 v8, vcc, v8, v14
	v_subb_co_u32_e32 v5, vcc, v9, v5, vcc
	s_waitcnt lgkmcnt(0)
	v_mul_lo_u32 v5, s4, v5
	v_mul_lo_u32 v9, s5, v8
	v_mad_u64_u32 v[6:7], s[4:5], s4, v8, v[6:7]
	s_add_u32 s30, s30, -8
	s_addc_u32 s31, s31, -1
	s_cmp_gt_u32 s44, 2
	v_add3_u32 v7, v9, v7, v5
	s_cbranch_scc0 .LBB22_16
; %bb.15:                               ;   in Loop: Header=BB22_10 Depth=2
	v_mov_b32_e32 v8, v10
	v_mov_b32_e32 v9, v11
	s_branch .LBB22_10
.LBB22_16:                              ;   in Loop: Header=BB22_9 Depth=1
	v_mov_b32_e32 v8, s24
	v_mov_b32_e32 v9, s25
	v_mul_lo_u32 v5, s22, v11
	v_mul_lo_u32 v11, s23, v10
	v_mad_u64_u32 v[8:9], s[4:5], s22, v10, v[8:9]
	v_add3_u32 v9, v11, v9, v5
	v_add_co_u32_e32 v5, vcc, v8, v6
	v_addc_co_u32_e32 v6, vcc, v9, v7, vcc
	global_load_sbyte v5, v[5:6], off
	s_waitcnt vmcnt(0)
	v_bfe_i32 v5, v5, 0, 16
	v_ashrrev_i32_e32 v6, 31, v5
	v_cmp_le_i64_e32 vcc, s[10:11], v[5:6]
	v_cmp_ge_i64_e64 s[4:5], s[12:13], v[5:6]
	s_and_b64 s[4:5], vcc, s[4:5]
	s_and_saveexec_b64 s[30:31], s[4:5]
	s_cbranch_execz .LBB22_8
; %bb.17:                               ;   in Loop: Header=BB22_9 Depth=1
	v_mov_b32_e32 v7, s11
	v_subrev_co_u32_e32 v5, vcc, s10, v5
	v_subb_co_u32_e32 v6, vcc, v6, v7, vcc
	v_mul_lo_u32 v8, v6, s8
	v_mul_lo_u32 v9, v5, s9
	v_mad_u64_u32 v[6:7], s[4:5], v5, s8, 0
	v_add3_u32 v7, v7, v9, v8
	v_or_b32_e32 v5, s42, v7
	v_cmp_ne_u64_e32 vcc, 0, v[4:5]
                                        ; implicit-def: $vgpr8_vgpr9
	s_and_saveexec_b64 s[4:5], vcc
	s_xor_b64 s[34:35], exec, s[4:5]
	s_cbranch_execz .LBB22_19
; %bb.18:                               ;   in Loop: Header=BB22_9 Depth=1
	s_ashr_i32 s36, s42, 31
	s_add_u32 s4, s33, s36
	s_mov_b32 s37, s36
	s_addc_u32 s5, s42, s36
	s_xor_b64 s[38:39], s[4:5], s[36:37]
	v_cvt_f32_u32_e32 v5, s38
	v_cvt_f32_u32_e32 v8, s39
	s_sub_u32 s37, 0, s38
	s_subb_u32 s40, 0, s39
	v_ashrrev_i32_e32 v9, 31, v7
	v_mac_f32_e32 v5, 0x4f800000, v8
	v_rcp_f32_e32 v5, v5
	v_mul_f32_e32 v5, 0x5f7ffffc, v5
	v_mul_f32_e32 v8, 0x2f800000, v5
	v_trunc_f32_e32 v8, v8
	v_mac_f32_e32 v5, 0xcf800000, v8
	v_cvt_u32_f32_e32 v8, v8
	v_cvt_u32_f32_e32 v5, v5
	v_readfirstlane_b32 s41, v8
	v_readfirstlane_b32 s4, v5
	s_mul_i32 s5, s37, s41
	s_mul_hi_u32 s45, s37, s4
	s_mul_i32 s44, s40, s4
	s_add_i32 s5, s45, s5
	s_add_i32 s5, s5, s44
	s_mul_i32 s46, s37, s4
	s_mul_i32 s45, s4, s5
	s_mul_hi_u32 s47, s4, s46
	s_mul_hi_u32 s44, s4, s5
	s_add_u32 s45, s47, s45
	s_addc_u32 s44, 0, s44
	s_mul_hi_u32 s48, s41, s46
	s_mul_i32 s46, s41, s46
	s_add_u32 s45, s45, s46
	s_mul_hi_u32 s47, s41, s5
	s_addc_u32 s44, s44, s48
	s_addc_u32 s45, s47, 0
	s_mul_i32 s5, s41, s5
	s_add_u32 s5, s44, s5
	s_addc_u32 s44, 0, s45
	s_add_u32 s45, s4, s5
	s_cselect_b64 s[4:5], -1, 0
	s_cmp_lg_u64 s[4:5], 0
	s_addc_u32 s41, s41, s44
	s_mul_i32 s4, s37, s41
	s_mul_hi_u32 s5, s37, s45
	s_add_i32 s4, s5, s4
	s_mul_i32 s40, s40, s45
	s_add_i32 s4, s4, s40
	s_mul_i32 s37, s37, s45
	s_mul_hi_u32 s40, s41, s37
	s_mul_i32 s44, s41, s37
	s_mul_i32 s47, s45, s4
	s_mul_hi_u32 s37, s45, s37
	s_mul_hi_u32 s46, s45, s4
	s_add_u32 s37, s37, s47
	s_addc_u32 s46, 0, s46
	s_add_u32 s37, s37, s44
	s_mul_hi_u32 s5, s41, s4
	s_addc_u32 s37, s46, s40
	s_addc_u32 s5, s5, 0
	s_mul_i32 s4, s41, s4
	s_add_u32 s4, s37, s4
	s_addc_u32 s37, 0, s5
	s_add_u32 s40, s45, s4
	s_cselect_b64 s[4:5], -1, 0
	s_cmp_lg_u64 s[4:5], 0
	v_add_co_u32_e32 v5, vcc, v6, v9
	s_addc_u32 s37, s41, s37
	v_xor_b32_e32 v10, v5, v9
	v_mad_u64_u32 v[5:6], s[4:5], v10, s37, 0
	v_mul_hi_u32 v8, v10, s40
	v_addc_co_u32_e32 v7, vcc, v7, v9, vcc
	v_xor_b32_e32 v11, v7, v9
	v_add_co_u32_e32 v14, vcc, v8, v5
	v_addc_co_u32_e32 v15, vcc, 0, v6, vcc
	v_mad_u64_u32 v[5:6], s[4:5], v11, s40, 0
	v_mad_u64_u32 v[7:8], s[4:5], v11, s37, 0
	v_add_co_u32_e32 v5, vcc, v14, v5
	v_addc_co_u32_e32 v5, vcc, v15, v6, vcc
	v_addc_co_u32_e32 v6, vcc, 0, v8, vcc
	v_add_co_u32_e32 v7, vcc, v5, v7
	v_addc_co_u32_e32 v5, vcc, 0, v6, vcc
	v_mul_lo_u32 v8, s39, v7
	v_mul_lo_u32 v14, s38, v5
	v_mad_u64_u32 v[5:6], s[4:5], s38, v7, 0
	v_add3_u32 v6, v6, v14, v8
	v_sub_u32_e32 v8, v11, v6
	v_mov_b32_e32 v14, s39
	v_sub_co_u32_e32 v5, vcc, v10, v5
	v_subb_co_u32_e64 v8, s[4:5], v8, v14, vcc
	v_subrev_co_u32_e64 v10, s[4:5], s38, v5
	v_subbrev_co_u32_e64 v8, s[4:5], 0, v8, s[4:5]
	v_cmp_le_u32_e64 s[4:5], s39, v8
	v_subb_co_u32_e32 v6, vcc, v11, v6, vcc
	v_cndmask_b32_e64 v14, 0, -1, s[4:5]
	v_cmp_le_u32_e64 s[4:5], s38, v10
	v_cmp_le_u32_e32 vcc, s39, v6
	v_cndmask_b32_e64 v10, 0, -1, s[4:5]
	v_cmp_eq_u32_e64 s[4:5], s39, v8
	v_cndmask_b32_e64 v11, 0, -1, vcc
	v_cmp_le_u32_e32 vcc, s38, v5
	v_cndmask_b32_e64 v8, v14, v10, s[4:5]
	v_cndmask_b32_e64 v5, 0, -1, vcc
	v_cmp_eq_u32_e32 vcc, s39, v6
	v_add_co_u32_e64 v10, s[4:5], 2, v7
	v_add_co_u32_e64 v14, s[4:5], 1, v7
	v_cndmask_b32_e32 v5, v11, v5, vcc
	v_cmp_ne_u32_e32 vcc, 0, v8
	v_cndmask_b32_e32 v6, v14, v10, vcc
	v_cmp_ne_u32_e32 vcc, 0, v5
	v_cndmask_b32_e32 v5, v7, v6, vcc
	v_xor_b32_e32 v6, s36, v9
	v_xor_b32_e32 v5, v5, v6
	v_sub_co_u32_e32 v8, vcc, v5, v6
                                        ; implicit-def: $vgpr6_vgpr7
.LBB22_19:                              ;   in Loop: Header=BB22_9 Depth=1
	s_andn2_saveexec_b64 s[4:5], s[34:35]
	s_cbranch_execz .LBB22_21
; %bb.20:                               ;   in Loop: Header=BB22_9 Depth=1
	v_cvt_f32_u32_e32 v5, s33
	s_sub_i32 s34, 0, s33
	v_rcp_iflag_f32_e32 v5, v5
	v_mul_f32_e32 v5, 0x4f7ffffe, v5
	v_cvt_u32_f32_e32 v5, v5
	v_mul_lo_u32 v7, s34, v5
	v_mul_hi_u32 v7, v5, v7
	v_add_u32_e32 v5, v5, v7
	v_mul_hi_u32 v5, v6, v5
	v_mul_lo_u32 v7, v5, s33
	v_add_u32_e32 v8, 1, v5
	v_sub_u32_e32 v6, v6, v7
	v_subrev_u32_e32 v7, s33, v6
	v_cmp_le_u32_e32 vcc, s33, v6
	v_cndmask_b32_e32 v6, v6, v7, vcc
	v_cndmask_b32_e32 v5, v5, v8, vcc
	v_add_u32_e32 v7, 1, v5
	v_cmp_le_u32_e32 vcc, s33, v6
	v_cndmask_b32_e32 v8, v5, v7, vcc
.LBB22_21:                              ;   in Loop: Header=BB22_9 Depth=1
	s_or_b64 exec, exec, s[4:5]
	v_ashrrev_i32_e32 v9, 31, v8
	v_cmp_eq_u64_e32 vcc, s[8:9], v[8:9]
	s_mov_b64 s[4:5], 0
	v_subbrev_co_u32_e32 v5, vcc, 0, v8, vcc
	v_lshl_add_u32 v7, v5, 3, 0
	ds_read_b64 v[5:6], v7
.LBB22_22:                              ;   Parent Loop BB22_9 Depth=1
                                        ; =>  This Inner Loop Header: Depth=2
	s_waitcnt lgkmcnt(0)
	v_add_f64 v[8:9], v[5:6], 1.0
	ds_cmpst_rtn_b64 v[8:9], v7, v[5:6], v[8:9]
	s_waitcnt lgkmcnt(0)
	v_cmp_eq_u64_e32 vcc, v[8:9], v[5:6]
	v_mov_b32_e32 v5, v8
	s_or_b64 s[4:5], vcc, s[4:5]
	v_mov_b32_e32 v6, v9
	s_andn2_b64 exec, exec, s[4:5]
	s_cbranch_execnz .LBB22_22
	s_branch .LBB22_8
.LBB22_23:
	s_or_b64 exec, exec, s[6:7]
; %bb.24:
	s_barrier
	s_and_saveexec_b64 s[2:3], s[0:1]
	s_cbranch_execz .LBB22_29
; %bb.25:
	v_and_b32_e32 v10, 0xffff, v12
	s_mov_b64 s[0:1], 0
	v_mov_b32_e32 v11, s17
.LBB22_26:                              ; =>This Loop Header: Depth=1
                                        ;     Child Loop BB22_27 Depth 2
	v_mul_lo_u32 v4, v1, s20
	v_mul_lo_u32 v5, v0, s21
	v_mad_u64_u32 v[2:3], s[2:3], v0, s20, 0
	s_mov_b64 s[2:3], 0
	v_add3_u32 v3, v3, v5, v4
	v_lshlrev_b64 v[2:3], 3, v[2:3]
	v_add_co_u32_e32 v6, vcc, s16, v2
	v_addc_co_u32_e32 v7, vcc, v11, v3, vcc
	global_load_dwordx2 v[4:5], v[6:7], off
	v_lshl_add_u32 v2, v0, 3, 0
	ds_read_b64 v[8:9], v2
.LBB22_27:                              ;   Parent Loop BB22_26 Depth=1
                                        ; =>  This Inner Loop Header: Depth=2
	s_waitcnt vmcnt(0) lgkmcnt(0)
	v_add_f64 v[2:3], v[4:5], v[8:9]
	global_atomic_cmpswap_x2 v[2:3], v[6:7], v[2:5], off glc
	s_waitcnt vmcnt(0)
	v_cmp_eq_u64_e32 vcc, v[2:3], v[4:5]
	v_mov_b32_e32 v5, v3
	s_or_b64 s[2:3], vcc, s[2:3]
	v_mov_b32_e32 v4, v2
	s_andn2_b64 exec, exec, s[2:3]
	s_cbranch_execnz .LBB22_27
; %bb.28:                               ;   in Loop: Header=BB22_26 Depth=1
	s_or_b64 exec, exec, s[2:3]
	v_add_co_u32_e32 v0, vcc, v0, v10
	v_addc_co_u32_e32 v1, vcc, 0, v1, vcc
	v_cmp_le_i64_e32 vcc, s[18:19], v[0:1]
	s_or_b64 s[0:1], vcc, s[0:1]
	s_andn2_b64 exec, exec, s[0:1]
	s_cbranch_execnz .LBB22_26
.LBB22_29:
	s_endpgm
	.section	.rodata,"a",@progbits
	.p2align	6, 0x0
	.amdhsa_kernel _ZN2at4cuda17kernelHistogram1DIdalLi1ELi2ELin1ELNS0_23CUDAHistogramMemoryTypeE0EZNS0_21CUDA_tensor_histogramIdaLb1EEEbNS_6TensorES4_S4_lNS_14AccumulateTypeIT0_Lb1EE4typeES8_NS0_13TensorArgTypeES9_S9_EUllE0_EEvNS0_6detail10TensorInfoIT_T1_EESF_NSC_IKS6_SE_EElS8_S8_SE_T6_
		.amdhsa_group_segment_fixed_size 0
		.amdhsa_private_segment_fixed_size 0
		.amdhsa_kernarg_size 1544
		.amdhsa_user_sgpr_count 6
		.amdhsa_user_sgpr_private_segment_buffer 1
		.amdhsa_user_sgpr_dispatch_ptr 0
		.amdhsa_user_sgpr_queue_ptr 0
		.amdhsa_user_sgpr_kernarg_segment_ptr 1
		.amdhsa_user_sgpr_dispatch_id 0
		.amdhsa_user_sgpr_flat_scratch_init 0
		.amdhsa_user_sgpr_private_segment_size 0
		.amdhsa_uses_dynamic_stack 0
		.amdhsa_system_sgpr_private_segment_wavefront_offset 0
		.amdhsa_system_sgpr_workgroup_id_x 1
		.amdhsa_system_sgpr_workgroup_id_y 0
		.amdhsa_system_sgpr_workgroup_id_z 0
		.amdhsa_system_sgpr_workgroup_info 0
		.amdhsa_system_vgpr_workitem_id 0
		.amdhsa_next_free_vgpr 22
		.amdhsa_next_free_sgpr 52
		.amdhsa_reserve_vcc 1
		.amdhsa_reserve_flat_scratch 0
		.amdhsa_float_round_mode_32 0
		.amdhsa_float_round_mode_16_64 0
		.amdhsa_float_denorm_mode_32 3
		.amdhsa_float_denorm_mode_16_64 3
		.amdhsa_dx10_clamp 1
		.amdhsa_ieee_mode 1
		.amdhsa_fp16_overflow 0
		.amdhsa_exception_fp_ieee_invalid_op 0
		.amdhsa_exception_fp_denorm_src 0
		.amdhsa_exception_fp_ieee_div_zero 0
		.amdhsa_exception_fp_ieee_overflow 0
		.amdhsa_exception_fp_ieee_underflow 0
		.amdhsa_exception_fp_ieee_inexact 0
		.amdhsa_exception_int_div_zero 0
	.end_amdhsa_kernel
	.section	.text._ZN2at4cuda17kernelHistogram1DIdalLi1ELi2ELin1ELNS0_23CUDAHistogramMemoryTypeE0EZNS0_21CUDA_tensor_histogramIdaLb1EEEbNS_6TensorES4_S4_lNS_14AccumulateTypeIT0_Lb1EE4typeES8_NS0_13TensorArgTypeES9_S9_EUllE0_EEvNS0_6detail10TensorInfoIT_T1_EESF_NSC_IKS6_SE_EElS8_S8_SE_T6_,"axG",@progbits,_ZN2at4cuda17kernelHistogram1DIdalLi1ELi2ELin1ELNS0_23CUDAHistogramMemoryTypeE0EZNS0_21CUDA_tensor_histogramIdaLb1EEEbNS_6TensorES4_S4_lNS_14AccumulateTypeIT0_Lb1EE4typeES8_NS0_13TensorArgTypeES9_S9_EUllE0_EEvNS0_6detail10TensorInfoIT_T1_EESF_NSC_IKS6_SE_EElS8_S8_SE_T6_,comdat
.Lfunc_end22:
	.size	_ZN2at4cuda17kernelHistogram1DIdalLi1ELi2ELin1ELNS0_23CUDAHistogramMemoryTypeE0EZNS0_21CUDA_tensor_histogramIdaLb1EEEbNS_6TensorES4_S4_lNS_14AccumulateTypeIT0_Lb1EE4typeES8_NS0_13TensorArgTypeES9_S9_EUllE0_EEvNS0_6detail10TensorInfoIT_T1_EESF_NSC_IKS6_SE_EElS8_S8_SE_T6_, .Lfunc_end22-_ZN2at4cuda17kernelHistogram1DIdalLi1ELi2ELin1ELNS0_23CUDAHistogramMemoryTypeE0EZNS0_21CUDA_tensor_histogramIdaLb1EEEbNS_6TensorES4_S4_lNS_14AccumulateTypeIT0_Lb1EE4typeES8_NS0_13TensorArgTypeES9_S9_EUllE0_EEvNS0_6detail10TensorInfoIT_T1_EESF_NSC_IKS6_SE_EElS8_S8_SE_T6_
                                        ; -- End function
	.set _ZN2at4cuda17kernelHistogram1DIdalLi1ELi2ELin1ELNS0_23CUDAHistogramMemoryTypeE0EZNS0_21CUDA_tensor_histogramIdaLb1EEEbNS_6TensorES4_S4_lNS_14AccumulateTypeIT0_Lb1EE4typeES8_NS0_13TensorArgTypeES9_S9_EUllE0_EEvNS0_6detail10TensorInfoIT_T1_EESF_NSC_IKS6_SE_EElS8_S8_SE_T6_.num_vgpr, 22
	.set _ZN2at4cuda17kernelHistogram1DIdalLi1ELi2ELin1ELNS0_23CUDAHistogramMemoryTypeE0EZNS0_21CUDA_tensor_histogramIdaLb1EEEbNS_6TensorES4_S4_lNS_14AccumulateTypeIT0_Lb1EE4typeES8_NS0_13TensorArgTypeES9_S9_EUllE0_EEvNS0_6detail10TensorInfoIT_T1_EESF_NSC_IKS6_SE_EElS8_S8_SE_T6_.num_agpr, 0
	.set _ZN2at4cuda17kernelHistogram1DIdalLi1ELi2ELin1ELNS0_23CUDAHistogramMemoryTypeE0EZNS0_21CUDA_tensor_histogramIdaLb1EEEbNS_6TensorES4_S4_lNS_14AccumulateTypeIT0_Lb1EE4typeES8_NS0_13TensorArgTypeES9_S9_EUllE0_EEvNS0_6detail10TensorInfoIT_T1_EESF_NSC_IKS6_SE_EElS8_S8_SE_T6_.numbered_sgpr, 52
	.set _ZN2at4cuda17kernelHistogram1DIdalLi1ELi2ELin1ELNS0_23CUDAHistogramMemoryTypeE0EZNS0_21CUDA_tensor_histogramIdaLb1EEEbNS_6TensorES4_S4_lNS_14AccumulateTypeIT0_Lb1EE4typeES8_NS0_13TensorArgTypeES9_S9_EUllE0_EEvNS0_6detail10TensorInfoIT_T1_EESF_NSC_IKS6_SE_EElS8_S8_SE_T6_.num_named_barrier, 0
	.set _ZN2at4cuda17kernelHistogram1DIdalLi1ELi2ELin1ELNS0_23CUDAHistogramMemoryTypeE0EZNS0_21CUDA_tensor_histogramIdaLb1EEEbNS_6TensorES4_S4_lNS_14AccumulateTypeIT0_Lb1EE4typeES8_NS0_13TensorArgTypeES9_S9_EUllE0_EEvNS0_6detail10TensorInfoIT_T1_EESF_NSC_IKS6_SE_EElS8_S8_SE_T6_.private_seg_size, 0
	.set _ZN2at4cuda17kernelHistogram1DIdalLi1ELi2ELin1ELNS0_23CUDAHistogramMemoryTypeE0EZNS0_21CUDA_tensor_histogramIdaLb1EEEbNS_6TensorES4_S4_lNS_14AccumulateTypeIT0_Lb1EE4typeES8_NS0_13TensorArgTypeES9_S9_EUllE0_EEvNS0_6detail10TensorInfoIT_T1_EESF_NSC_IKS6_SE_EElS8_S8_SE_T6_.uses_vcc, 1
	.set _ZN2at4cuda17kernelHistogram1DIdalLi1ELi2ELin1ELNS0_23CUDAHistogramMemoryTypeE0EZNS0_21CUDA_tensor_histogramIdaLb1EEEbNS_6TensorES4_S4_lNS_14AccumulateTypeIT0_Lb1EE4typeES8_NS0_13TensorArgTypeES9_S9_EUllE0_EEvNS0_6detail10TensorInfoIT_T1_EESF_NSC_IKS6_SE_EElS8_S8_SE_T6_.uses_flat_scratch, 0
	.set _ZN2at4cuda17kernelHistogram1DIdalLi1ELi2ELin1ELNS0_23CUDAHistogramMemoryTypeE0EZNS0_21CUDA_tensor_histogramIdaLb1EEEbNS_6TensorES4_S4_lNS_14AccumulateTypeIT0_Lb1EE4typeES8_NS0_13TensorArgTypeES9_S9_EUllE0_EEvNS0_6detail10TensorInfoIT_T1_EESF_NSC_IKS6_SE_EElS8_S8_SE_T6_.has_dyn_sized_stack, 0
	.set _ZN2at4cuda17kernelHistogram1DIdalLi1ELi2ELin1ELNS0_23CUDAHistogramMemoryTypeE0EZNS0_21CUDA_tensor_histogramIdaLb1EEEbNS_6TensorES4_S4_lNS_14AccumulateTypeIT0_Lb1EE4typeES8_NS0_13TensorArgTypeES9_S9_EUllE0_EEvNS0_6detail10TensorInfoIT_T1_EESF_NSC_IKS6_SE_EElS8_S8_SE_T6_.has_recursion, 0
	.set _ZN2at4cuda17kernelHistogram1DIdalLi1ELi2ELin1ELNS0_23CUDAHistogramMemoryTypeE0EZNS0_21CUDA_tensor_histogramIdaLb1EEEbNS_6TensorES4_S4_lNS_14AccumulateTypeIT0_Lb1EE4typeES8_NS0_13TensorArgTypeES9_S9_EUllE0_EEvNS0_6detail10TensorInfoIT_T1_EESF_NSC_IKS6_SE_EElS8_S8_SE_T6_.has_indirect_call, 0
	.section	.AMDGPU.csdata,"",@progbits
; Kernel info:
; codeLenInByte = 2408
; TotalNumSgprs: 56
; NumVgprs: 22
; ScratchSize: 0
; MemoryBound: 0
; FloatMode: 240
; IeeeMode: 1
; LDSByteSize: 0 bytes/workgroup (compile time only)
; SGPRBlocks: 6
; VGPRBlocks: 5
; NumSGPRsForWavesPerEU: 56
; NumVGPRsForWavesPerEU: 22
; Occupancy: 10
; WaveLimiterHint : 1
; COMPUTE_PGM_RSRC2:SCRATCH_EN: 0
; COMPUTE_PGM_RSRC2:USER_SGPR: 6
; COMPUTE_PGM_RSRC2:TRAP_HANDLER: 0
; COMPUTE_PGM_RSRC2:TGID_X_EN: 1
; COMPUTE_PGM_RSRC2:TGID_Y_EN: 0
; COMPUTE_PGM_RSRC2:TGID_Z_EN: 0
; COMPUTE_PGM_RSRC2:TIDIG_COMP_CNT: 0
	.section	.text._ZN2at4cuda17kernelHistogram1DIdalLi1ELi2ELin1ELNS0_23CUDAHistogramMemoryTypeE1EZNS0_21CUDA_tensor_histogramIdaLb1EEEbNS_6TensorES4_S4_lNS_14AccumulateTypeIT0_Lb1EE4typeES8_NS0_13TensorArgTypeES9_S9_EUllE0_EEvNS0_6detail10TensorInfoIT_T1_EESF_NSC_IKS6_SE_EElS8_S8_SE_T6_,"axG",@progbits,_ZN2at4cuda17kernelHistogram1DIdalLi1ELi2ELin1ELNS0_23CUDAHistogramMemoryTypeE1EZNS0_21CUDA_tensor_histogramIdaLb1EEEbNS_6TensorES4_S4_lNS_14AccumulateTypeIT0_Lb1EE4typeES8_NS0_13TensorArgTypeES9_S9_EUllE0_EEvNS0_6detail10TensorInfoIT_T1_EESF_NSC_IKS6_SE_EElS8_S8_SE_T6_,comdat
	.protected	_ZN2at4cuda17kernelHistogram1DIdalLi1ELi2ELin1ELNS0_23CUDAHistogramMemoryTypeE1EZNS0_21CUDA_tensor_histogramIdaLb1EEEbNS_6TensorES4_S4_lNS_14AccumulateTypeIT0_Lb1EE4typeES8_NS0_13TensorArgTypeES9_S9_EUllE0_EEvNS0_6detail10TensorInfoIT_T1_EESF_NSC_IKS6_SE_EElS8_S8_SE_T6_ ; -- Begin function _ZN2at4cuda17kernelHistogram1DIdalLi1ELi2ELin1ELNS0_23CUDAHistogramMemoryTypeE1EZNS0_21CUDA_tensor_histogramIdaLb1EEEbNS_6TensorES4_S4_lNS_14AccumulateTypeIT0_Lb1EE4typeES8_NS0_13TensorArgTypeES9_S9_EUllE0_EEvNS0_6detail10TensorInfoIT_T1_EESF_NSC_IKS6_SE_EElS8_S8_SE_T6_
	.globl	_ZN2at4cuda17kernelHistogram1DIdalLi1ELi2ELin1ELNS0_23CUDAHistogramMemoryTypeE1EZNS0_21CUDA_tensor_histogramIdaLb1EEEbNS_6TensorES4_S4_lNS_14AccumulateTypeIT0_Lb1EE4typeES8_NS0_13TensorArgTypeES9_S9_EUllE0_EEvNS0_6detail10TensorInfoIT_T1_EESF_NSC_IKS6_SE_EElS8_S8_SE_T6_
	.p2align	8
	.type	_ZN2at4cuda17kernelHistogram1DIdalLi1ELi2ELin1ELNS0_23CUDAHistogramMemoryTypeE1EZNS0_21CUDA_tensor_histogramIdaLb1EEEbNS_6TensorES4_S4_lNS_14AccumulateTypeIT0_Lb1EE4typeES8_NS0_13TensorArgTypeES9_S9_EUllE0_EEvNS0_6detail10TensorInfoIT_T1_EESF_NSC_IKS6_SE_EElS8_S8_SE_T6_,@function
_ZN2at4cuda17kernelHistogram1DIdalLi1ELi2ELin1ELNS0_23CUDAHistogramMemoryTypeE1EZNS0_21CUDA_tensor_histogramIdaLb1EEEbNS_6TensorES4_S4_lNS_14AccumulateTypeIT0_Lb1EE4typeES8_NS0_13TensorArgTypeES9_S9_EUllE0_EEvNS0_6detail10TensorInfoIT_T1_EESF_NSC_IKS6_SE_EElS8_S8_SE_T6_: ; @_ZN2at4cuda17kernelHistogram1DIdalLi1ELi2ELin1ELNS0_23CUDAHistogramMemoryTypeE1EZNS0_21CUDA_tensor_histogramIdaLb1EEEbNS_6TensorES4_S4_lNS_14AccumulateTypeIT0_Lb1EE4typeES8_NS0_13TensorArgTypeES9_S9_EUllE0_EEvNS0_6detail10TensorInfoIT_T1_EESF_NSC_IKS6_SE_EElS8_S8_SE_T6_
; %bb.0:
	s_load_dword s2, s[4:5], 0x514
	s_load_dwordx8 s[8:15], s[4:5], 0x4e0
	s_add_u32 s0, s4, 0x508
	s_addc_u32 s1, s5, 0
	v_mov_b32_e32 v6, 0
	s_waitcnt lgkmcnt(0)
	s_and_b32 s2, s2, 0xffff
	s_mul_i32 s6, s6, s2
	v_add_u32_e32 v4, s6, v0
	v_mov_b32_e32 v5, v6
	v_cmp_gt_i64_e32 vcc, s[14:15], v[4:5]
	s_and_saveexec_b64 s[6:7], vcc
	s_cbranch_execz .LBB23_17
; %bb.1:
	s_load_dword s22, s[4:5], 0x4d8
	s_load_dword s3, s[0:1], 0x0
	s_add_u32 s23, s4, 0x340
	s_addc_u32 s24, s5, 0
	s_load_dwordx2 s[6:7], s[4:5], 0x0
	s_load_dwordx2 s[16:17], s[4:5], 0xd0
	;; [unrolled: 1-line block ×4, first 2 shown]
	s_waitcnt lgkmcnt(0)
	s_cmp_gt_i32 s22, 1
	s_cselect_b64 s[0:1], -1, 0
	s_sub_u32 s33, s12, s10
	s_subb_u32 s36, s13, s11
	s_mul_i32 s37, s3, s2
	s_mov_b32 s3, 0
	s_add_i32 s2, s22, -1
	s_add_i32 s38, s22, 1
	s_lshl_b64 s[2:3], s[2:3], 3
	s_add_u32 s2, s23, s2
	s_addc_u32 s3, s24, s3
	s_add_u32 s4, s2, 8
	v_cndmask_b32_e64 v0, 0, 1, s[0:1]
	s_addc_u32 s5, s3, 0
	s_mov_b64 s[22:23], 0
	v_cmp_ne_u32_e64 s[0:1], 1, v0
	s_branch .LBB23_3
.LBB23_2:                               ;   in Loop: Header=BB23_3 Depth=1
	s_or_b64 exec, exec, s[24:25]
	v_add_co_u32_e32 v4, vcc, s37, v4
	v_addc_co_u32_e32 v5, vcc, 0, v5, vcc
	v_cmp_le_i64_e32 vcc, s[14:15], v[4:5]
	s_or_b64 s[22:23], vcc, s[22:23]
	s_andn2_b64 exec, exec, s[22:23]
	s_cbranch_execz .LBB23_17
.LBB23_3:                               ; =>This Loop Header: Depth=1
                                        ;     Child Loop BB23_4 Depth 2
                                        ;     Child Loop BB23_16 Depth 2
	v_mov_b32_e32 v0, 0
	v_mov_b32_e32 v2, v4
	;; [unrolled: 1-line block ×4, first 2 shown]
	s_and_b64 vcc, exec, s[0:1]
	s_mov_b64 s[24:25], s[4:5]
	s_mov_b32 s39, s38
	v_mov_b32_e32 v3, v5
	v_mov_b32_e32 v7, v4
	s_cbranch_vccnz .LBB23_10
.LBB23_4:                               ;   Parent Loop BB23_3 Depth=1
                                        ; =>  This Inner Loop Header: Depth=2
	s_load_dwordx2 s[26:27], s[24:25], 0x0
	s_waitcnt lgkmcnt(0)
	v_or_b32_e32 v7, s27, v3
	v_cmp_ne_u64_e32 vcc, 0, v[6:7]
                                        ; implicit-def: $vgpr7_vgpr8
	s_and_saveexec_b64 s[2:3], vcc
	s_xor_b64 s[28:29], exec, s[2:3]
	s_cbranch_execz .LBB23_6
; %bb.5:                                ;   in Loop: Header=BB23_4 Depth=2
	s_ashr_i32 s30, s27, 31
	s_add_u32 s2, s26, s30
	s_mov_b32 s31, s30
	s_addc_u32 s3, s27, s30
	s_xor_b64 s[34:35], s[2:3], s[30:31]
	v_cvt_f32_u32_e32 v7, s34
	v_cvt_f32_u32_e32 v8, s35
	s_sub_u32 s31, 0, s34
	s_subb_u32 s40, 0, s35
	v_ashrrev_i32_e32 v11, 31, v3
	v_mac_f32_e32 v7, 0x4f800000, v8
	v_rcp_f32_e32 v7, v7
	v_mul_f32_e32 v7, 0x5f7ffffc, v7
	v_mul_f32_e32 v8, 0x2f800000, v7
	v_trunc_f32_e32 v8, v8
	v_mac_f32_e32 v7, 0xcf800000, v8
	v_cvt_u32_f32_e32 v8, v8
	v_cvt_u32_f32_e32 v7, v7
	v_readfirstlane_b32 s41, v8
	v_readfirstlane_b32 s2, v7
	s_mul_i32 s3, s31, s41
	s_mul_hi_u32 s43, s31, s2
	s_mul_i32 s42, s40, s2
	s_add_i32 s3, s43, s3
	s_add_i32 s3, s3, s42
	s_mul_i32 s44, s31, s2
	s_mul_i32 s43, s2, s3
	s_mul_hi_u32 s45, s2, s44
	s_mul_hi_u32 s42, s2, s3
	s_add_u32 s43, s45, s43
	s_addc_u32 s42, 0, s42
	s_mul_hi_u32 s46, s41, s44
	s_mul_i32 s44, s41, s44
	s_add_u32 s43, s43, s44
	s_mul_hi_u32 s45, s41, s3
	s_addc_u32 s42, s42, s46
	s_addc_u32 s43, s45, 0
	s_mul_i32 s3, s41, s3
	s_add_u32 s3, s42, s3
	s_addc_u32 s42, 0, s43
	s_add_u32 s43, s2, s3
	s_cselect_b64 s[2:3], -1, 0
	s_cmp_lg_u64 s[2:3], 0
	s_addc_u32 s41, s41, s42
	s_mul_i32 s2, s31, s41
	s_mul_hi_u32 s3, s31, s43
	s_add_i32 s2, s3, s2
	s_mul_i32 s40, s40, s43
	s_add_i32 s2, s2, s40
	s_mul_i32 s31, s31, s43
	s_mul_hi_u32 s40, s41, s31
	s_mul_i32 s42, s41, s31
	s_mul_i32 s45, s43, s2
	s_mul_hi_u32 s31, s43, s31
	s_mul_hi_u32 s44, s43, s2
	s_add_u32 s31, s31, s45
	s_addc_u32 s44, 0, s44
	s_add_u32 s31, s31, s42
	s_mul_hi_u32 s3, s41, s2
	s_addc_u32 s31, s44, s40
	s_addc_u32 s3, s3, 0
	s_mul_i32 s2, s41, s2
	s_add_u32 s2, s31, s2
	s_addc_u32 s31, 0, s3
	s_add_u32 s40, s43, s2
	s_cselect_b64 s[2:3], -1, 0
	s_cmp_lg_u64 s[2:3], 0
	v_add_co_u32_e32 v7, vcc, v2, v11
	s_addc_u32 s31, s41, s31
	v_xor_b32_e32 v12, v7, v11
	v_mad_u64_u32 v[7:8], s[2:3], v12, s31, 0
	v_mul_hi_u32 v10, v12, s40
	v_addc_co_u32_e32 v9, vcc, v3, v11, vcc
	v_xor_b32_e32 v13, v9, v11
	v_add_co_u32_e32 v14, vcc, v10, v7
	v_addc_co_u32_e32 v15, vcc, 0, v8, vcc
	v_mad_u64_u32 v[7:8], s[2:3], v13, s40, 0
	v_mad_u64_u32 v[9:10], s[2:3], v13, s31, 0
	v_add_co_u32_e32 v7, vcc, v14, v7
	v_addc_co_u32_e32 v7, vcc, v15, v8, vcc
	v_addc_co_u32_e32 v8, vcc, 0, v10, vcc
	v_add_co_u32_e32 v9, vcc, v7, v9
	v_addc_co_u32_e32 v10, vcc, 0, v8, vcc
	v_mul_lo_u32 v14, s35, v9
	v_mul_lo_u32 v15, s34, v10
	v_mad_u64_u32 v[7:8], s[2:3], s34, v9, 0
	v_add3_u32 v8, v8, v15, v14
	v_sub_u32_e32 v14, v13, v8
	v_mov_b32_e32 v15, s35
	v_sub_co_u32_e32 v7, vcc, v12, v7
	v_subb_co_u32_e64 v12, s[2:3], v14, v15, vcc
	v_subrev_co_u32_e64 v14, s[2:3], s34, v7
	v_subbrev_co_u32_e64 v12, s[2:3], 0, v12, s[2:3]
	v_cmp_le_u32_e64 s[2:3], s35, v12
	v_cndmask_b32_e64 v15, 0, -1, s[2:3]
	v_cmp_le_u32_e64 s[2:3], s34, v14
	v_cndmask_b32_e64 v14, 0, -1, s[2:3]
	v_cmp_eq_u32_e64 s[2:3], s35, v12
	v_cndmask_b32_e64 v12, v15, v14, s[2:3]
	v_add_co_u32_e64 v14, s[2:3], 2, v9
	v_subb_co_u32_e32 v8, vcc, v13, v8, vcc
	v_addc_co_u32_e64 v15, s[2:3], 0, v10, s[2:3]
	v_cmp_le_u32_e32 vcc, s35, v8
	v_add_co_u32_e64 v16, s[2:3], 1, v9
	v_cndmask_b32_e64 v13, 0, -1, vcc
	v_cmp_le_u32_e32 vcc, s34, v7
	v_addc_co_u32_e64 v17, s[2:3], 0, v10, s[2:3]
	v_cndmask_b32_e64 v7, 0, -1, vcc
	v_cmp_eq_u32_e32 vcc, s35, v8
	v_cmp_ne_u32_e64 s[2:3], 0, v12
	v_cndmask_b32_e32 v7, v13, v7, vcc
	v_cndmask_b32_e64 v12, v17, v15, s[2:3]
	v_cmp_ne_u32_e32 vcc, 0, v7
	v_cndmask_b32_e64 v8, v16, v14, s[2:3]
	v_cndmask_b32_e32 v7, v10, v12, vcc
	v_cndmask_b32_e32 v8, v9, v8, vcc
	v_xor_b32_e32 v9, s30, v11
	v_xor_b32_e32 v10, v7, v9
	;; [unrolled: 1-line block ×3, first 2 shown]
	v_sub_co_u32_e32 v7, vcc, v7, v9
	v_subb_co_u32_e32 v8, vcc, v10, v9, vcc
.LBB23_6:                               ;   in Loop: Header=BB23_4 Depth=2
	s_andn2_saveexec_b64 s[2:3], s[28:29]
	s_cbranch_execz .LBB23_8
; %bb.7:                                ;   in Loop: Header=BB23_4 Depth=2
	v_cvt_f32_u32_e32 v7, s26
	s_sub_i32 s28, 0, s26
	v_rcp_iflag_f32_e32 v7, v7
	v_mul_f32_e32 v7, 0x4f7ffffe, v7
	v_cvt_u32_f32_e32 v7, v7
	v_mul_lo_u32 v8, s28, v7
	v_mul_hi_u32 v8, v7, v8
	v_add_u32_e32 v7, v7, v8
	v_mul_hi_u32 v7, v2, v7
	v_mul_lo_u32 v8, v7, s26
	v_add_u32_e32 v9, 1, v7
	v_sub_u32_e32 v8, v2, v8
	v_subrev_u32_e32 v10, s26, v8
	v_cmp_le_u32_e32 vcc, s26, v8
	v_cndmask_b32_e32 v8, v8, v10, vcc
	v_cndmask_b32_e32 v7, v7, v9, vcc
	v_add_u32_e32 v9, 1, v7
	v_cmp_le_u32_e32 vcc, s26, v8
	v_cndmask_b32_e32 v7, v7, v9, vcc
	v_mov_b32_e32 v8, v6
.LBB23_8:                               ;   in Loop: Header=BB23_4 Depth=2
	s_or_b64 exec, exec, s[2:3]
	v_mul_lo_u32 v11, v8, s26
	v_mul_lo_u32 v12, v7, s27
	v_mad_u64_u32 v[9:10], s[2:3], v7, s26, 0
	s_load_dwordx2 s[2:3], s[24:25], 0xc8
	s_add_i32 s39, s39, -1
	v_add3_u32 v10, v10, v12, v11
	v_sub_co_u32_e32 v2, vcc, v2, v9
	v_subb_co_u32_e32 v3, vcc, v3, v10, vcc
	s_waitcnt lgkmcnt(0)
	v_mul_lo_u32 v3, s2, v3
	v_mul_lo_u32 v9, s3, v2
	v_mad_u64_u32 v[0:1], s[2:3], s2, v2, v[0:1]
	s_add_u32 s24, s24, -8
	s_addc_u32 s25, s25, -1
	s_cmp_gt_u32 s39, 2
	v_add3_u32 v1, v9, v1, v3
	s_cbranch_scc0 .LBB23_10
; %bb.9:                                ;   in Loop: Header=BB23_4 Depth=2
	v_mov_b32_e32 v2, v7
	v_mov_b32_e32 v3, v8
	s_branch .LBB23_4
.LBB23_10:                              ;   in Loop: Header=BB23_3 Depth=1
	v_mov_b32_e32 v2, s20
	v_mov_b32_e32 v3, s21
	v_mul_lo_u32 v8, s18, v8
	v_mul_lo_u32 v9, s19, v7
	v_mad_u64_u32 v[2:3], s[2:3], s18, v7, v[2:3]
	v_add3_u32 v3, v9, v3, v8
	v_add_co_u32_e32 v0, vcc, v2, v0
	v_addc_co_u32_e32 v1, vcc, v3, v1, vcc
	global_load_sbyte v0, v[0:1], off
	s_waitcnt vmcnt(0)
	v_bfe_i32 v0, v0, 0, 16
	v_ashrrev_i32_e32 v1, 31, v0
	v_cmp_le_i64_e32 vcc, s[10:11], v[0:1]
	v_cmp_ge_i64_e64 s[2:3], s[12:13], v[0:1]
	s_and_b64 s[2:3], vcc, s[2:3]
	s_and_saveexec_b64 s[24:25], s[2:3]
	s_cbranch_execz .LBB23_2
; %bb.11:                               ;   in Loop: Header=BB23_3 Depth=1
	v_mov_b32_e32 v2, s11
	v_subrev_co_u32_e32 v0, vcc, s10, v0
	v_subb_co_u32_e32 v1, vcc, v1, v2, vcc
	v_mul_lo_u32 v2, v1, s8
	v_mul_lo_u32 v3, v0, s9
	v_mad_u64_u32 v[0:1], s[2:3], v0, s8, 0
	v_add3_u32 v1, v1, v3, v2
	v_or_b32_e32 v7, s36, v1
	v_cmp_ne_u64_e32 vcc, 0, v[6:7]
                                        ; implicit-def: $vgpr2_vgpr3
	s_and_saveexec_b64 s[2:3], vcc
	s_xor_b64 s[26:27], exec, s[2:3]
	s_cbranch_execz .LBB23_13
; %bb.12:                               ;   in Loop: Header=BB23_3 Depth=1
	s_ashr_i32 s28, s36, 31
	s_add_u32 s2, s33, s28
	s_mov_b32 s29, s28
	s_addc_u32 s3, s36, s28
	s_xor_b64 s[30:31], s[2:3], s[28:29]
	v_cvt_f32_u32_e32 v2, s30
	v_cvt_f32_u32_e32 v3, s31
	s_sub_u32 s29, 0, s30
	s_subb_u32 s34, 0, s31
	v_ashrrev_i32_e32 v7, 31, v1
	v_mac_f32_e32 v2, 0x4f800000, v3
	v_rcp_f32_e32 v2, v2
	v_add_co_u32_e32 v0, vcc, v0, v7
	v_xor_b32_e32 v8, v0, v7
	v_mul_f32_e32 v2, 0x5f7ffffc, v2
	v_mul_f32_e32 v3, 0x2f800000, v2
	v_trunc_f32_e32 v3, v3
	v_mac_f32_e32 v2, 0xcf800000, v3
	v_cvt_u32_f32_e32 v3, v3
	v_cvt_u32_f32_e32 v2, v2
	v_readfirstlane_b32 s35, v3
	v_readfirstlane_b32 s2, v2
	s_mul_i32 s3, s29, s35
	s_mul_hi_u32 s40, s29, s2
	s_mul_i32 s39, s34, s2
	s_add_i32 s3, s40, s3
	s_add_i32 s3, s3, s39
	s_mul_i32 s41, s29, s2
	s_mul_i32 s40, s2, s3
	s_mul_hi_u32 s42, s2, s41
	s_mul_hi_u32 s39, s2, s3
	s_add_u32 s40, s42, s40
	s_addc_u32 s39, 0, s39
	s_mul_hi_u32 s43, s35, s41
	s_mul_i32 s41, s35, s41
	s_add_u32 s40, s40, s41
	s_mul_hi_u32 s42, s35, s3
	s_addc_u32 s39, s39, s43
	s_addc_u32 s40, s42, 0
	s_mul_i32 s3, s35, s3
	s_add_u32 s3, s39, s3
	s_addc_u32 s39, 0, s40
	s_add_u32 s40, s2, s3
	s_cselect_b64 s[2:3], -1, 0
	s_cmp_lg_u64 s[2:3], 0
	s_addc_u32 s35, s35, s39
	s_mul_i32 s2, s29, s35
	s_mul_hi_u32 s3, s29, s40
	s_add_i32 s2, s3, s2
	s_mul_i32 s34, s34, s40
	s_add_i32 s2, s2, s34
	s_mul_i32 s29, s29, s40
	s_mul_hi_u32 s34, s35, s29
	s_mul_i32 s39, s35, s29
	s_mul_i32 s42, s40, s2
	s_mul_hi_u32 s29, s40, s29
	s_mul_hi_u32 s41, s40, s2
	s_add_u32 s29, s29, s42
	s_addc_u32 s41, 0, s41
	s_add_u32 s29, s29, s39
	s_mul_hi_u32 s3, s35, s2
	s_addc_u32 s29, s41, s34
	s_addc_u32 s3, s3, 0
	s_mul_i32 s2, s35, s2
	s_add_u32 s2, s29, s2
	s_addc_u32 s29, 0, s3
	s_add_u32 s34, s40, s2
	s_cselect_b64 s[2:3], -1, 0
	s_cmp_lg_u64 s[2:3], 0
	s_addc_u32 s29, s35, s29
	v_addc_co_u32_e32 v2, vcc, v1, v7, vcc
	v_mad_u64_u32 v[0:1], s[2:3], v8, s29, 0
	v_mul_hi_u32 v3, v8, s34
	v_xor_b32_e32 v9, v2, v7
	v_add_co_u32_e32 v10, vcc, v3, v0
	v_addc_co_u32_e32 v11, vcc, 0, v1, vcc
	v_mad_u64_u32 v[0:1], s[2:3], v9, s34, 0
	v_mad_u64_u32 v[2:3], s[2:3], v9, s29, 0
	v_add_co_u32_e32 v0, vcc, v10, v0
	v_addc_co_u32_e32 v0, vcc, v11, v1, vcc
	v_addc_co_u32_e32 v1, vcc, 0, v3, vcc
	v_add_co_u32_e32 v2, vcc, v0, v2
	v_addc_co_u32_e32 v0, vcc, 0, v1, vcc
	v_mul_lo_u32 v3, s31, v2
	v_mul_lo_u32 v10, s30, v0
	v_mad_u64_u32 v[0:1], s[2:3], s30, v2, 0
	v_add3_u32 v1, v1, v10, v3
	v_sub_u32_e32 v3, v9, v1
	v_mov_b32_e32 v10, s31
	v_sub_co_u32_e32 v0, vcc, v8, v0
	v_subb_co_u32_e64 v3, s[2:3], v3, v10, vcc
	v_subrev_co_u32_e64 v8, s[2:3], s30, v0
	v_subbrev_co_u32_e64 v3, s[2:3], 0, v3, s[2:3]
	v_cmp_le_u32_e64 s[2:3], s31, v3
	v_subb_co_u32_e32 v1, vcc, v9, v1, vcc
	v_cndmask_b32_e64 v10, 0, -1, s[2:3]
	v_cmp_le_u32_e64 s[2:3], s30, v8
	v_cmp_le_u32_e32 vcc, s31, v1
	v_cndmask_b32_e64 v8, 0, -1, s[2:3]
	v_cmp_eq_u32_e64 s[2:3], s31, v3
	v_cndmask_b32_e64 v9, 0, -1, vcc
	v_cmp_le_u32_e32 vcc, s30, v0
	v_cndmask_b32_e64 v3, v10, v8, s[2:3]
	v_cndmask_b32_e64 v0, 0, -1, vcc
	v_cmp_eq_u32_e32 vcc, s31, v1
	v_add_co_u32_e64 v8, s[2:3], 2, v2
	v_add_co_u32_e64 v10, s[2:3], 1, v2
	v_cndmask_b32_e32 v0, v9, v0, vcc
	v_cmp_ne_u32_e32 vcc, 0, v3
	v_cndmask_b32_e32 v1, v10, v8, vcc
	v_cmp_ne_u32_e32 vcc, 0, v0
	v_cndmask_b32_e32 v0, v2, v1, vcc
	v_xor_b32_e32 v1, s28, v7
	v_xor_b32_e32 v0, v0, v1
	v_sub_co_u32_e32 v2, vcc, v0, v1
                                        ; implicit-def: $vgpr0_vgpr1
.LBB23_13:                              ;   in Loop: Header=BB23_3 Depth=1
	s_andn2_saveexec_b64 s[2:3], s[26:27]
	s_cbranch_execz .LBB23_15
; %bb.14:                               ;   in Loop: Header=BB23_3 Depth=1
	v_cvt_f32_u32_e32 v1, s33
	s_sub_i32 s26, 0, s33
	v_rcp_iflag_f32_e32 v1, v1
	v_mul_f32_e32 v1, 0x4f7ffffe, v1
	v_cvt_u32_f32_e32 v1, v1
	v_mul_lo_u32 v2, s26, v1
	v_mul_hi_u32 v2, v1, v2
	v_add_u32_e32 v1, v1, v2
	v_mul_hi_u32 v1, v0, v1
	v_mul_lo_u32 v2, v1, s33
	v_add_u32_e32 v3, 1, v1
	v_sub_u32_e32 v0, v0, v2
	v_subrev_u32_e32 v2, s33, v0
	v_cmp_le_u32_e32 vcc, s33, v0
	v_cndmask_b32_e32 v0, v0, v2, vcc
	v_cndmask_b32_e32 v1, v1, v3, vcc
	v_add_u32_e32 v2, 1, v1
	v_cmp_le_u32_e32 vcc, s33, v0
	v_cndmask_b32_e32 v2, v1, v2, vcc
.LBB23_15:                              ;   in Loop: Header=BB23_3 Depth=1
	s_or_b64 exec, exec, s[2:3]
	v_ashrrev_i32_e32 v3, 31, v2
	v_cmp_eq_u64_e32 vcc, s[8:9], v[2:3]
	v_cndmask_b32_e64 v0, 0, 1, vcc
	v_sub_co_u32_e32 v0, vcc, v2, v0
	v_subbrev_co_u32_e32 v1, vcc, 0, v3, vcc
	v_mul_lo_u32 v2, v1, s16
	v_mul_lo_u32 v3, v0, s17
	v_mad_u64_u32 v[0:1], s[2:3], v0, s16, 0
	s_mov_b64 s[2:3], 0
	v_add3_u32 v1, v1, v3, v2
	v_lshlrev_b64 v[0:1], 3, v[0:1]
	v_mov_b32_e32 v2, s7
	v_add_co_u32_e32 v7, vcc, s6, v0
	v_addc_co_u32_e32 v8, vcc, v2, v1, vcc
	global_load_dwordx2 v[2:3], v[7:8], off
.LBB23_16:                              ;   Parent Loop BB23_3 Depth=1
                                        ; =>  This Inner Loop Header: Depth=2
	s_waitcnt vmcnt(0)
	v_add_f64 v[0:1], v[2:3], 1.0
	global_atomic_cmpswap_x2 v[0:1], v[7:8], v[0:3], off glc
	s_waitcnt vmcnt(0)
	v_cmp_eq_u64_e32 vcc, v[0:1], v[2:3]
	v_mov_b32_e32 v3, v1
	s_or_b64 s[2:3], vcc, s[2:3]
	v_mov_b32_e32 v2, v0
	s_andn2_b64 exec, exec, s[2:3]
	s_cbranch_execnz .LBB23_16
	s_branch .LBB23_2
.LBB23_17:
	s_endpgm
	.section	.rodata,"a",@progbits
	.p2align	6, 0x0
	.amdhsa_kernel _ZN2at4cuda17kernelHistogram1DIdalLi1ELi2ELin1ELNS0_23CUDAHistogramMemoryTypeE1EZNS0_21CUDA_tensor_histogramIdaLb1EEEbNS_6TensorES4_S4_lNS_14AccumulateTypeIT0_Lb1EE4typeES8_NS0_13TensorArgTypeES9_S9_EUllE0_EEvNS0_6detail10TensorInfoIT_T1_EESF_NSC_IKS6_SE_EElS8_S8_SE_T6_
		.amdhsa_group_segment_fixed_size 0
		.amdhsa_private_segment_fixed_size 0
		.amdhsa_kernarg_size 1544
		.amdhsa_user_sgpr_count 6
		.amdhsa_user_sgpr_private_segment_buffer 1
		.amdhsa_user_sgpr_dispatch_ptr 0
		.amdhsa_user_sgpr_queue_ptr 0
		.amdhsa_user_sgpr_kernarg_segment_ptr 1
		.amdhsa_user_sgpr_dispatch_id 0
		.amdhsa_user_sgpr_flat_scratch_init 0
		.amdhsa_user_sgpr_private_segment_size 0
		.amdhsa_uses_dynamic_stack 0
		.amdhsa_system_sgpr_private_segment_wavefront_offset 0
		.amdhsa_system_sgpr_workgroup_id_x 1
		.amdhsa_system_sgpr_workgroup_id_y 0
		.amdhsa_system_sgpr_workgroup_id_z 0
		.amdhsa_system_sgpr_workgroup_info 0
		.amdhsa_system_vgpr_workitem_id 0
		.amdhsa_next_free_vgpr 18
		.amdhsa_next_free_sgpr 47
		.amdhsa_reserve_vcc 1
		.amdhsa_reserve_flat_scratch 0
		.amdhsa_float_round_mode_32 0
		.amdhsa_float_round_mode_16_64 0
		.amdhsa_float_denorm_mode_32 3
		.amdhsa_float_denorm_mode_16_64 3
		.amdhsa_dx10_clamp 1
		.amdhsa_ieee_mode 1
		.amdhsa_fp16_overflow 0
		.amdhsa_exception_fp_ieee_invalid_op 0
		.amdhsa_exception_fp_denorm_src 0
		.amdhsa_exception_fp_ieee_div_zero 0
		.amdhsa_exception_fp_ieee_overflow 0
		.amdhsa_exception_fp_ieee_underflow 0
		.amdhsa_exception_fp_ieee_inexact 0
		.amdhsa_exception_int_div_zero 0
	.end_amdhsa_kernel
	.section	.text._ZN2at4cuda17kernelHistogram1DIdalLi1ELi2ELin1ELNS0_23CUDAHistogramMemoryTypeE1EZNS0_21CUDA_tensor_histogramIdaLb1EEEbNS_6TensorES4_S4_lNS_14AccumulateTypeIT0_Lb1EE4typeES8_NS0_13TensorArgTypeES9_S9_EUllE0_EEvNS0_6detail10TensorInfoIT_T1_EESF_NSC_IKS6_SE_EElS8_S8_SE_T6_,"axG",@progbits,_ZN2at4cuda17kernelHistogram1DIdalLi1ELi2ELin1ELNS0_23CUDAHistogramMemoryTypeE1EZNS0_21CUDA_tensor_histogramIdaLb1EEEbNS_6TensorES4_S4_lNS_14AccumulateTypeIT0_Lb1EE4typeES8_NS0_13TensorArgTypeES9_S9_EUllE0_EEvNS0_6detail10TensorInfoIT_T1_EESF_NSC_IKS6_SE_EElS8_S8_SE_T6_,comdat
.Lfunc_end23:
	.size	_ZN2at4cuda17kernelHistogram1DIdalLi1ELi2ELin1ELNS0_23CUDAHistogramMemoryTypeE1EZNS0_21CUDA_tensor_histogramIdaLb1EEEbNS_6TensorES4_S4_lNS_14AccumulateTypeIT0_Lb1EE4typeES8_NS0_13TensorArgTypeES9_S9_EUllE0_EEvNS0_6detail10TensorInfoIT_T1_EESF_NSC_IKS6_SE_EElS8_S8_SE_T6_, .Lfunc_end23-_ZN2at4cuda17kernelHistogram1DIdalLi1ELi2ELin1ELNS0_23CUDAHistogramMemoryTypeE1EZNS0_21CUDA_tensor_histogramIdaLb1EEEbNS_6TensorES4_S4_lNS_14AccumulateTypeIT0_Lb1EE4typeES8_NS0_13TensorArgTypeES9_S9_EUllE0_EEvNS0_6detail10TensorInfoIT_T1_EESF_NSC_IKS6_SE_EElS8_S8_SE_T6_
                                        ; -- End function
	.set _ZN2at4cuda17kernelHistogram1DIdalLi1ELi2ELin1ELNS0_23CUDAHistogramMemoryTypeE1EZNS0_21CUDA_tensor_histogramIdaLb1EEEbNS_6TensorES4_S4_lNS_14AccumulateTypeIT0_Lb1EE4typeES8_NS0_13TensorArgTypeES9_S9_EUllE0_EEvNS0_6detail10TensorInfoIT_T1_EESF_NSC_IKS6_SE_EElS8_S8_SE_T6_.num_vgpr, 18
	.set _ZN2at4cuda17kernelHistogram1DIdalLi1ELi2ELin1ELNS0_23CUDAHistogramMemoryTypeE1EZNS0_21CUDA_tensor_histogramIdaLb1EEEbNS_6TensorES4_S4_lNS_14AccumulateTypeIT0_Lb1EE4typeES8_NS0_13TensorArgTypeES9_S9_EUllE0_EEvNS0_6detail10TensorInfoIT_T1_EESF_NSC_IKS6_SE_EElS8_S8_SE_T6_.num_agpr, 0
	.set _ZN2at4cuda17kernelHistogram1DIdalLi1ELi2ELin1ELNS0_23CUDAHistogramMemoryTypeE1EZNS0_21CUDA_tensor_histogramIdaLb1EEEbNS_6TensorES4_S4_lNS_14AccumulateTypeIT0_Lb1EE4typeES8_NS0_13TensorArgTypeES9_S9_EUllE0_EEvNS0_6detail10TensorInfoIT_T1_EESF_NSC_IKS6_SE_EElS8_S8_SE_T6_.numbered_sgpr, 47
	.set _ZN2at4cuda17kernelHistogram1DIdalLi1ELi2ELin1ELNS0_23CUDAHistogramMemoryTypeE1EZNS0_21CUDA_tensor_histogramIdaLb1EEEbNS_6TensorES4_S4_lNS_14AccumulateTypeIT0_Lb1EE4typeES8_NS0_13TensorArgTypeES9_S9_EUllE0_EEvNS0_6detail10TensorInfoIT_T1_EESF_NSC_IKS6_SE_EElS8_S8_SE_T6_.num_named_barrier, 0
	.set _ZN2at4cuda17kernelHistogram1DIdalLi1ELi2ELin1ELNS0_23CUDAHistogramMemoryTypeE1EZNS0_21CUDA_tensor_histogramIdaLb1EEEbNS_6TensorES4_S4_lNS_14AccumulateTypeIT0_Lb1EE4typeES8_NS0_13TensorArgTypeES9_S9_EUllE0_EEvNS0_6detail10TensorInfoIT_T1_EESF_NSC_IKS6_SE_EElS8_S8_SE_T6_.private_seg_size, 0
	.set _ZN2at4cuda17kernelHistogram1DIdalLi1ELi2ELin1ELNS0_23CUDAHistogramMemoryTypeE1EZNS0_21CUDA_tensor_histogramIdaLb1EEEbNS_6TensorES4_S4_lNS_14AccumulateTypeIT0_Lb1EE4typeES8_NS0_13TensorArgTypeES9_S9_EUllE0_EEvNS0_6detail10TensorInfoIT_T1_EESF_NSC_IKS6_SE_EElS8_S8_SE_T6_.uses_vcc, 1
	.set _ZN2at4cuda17kernelHistogram1DIdalLi1ELi2ELin1ELNS0_23CUDAHistogramMemoryTypeE1EZNS0_21CUDA_tensor_histogramIdaLb1EEEbNS_6TensorES4_S4_lNS_14AccumulateTypeIT0_Lb1EE4typeES8_NS0_13TensorArgTypeES9_S9_EUllE0_EEvNS0_6detail10TensorInfoIT_T1_EESF_NSC_IKS6_SE_EElS8_S8_SE_T6_.uses_flat_scratch, 0
	.set _ZN2at4cuda17kernelHistogram1DIdalLi1ELi2ELin1ELNS0_23CUDAHistogramMemoryTypeE1EZNS0_21CUDA_tensor_histogramIdaLb1EEEbNS_6TensorES4_S4_lNS_14AccumulateTypeIT0_Lb1EE4typeES8_NS0_13TensorArgTypeES9_S9_EUllE0_EEvNS0_6detail10TensorInfoIT_T1_EESF_NSC_IKS6_SE_EElS8_S8_SE_T6_.has_dyn_sized_stack, 0
	.set _ZN2at4cuda17kernelHistogram1DIdalLi1ELi2ELin1ELNS0_23CUDAHistogramMemoryTypeE1EZNS0_21CUDA_tensor_histogramIdaLb1EEEbNS_6TensorES4_S4_lNS_14AccumulateTypeIT0_Lb1EE4typeES8_NS0_13TensorArgTypeES9_S9_EUllE0_EEvNS0_6detail10TensorInfoIT_T1_EESF_NSC_IKS6_SE_EElS8_S8_SE_T6_.has_recursion, 0
	.set _ZN2at4cuda17kernelHistogram1DIdalLi1ELi2ELin1ELNS0_23CUDAHistogramMemoryTypeE1EZNS0_21CUDA_tensor_histogramIdaLb1EEEbNS_6TensorES4_S4_lNS_14AccumulateTypeIT0_Lb1EE4typeES8_NS0_13TensorArgTypeES9_S9_EUllE0_EEvNS0_6detail10TensorInfoIT_T1_EESF_NSC_IKS6_SE_EElS8_S8_SE_T6_.has_indirect_call, 0
	.section	.AMDGPU.csdata,"",@progbits
; Kernel info:
; codeLenInByte = 2112
; TotalNumSgprs: 51
; NumVgprs: 18
; ScratchSize: 0
; MemoryBound: 0
; FloatMode: 240
; IeeeMode: 1
; LDSByteSize: 0 bytes/workgroup (compile time only)
; SGPRBlocks: 6
; VGPRBlocks: 4
; NumSGPRsForWavesPerEU: 51
; NumVGPRsForWavesPerEU: 18
; Occupancy: 10
; WaveLimiterHint : 1
; COMPUTE_PGM_RSRC2:SCRATCH_EN: 0
; COMPUTE_PGM_RSRC2:USER_SGPR: 6
; COMPUTE_PGM_RSRC2:TRAP_HANDLER: 0
; COMPUTE_PGM_RSRC2:TGID_X_EN: 1
; COMPUTE_PGM_RSRC2:TGID_Y_EN: 0
; COMPUTE_PGM_RSRC2:TGID_Z_EN: 0
; COMPUTE_PGM_RSRC2:TIDIG_COMP_CNT: 0
	.section	.text._ZN2at4cuda17kernelHistogram1DIfilLi1ELi2ELin1ELNS0_23CUDAHistogramMemoryTypeE0EZNS0_21CUDA_tensor_histogramIfiLb1EEEbNS_6TensorES4_S4_lNS_14AccumulateTypeIT0_Lb1EE4typeES8_NS0_13TensorArgTypeES9_S9_EUllE_EEvNS0_6detail10TensorInfoIT_T1_EESF_NSC_IKS6_SE_EElS8_S8_SE_T6_,"axG",@progbits,_ZN2at4cuda17kernelHistogram1DIfilLi1ELi2ELin1ELNS0_23CUDAHistogramMemoryTypeE0EZNS0_21CUDA_tensor_histogramIfiLb1EEEbNS_6TensorES4_S4_lNS_14AccumulateTypeIT0_Lb1EE4typeES8_NS0_13TensorArgTypeES9_S9_EUllE_EEvNS0_6detail10TensorInfoIT_T1_EESF_NSC_IKS6_SE_EElS8_S8_SE_T6_,comdat
	.protected	_ZN2at4cuda17kernelHistogram1DIfilLi1ELi2ELin1ELNS0_23CUDAHistogramMemoryTypeE0EZNS0_21CUDA_tensor_histogramIfiLb1EEEbNS_6TensorES4_S4_lNS_14AccumulateTypeIT0_Lb1EE4typeES8_NS0_13TensorArgTypeES9_S9_EUllE_EEvNS0_6detail10TensorInfoIT_T1_EESF_NSC_IKS6_SE_EElS8_S8_SE_T6_ ; -- Begin function _ZN2at4cuda17kernelHistogram1DIfilLi1ELi2ELin1ELNS0_23CUDAHistogramMemoryTypeE0EZNS0_21CUDA_tensor_histogramIfiLb1EEEbNS_6TensorES4_S4_lNS_14AccumulateTypeIT0_Lb1EE4typeES8_NS0_13TensorArgTypeES9_S9_EUllE_EEvNS0_6detail10TensorInfoIT_T1_EESF_NSC_IKS6_SE_EElS8_S8_SE_T6_
	.globl	_ZN2at4cuda17kernelHistogram1DIfilLi1ELi2ELin1ELNS0_23CUDAHistogramMemoryTypeE0EZNS0_21CUDA_tensor_histogramIfiLb1EEEbNS_6TensorES4_S4_lNS_14AccumulateTypeIT0_Lb1EE4typeES8_NS0_13TensorArgTypeES9_S9_EUllE_EEvNS0_6detail10TensorInfoIT_T1_EESF_NSC_IKS6_SE_EElS8_S8_SE_T6_
	.p2align	8
	.type	_ZN2at4cuda17kernelHistogram1DIfilLi1ELi2ELin1ELNS0_23CUDAHistogramMemoryTypeE0EZNS0_21CUDA_tensor_histogramIfiLb1EEEbNS_6TensorES4_S4_lNS_14AccumulateTypeIT0_Lb1EE4typeES8_NS0_13TensorArgTypeES9_S9_EUllE_EEvNS0_6detail10TensorInfoIT_T1_EESF_NSC_IKS6_SE_EElS8_S8_SE_T6_,@function
_ZN2at4cuda17kernelHistogram1DIfilLi1ELi2ELin1ELNS0_23CUDAHistogramMemoryTypeE0EZNS0_21CUDA_tensor_histogramIfiLb1EEEbNS_6TensorES4_S4_lNS_14AccumulateTypeIT0_Lb1EE4typeES8_NS0_13TensorArgTypeES9_S9_EUllE_EEvNS0_6detail10TensorInfoIT_T1_EESF_NSC_IKS6_SE_EElS8_S8_SE_T6_: ; @_ZN2at4cuda17kernelHistogram1DIfilLi1ELi2ELin1ELNS0_23CUDAHistogramMemoryTypeE0EZNS0_21CUDA_tensor_histogramIfiLb1EEEbNS_6TensorES4_S4_lNS_14AccumulateTypeIT0_Lb1EE4typeES8_NS0_13TensorArgTypeES9_S9_EUllE_EEvNS0_6detail10TensorInfoIT_T1_EESF_NSC_IKS6_SE_EElS8_S8_SE_T6_
; %bb.0:
	s_load_dwordx4 s[16:19], s[4:5], 0x0
	s_load_dwordx2 s[22:23], s[4:5], 0x500
	s_load_dwordx8 s[8:15], s[4:5], 0x4e0
	v_mov_b32_e32 v1, 0
	s_add_u32 s2, s4, 0x6a0
	s_waitcnt lgkmcnt(0)
	v_cmp_gt_i64_e64 s[0:1], s[18:19], v[0:1]
	v_cmp_le_i64_e32 vcc, s[18:19], v[0:1]
	s_addc_u32 s3, s5, 0
                                        ; implicit-def: $sgpr28
                                        ; implicit-def: $sgpr7
	s_and_saveexec_b64 s[20:21], vcc
	s_xor_b64 s[20:21], exec, s[20:21]
	s_cbranch_execz .LBB24_2
; %bb.1:
	s_load_dword s28, s[2:3], 0xc
	s_waitcnt lgkmcnt(0)
	s_and_b32 s7, s28, 0xffff
.LBB24_2:
	s_or_saveexec_b64 s[26:27], s[20:21]
	s_load_dwordx2 s[20:21], s[4:5], 0xd0
	s_load_dwordx2 s[24:25], s[4:5], 0x5d0
	v_mov_b32_e32 v12, s28
	v_mov_b32_e32 v5, s7
	s_xor_b64 exec, exec, s[26:27]
	s_cbranch_execz .LBB24_6
; %bb.3:
	s_load_dword s7, s[2:3], 0xc
	v_mov_b32_e32 v3, v1
	v_lshl_add_u32 v4, v0, 2, 0
	s_mov_b64 s[28:29], 0
	v_mov_b32_e32 v5, 0
	s_waitcnt lgkmcnt(0)
	s_and_b32 s30, s7, 0xffff
	s_lshl_b32 s31, s30, 2
	v_mov_b32_e32 v2, v0
.LBB24_4:                               ; =>This Inner Loop Header: Depth=1
	v_add_co_u32_e32 v2, vcc, s30, v2
	v_addc_co_u32_e32 v3, vcc, 0, v3, vcc
	v_cmp_le_i64_e32 vcc, s[18:19], v[2:3]
	ds_write_b32 v4, v5
	s_or_b64 s[28:29], vcc, s[28:29]
	v_add_u32_e32 v4, s31, v4
	s_andn2_b64 exec, exec, s[28:29]
	s_cbranch_execnz .LBB24_4
; %bb.5:
	s_or_b64 exec, exec, s[28:29]
	v_mov_b32_e32 v12, s7
	v_mov_b32_e32 v5, s30
.LBB24_6:
	s_or_b64 exec, exec, s[26:27]
	v_mad_u64_u32 v[2:3], s[6:7], s6, v5, v[0:1]
	v_mov_b32_e32 v4, 0
	v_mov_b32_e32 v3, v4
	v_cmp_gt_i64_e32 vcc, s[14:15], v[2:3]
	s_waitcnt lgkmcnt(0)
	s_barrier
	s_and_saveexec_b64 s[6:7], vcc
	s_cbranch_execz .LBB24_22
; %bb.7:
	s_load_dword s30, s[4:5], 0x4d8
	s_load_dwordx2 s[28:29], s[4:5], 0x340
	s_add_u32 s31, s4, 0x340
	s_addc_u32 s35, s5, 0
	s_load_dword s34, s[2:3], 0x0
	s_load_dwordx2 s[26:27], s[4:5], 0x410
	s_waitcnt lgkmcnt(0)
	s_cmp_gt_i32 s30, 1
	s_cselect_b64 s[2:3], -1, 0
	s_sub_u32 s33, s12, s10
	s_subb_u32 s46, s13, s11
	s_mov_b32 s5, 0
	s_add_i32 s4, s30, -1
	s_add_i32 s47, s30, 1
	s_lshl_b64 s[4:5], s[4:5], 3
	v_mul_lo_u32 v13, s34, v5
	s_add_u32 s4, s31, s4
	s_addc_u32 s5, s35, s5
	s_add_u32 s30, s4, 8
	v_cndmask_b32_e64 v5, 0, 1, s[2:3]
	s_addc_u32 s31, s5, 0
	s_mov_b64 s[34:35], 0
	v_cmp_ne_u32_e64 s[2:3], 1, v5
	s_branch .LBB24_10
.LBB24_8:                               ;   in Loop: Header=BB24_10 Depth=1
	s_or_b64 exec, exec, s[4:5]
	v_mul_lo_u32 v7, v3, s24
	v_mul_lo_u32 v9, v2, s25
	v_mad_u64_u32 v[5:6], s[4:5], v2, s24, 0
	v_add3_u32 v6, v6, v9, v7
	v_lshlrev_b64 v[5:6], 2, v[5:6]
	v_mov_b32_e32 v7, s23
	v_add_co_u32_e32 v5, vcc, s22, v5
	v_addc_co_u32_e32 v6, vcc, v7, v6, vcc
	global_load_dword v5, v[5:6], off
	v_ashrrev_i32_e32 v9, 31, v8
	v_cmp_eq_u64_e32 vcc, s[8:9], v[8:9]
	v_subbrev_co_u32_e32 v6, vcc, 0, v8, vcc
	v_lshl_add_u32 v6, v6, 2, 0
	s_waitcnt vmcnt(0)
	ds_add_f32 v6, v5
.LBB24_9:                               ;   in Loop: Header=BB24_10 Depth=1
	s_or_b64 exec, exec, s[36:37]
	v_add_co_u32_e32 v2, vcc, v2, v13
	v_addc_co_u32_e32 v3, vcc, 0, v3, vcc
	v_cmp_le_i64_e32 vcc, s[14:15], v[2:3]
	s_or_b64 s[34:35], vcc, s[34:35]
	s_andn2_b64 exec, exec, s[34:35]
	s_cbranch_execz .LBB24_22
.LBB24_10:                              ; =>This Loop Header: Depth=1
                                        ;     Child Loop BB24_11 Depth 2
	v_mov_b32_e32 v6, 0
	v_mov_b32_e32 v9, v3
	;; [unrolled: 1-line block ×4, first 2 shown]
	s_and_b64 vcc, exec, s[2:3]
	s_mov_b64 s[36:37], s[30:31]
	s_mov_b32 s48, s47
	v_mov_b32_e32 v8, v2
	v_mov_b32_e32 v10, v2
	s_cbranch_vccnz .LBB24_17
.LBB24_11:                              ;   Parent Loop BB24_10 Depth=1
                                        ; =>  This Inner Loop Header: Depth=2
	s_load_dwordx2 s[38:39], s[36:37], 0x0
                                        ; implicit-def: $vgpr10_vgpr11
	s_waitcnt lgkmcnt(0)
	v_or_b32_e32 v5, s39, v9
	v_cmp_ne_u64_e32 vcc, 0, v[4:5]
	s_and_saveexec_b64 s[4:5], vcc
	s_xor_b64 s[40:41], exec, s[4:5]
	s_cbranch_execz .LBB24_13
; %bb.12:                               ;   in Loop: Header=BB24_11 Depth=2
	s_ashr_i32 s42, s39, 31
	s_add_u32 s4, s38, s42
	s_mov_b32 s43, s42
	s_addc_u32 s5, s39, s42
	s_xor_b64 s[44:45], s[4:5], s[42:43]
	v_cvt_f32_u32_e32 v5, s44
	v_cvt_f32_u32_e32 v10, s45
	s_sub_u32 s43, 0, s44
	s_subb_u32 s49, 0, s45
	v_mac_f32_e32 v5, 0x4f800000, v10
	v_rcp_f32_e32 v5, v5
	v_mul_f32_e32 v5, 0x5f7ffffc, v5
	v_mul_f32_e32 v10, 0x2f800000, v5
	v_trunc_f32_e32 v10, v10
	v_mac_f32_e32 v5, 0xcf800000, v10
	v_cvt_u32_f32_e32 v10, v10
	v_cvt_u32_f32_e32 v5, v5
	v_readfirstlane_b32 s50, v10
	v_readfirstlane_b32 s4, v5
	s_mul_i32 s5, s43, s50
	s_mul_hi_u32 s52, s43, s4
	s_mul_i32 s51, s49, s4
	s_add_i32 s5, s52, s5
	s_add_i32 s5, s5, s51
	s_mul_i32 s53, s43, s4
	s_mul_i32 s52, s4, s5
	s_mul_hi_u32 s54, s4, s53
	s_mul_hi_u32 s51, s4, s5
	s_add_u32 s52, s54, s52
	s_addc_u32 s51, 0, s51
	s_mul_hi_u32 s55, s50, s53
	s_mul_i32 s53, s50, s53
	s_add_u32 s52, s52, s53
	s_mul_hi_u32 s54, s50, s5
	s_addc_u32 s51, s51, s55
	s_addc_u32 s52, s54, 0
	s_mul_i32 s5, s50, s5
	s_add_u32 s5, s51, s5
	s_addc_u32 s51, 0, s52
	s_add_u32 s52, s4, s5
	s_cselect_b64 s[4:5], -1, 0
	s_cmp_lg_u64 s[4:5], 0
	s_addc_u32 s50, s50, s51
	s_mul_i32 s4, s43, s50
	s_mul_hi_u32 s5, s43, s52
	s_add_i32 s4, s5, s4
	s_mul_i32 s49, s49, s52
	s_add_i32 s4, s4, s49
	s_mul_i32 s43, s43, s52
	s_mul_hi_u32 s49, s50, s43
	s_mul_i32 s51, s50, s43
	s_mul_i32 s54, s52, s4
	s_mul_hi_u32 s43, s52, s43
	s_mul_hi_u32 s53, s52, s4
	s_add_u32 s43, s43, s54
	s_addc_u32 s53, 0, s53
	s_add_u32 s43, s43, s51
	s_mul_hi_u32 s5, s50, s4
	s_addc_u32 s43, s53, s49
	s_addc_u32 s5, s5, 0
	s_mul_i32 s4, s50, s4
	s_add_u32 s4, s43, s4
	s_addc_u32 s43, 0, s5
	s_add_u32 s49, s52, s4
	s_cselect_b64 s[4:5], -1, 0
	v_ashrrev_i32_e32 v5, 31, v9
	s_cmp_lg_u64 s[4:5], 0
	v_add_co_u32_e32 v10, vcc, v8, v5
	s_addc_u32 s43, s50, s43
	v_xor_b32_e32 v16, v10, v5
	v_mad_u64_u32 v[10:11], s[4:5], v16, s43, 0
	v_mul_hi_u32 v15, v16, s49
	v_addc_co_u32_e32 v14, vcc, v9, v5, vcc
	v_xor_b32_e32 v17, v14, v5
	v_add_co_u32_e32 v18, vcc, v15, v10
	v_addc_co_u32_e32 v19, vcc, 0, v11, vcc
	v_mad_u64_u32 v[10:11], s[4:5], v17, s49, 0
	v_mad_u64_u32 v[14:15], s[4:5], v17, s43, 0
	v_add_co_u32_e32 v10, vcc, v18, v10
	v_addc_co_u32_e32 v10, vcc, v19, v11, vcc
	v_addc_co_u32_e32 v11, vcc, 0, v15, vcc
	v_add_co_u32_e32 v14, vcc, v10, v14
	v_addc_co_u32_e32 v15, vcc, 0, v11, vcc
	v_mul_lo_u32 v18, s45, v14
	v_mul_lo_u32 v19, s44, v15
	v_mad_u64_u32 v[10:11], s[4:5], s44, v14, 0
	v_xor_b32_e32 v5, s42, v5
	v_add3_u32 v11, v11, v19, v18
	v_sub_u32_e32 v18, v17, v11
	v_mov_b32_e32 v19, s45
	v_sub_co_u32_e32 v10, vcc, v16, v10
	v_subb_co_u32_e64 v16, s[4:5], v18, v19, vcc
	v_subrev_co_u32_e64 v18, s[4:5], s44, v10
	v_subbrev_co_u32_e64 v16, s[4:5], 0, v16, s[4:5]
	v_cmp_le_u32_e64 s[4:5], s45, v16
	v_cndmask_b32_e64 v19, 0, -1, s[4:5]
	v_cmp_le_u32_e64 s[4:5], s44, v18
	v_cndmask_b32_e64 v18, 0, -1, s[4:5]
	v_cmp_eq_u32_e64 s[4:5], s45, v16
	v_cndmask_b32_e64 v16, v19, v18, s[4:5]
	v_add_co_u32_e64 v18, s[4:5], 2, v14
	v_subb_co_u32_e32 v11, vcc, v17, v11, vcc
	v_addc_co_u32_e64 v19, s[4:5], 0, v15, s[4:5]
	v_cmp_le_u32_e32 vcc, s45, v11
	v_add_co_u32_e64 v20, s[4:5], 1, v14
	v_cndmask_b32_e64 v17, 0, -1, vcc
	v_cmp_le_u32_e32 vcc, s44, v10
	v_addc_co_u32_e64 v21, s[4:5], 0, v15, s[4:5]
	v_cndmask_b32_e64 v10, 0, -1, vcc
	v_cmp_eq_u32_e32 vcc, s45, v11
	v_cmp_ne_u32_e64 s[4:5], 0, v16
	v_cndmask_b32_e32 v10, v17, v10, vcc
	v_cndmask_b32_e64 v16, v21, v19, s[4:5]
	v_cmp_ne_u32_e32 vcc, 0, v10
	v_cndmask_b32_e64 v11, v20, v18, s[4:5]
	v_cndmask_b32_e32 v10, v15, v16, vcc
	v_cndmask_b32_e32 v11, v14, v11, vcc
	v_xor_b32_e32 v14, v10, v5
	v_xor_b32_e32 v10, v11, v5
	v_sub_co_u32_e32 v10, vcc, v10, v5
	v_subb_co_u32_e32 v11, vcc, v14, v5, vcc
.LBB24_13:                              ;   in Loop: Header=BB24_11 Depth=2
	s_andn2_saveexec_b64 s[4:5], s[40:41]
	s_cbranch_execz .LBB24_15
; %bb.14:                               ;   in Loop: Header=BB24_11 Depth=2
	v_cvt_f32_u32_e32 v5, s38
	s_sub_i32 s40, 0, s38
	v_rcp_iflag_f32_e32 v5, v5
	v_mul_f32_e32 v5, 0x4f7ffffe, v5
	v_cvt_u32_f32_e32 v5, v5
	v_mul_lo_u32 v10, s40, v5
	v_mul_hi_u32 v10, v5, v10
	v_add_u32_e32 v5, v5, v10
	v_mul_hi_u32 v5, v8, v5
	v_mul_lo_u32 v10, v5, s38
	v_add_u32_e32 v11, 1, v5
	v_sub_u32_e32 v10, v8, v10
	v_subrev_u32_e32 v14, s38, v10
	v_cmp_le_u32_e32 vcc, s38, v10
	v_cndmask_b32_e32 v10, v10, v14, vcc
	v_cndmask_b32_e32 v5, v5, v11, vcc
	v_add_u32_e32 v11, 1, v5
	v_cmp_le_u32_e32 vcc, s38, v10
	v_cndmask_b32_e32 v10, v5, v11, vcc
	v_mov_b32_e32 v11, v4
.LBB24_15:                              ;   in Loop: Header=BB24_11 Depth=2
	s_or_b64 exec, exec, s[4:5]
	v_mul_lo_u32 v5, v11, s38
	v_mul_lo_u32 v16, v10, s39
	v_mad_u64_u32 v[14:15], s[4:5], v10, s38, 0
	s_load_dwordx2 s[4:5], s[36:37], 0xc8
	s_add_i32 s48, s48, -1
	v_add3_u32 v5, v15, v16, v5
	v_sub_co_u32_e32 v8, vcc, v8, v14
	v_subb_co_u32_e32 v5, vcc, v9, v5, vcc
	s_waitcnt lgkmcnt(0)
	v_mul_lo_u32 v5, s4, v5
	v_mul_lo_u32 v9, s5, v8
	v_mad_u64_u32 v[6:7], s[4:5], s4, v8, v[6:7]
	s_add_u32 s36, s36, -8
	s_addc_u32 s37, s37, -1
	s_cmp_gt_u32 s48, 2
	v_add3_u32 v7, v9, v7, v5
	s_cbranch_scc0 .LBB24_17
; %bb.16:                               ;   in Loop: Header=BB24_11 Depth=2
	v_mov_b32_e32 v8, v10
	v_mov_b32_e32 v9, v11
	s_branch .LBB24_11
.LBB24_17:                              ;   in Loop: Header=BB24_10 Depth=1
	v_mul_lo_u32 v5, s27, v10
	v_mul_lo_u32 v11, s26, v11
	v_mad_u64_u32 v[8:9], s[4:5], s26, v10, 0
	v_add3_u32 v9, v9, v11, v5
	v_lshlrev_b64 v[8:9], 2, v[8:9]
	v_mov_b32_e32 v5, s29
	v_add_co_u32_e32 v8, vcc, s28, v8
	v_addc_co_u32_e32 v9, vcc, v5, v9, vcc
	v_lshlrev_b64 v[5:6], 2, v[6:7]
	v_add_co_u32_e32 v5, vcc, v8, v5
	v_addc_co_u32_e32 v6, vcc, v9, v6, vcc
	global_load_dword v5, v[5:6], off
	s_waitcnt vmcnt(0)
	v_ashrrev_i32_e32 v6, 31, v5
	v_cmp_le_i64_e32 vcc, s[10:11], v[5:6]
	v_cmp_ge_i64_e64 s[4:5], s[12:13], v[5:6]
	s_and_b64 s[4:5], vcc, s[4:5]
	s_and_saveexec_b64 s[36:37], s[4:5]
	s_cbranch_execz .LBB24_9
; %bb.18:                               ;   in Loop: Header=BB24_10 Depth=1
	v_mov_b32_e32 v7, s11
	v_subrev_co_u32_e32 v5, vcc, s10, v5
	v_subb_co_u32_e32 v6, vcc, v6, v7, vcc
	v_mul_lo_u32 v8, v6, s8
	v_mul_lo_u32 v9, v5, s9
	v_mad_u64_u32 v[6:7], s[4:5], v5, s8, 0
	v_add3_u32 v7, v7, v9, v8
	v_or_b32_e32 v5, s46, v7
	v_cmp_ne_u64_e32 vcc, 0, v[4:5]
                                        ; implicit-def: $vgpr8_vgpr9
	s_and_saveexec_b64 s[4:5], vcc
	s_xor_b64 s[38:39], exec, s[4:5]
	s_cbranch_execz .LBB24_20
; %bb.19:                               ;   in Loop: Header=BB24_10 Depth=1
	s_ashr_i32 s40, s46, 31
	s_add_u32 s4, s33, s40
	s_mov_b32 s41, s40
	s_addc_u32 s5, s46, s40
	s_xor_b64 s[42:43], s[4:5], s[40:41]
	v_cvt_f32_u32_e32 v5, s42
	v_cvt_f32_u32_e32 v8, s43
	s_sub_u32 s41, 0, s42
	s_subb_u32 s44, 0, s43
	v_ashrrev_i32_e32 v9, 31, v7
	v_mac_f32_e32 v5, 0x4f800000, v8
	v_rcp_f32_e32 v5, v5
	v_mul_f32_e32 v5, 0x5f7ffffc, v5
	v_mul_f32_e32 v8, 0x2f800000, v5
	v_trunc_f32_e32 v8, v8
	v_mac_f32_e32 v5, 0xcf800000, v8
	v_cvt_u32_f32_e32 v8, v8
	v_cvt_u32_f32_e32 v5, v5
	v_readfirstlane_b32 s45, v8
	v_readfirstlane_b32 s4, v5
	s_mul_i32 s5, s41, s45
	s_mul_hi_u32 s49, s41, s4
	s_mul_i32 s48, s44, s4
	s_add_i32 s5, s49, s5
	s_add_i32 s5, s5, s48
	s_mul_i32 s50, s41, s4
	s_mul_i32 s49, s4, s5
	s_mul_hi_u32 s51, s4, s50
	s_mul_hi_u32 s48, s4, s5
	s_add_u32 s49, s51, s49
	s_addc_u32 s48, 0, s48
	s_mul_hi_u32 s52, s45, s50
	s_mul_i32 s50, s45, s50
	s_add_u32 s49, s49, s50
	s_mul_hi_u32 s51, s45, s5
	s_addc_u32 s48, s48, s52
	s_addc_u32 s49, s51, 0
	s_mul_i32 s5, s45, s5
	s_add_u32 s5, s48, s5
	s_addc_u32 s48, 0, s49
	s_add_u32 s49, s4, s5
	s_cselect_b64 s[4:5], -1, 0
	s_cmp_lg_u64 s[4:5], 0
	s_addc_u32 s45, s45, s48
	s_mul_i32 s4, s41, s45
	s_mul_hi_u32 s5, s41, s49
	s_add_i32 s4, s5, s4
	s_mul_i32 s44, s44, s49
	s_add_i32 s4, s4, s44
	s_mul_i32 s41, s41, s49
	s_mul_hi_u32 s44, s45, s41
	s_mul_i32 s48, s45, s41
	s_mul_i32 s51, s49, s4
	s_mul_hi_u32 s41, s49, s41
	s_mul_hi_u32 s50, s49, s4
	s_add_u32 s41, s41, s51
	s_addc_u32 s50, 0, s50
	s_add_u32 s41, s41, s48
	s_mul_hi_u32 s5, s45, s4
	s_addc_u32 s41, s50, s44
	s_addc_u32 s5, s5, 0
	s_mul_i32 s4, s45, s4
	s_add_u32 s4, s41, s4
	s_addc_u32 s41, 0, s5
	s_add_u32 s44, s49, s4
	s_cselect_b64 s[4:5], -1, 0
	s_cmp_lg_u64 s[4:5], 0
	v_add_co_u32_e32 v5, vcc, v6, v9
	s_addc_u32 s41, s45, s41
	v_xor_b32_e32 v10, v5, v9
	v_mad_u64_u32 v[5:6], s[4:5], v10, s41, 0
	v_mul_hi_u32 v8, v10, s44
	v_addc_co_u32_e32 v7, vcc, v7, v9, vcc
	v_xor_b32_e32 v11, v7, v9
	v_add_co_u32_e32 v14, vcc, v8, v5
	v_addc_co_u32_e32 v15, vcc, 0, v6, vcc
	v_mad_u64_u32 v[5:6], s[4:5], v11, s44, 0
	v_mad_u64_u32 v[7:8], s[4:5], v11, s41, 0
	v_add_co_u32_e32 v5, vcc, v14, v5
	v_addc_co_u32_e32 v5, vcc, v15, v6, vcc
	v_addc_co_u32_e32 v6, vcc, 0, v8, vcc
	v_add_co_u32_e32 v7, vcc, v5, v7
	v_addc_co_u32_e32 v5, vcc, 0, v6, vcc
	v_mul_lo_u32 v8, s43, v7
	v_mul_lo_u32 v14, s42, v5
	v_mad_u64_u32 v[5:6], s[4:5], s42, v7, 0
	v_add3_u32 v6, v6, v14, v8
	v_sub_u32_e32 v8, v11, v6
	v_mov_b32_e32 v14, s43
	v_sub_co_u32_e32 v5, vcc, v10, v5
	v_subb_co_u32_e64 v8, s[4:5], v8, v14, vcc
	v_subrev_co_u32_e64 v10, s[4:5], s42, v5
	v_subbrev_co_u32_e64 v8, s[4:5], 0, v8, s[4:5]
	v_cmp_le_u32_e64 s[4:5], s43, v8
	v_subb_co_u32_e32 v6, vcc, v11, v6, vcc
	v_cndmask_b32_e64 v14, 0, -1, s[4:5]
	v_cmp_le_u32_e64 s[4:5], s42, v10
	v_cmp_le_u32_e32 vcc, s43, v6
	v_cndmask_b32_e64 v10, 0, -1, s[4:5]
	v_cmp_eq_u32_e64 s[4:5], s43, v8
	v_cndmask_b32_e64 v11, 0, -1, vcc
	v_cmp_le_u32_e32 vcc, s42, v5
	v_cndmask_b32_e64 v8, v14, v10, s[4:5]
	v_cndmask_b32_e64 v5, 0, -1, vcc
	v_cmp_eq_u32_e32 vcc, s43, v6
	v_add_co_u32_e64 v10, s[4:5], 2, v7
	v_add_co_u32_e64 v14, s[4:5], 1, v7
	v_cndmask_b32_e32 v5, v11, v5, vcc
	v_cmp_ne_u32_e32 vcc, 0, v8
	v_cndmask_b32_e32 v6, v14, v10, vcc
	v_cmp_ne_u32_e32 vcc, 0, v5
	v_cndmask_b32_e32 v5, v7, v6, vcc
	v_xor_b32_e32 v6, s40, v9
	v_xor_b32_e32 v5, v5, v6
	v_sub_co_u32_e32 v8, vcc, v5, v6
                                        ; implicit-def: $vgpr6_vgpr7
.LBB24_20:                              ;   in Loop: Header=BB24_10 Depth=1
	s_andn2_saveexec_b64 s[4:5], s[38:39]
	s_cbranch_execz .LBB24_8
; %bb.21:                               ;   in Loop: Header=BB24_10 Depth=1
	v_cvt_f32_u32_e32 v5, s33
	s_sub_i32 s38, 0, s33
	v_rcp_iflag_f32_e32 v5, v5
	v_mul_f32_e32 v5, 0x4f7ffffe, v5
	v_cvt_u32_f32_e32 v5, v5
	v_mul_lo_u32 v7, s38, v5
	v_mul_hi_u32 v7, v5, v7
	v_add_u32_e32 v5, v5, v7
	v_mul_hi_u32 v5, v6, v5
	v_mul_lo_u32 v7, v5, s33
	v_add_u32_e32 v8, 1, v5
	v_sub_u32_e32 v6, v6, v7
	v_subrev_u32_e32 v7, s33, v6
	v_cmp_le_u32_e32 vcc, s33, v6
	v_cndmask_b32_e32 v6, v6, v7, vcc
	v_cndmask_b32_e32 v5, v5, v8, vcc
	v_add_u32_e32 v7, 1, v5
	v_cmp_le_u32_e32 vcc, s33, v6
	v_cndmask_b32_e32 v8, v5, v7, vcc
	s_branch .LBB24_8
.LBB24_22:
	s_or_b64 exec, exec, s[6:7]
; %bb.23:
	s_waitcnt lgkmcnt(0)
	s_barrier
	s_and_saveexec_b64 s[2:3], s[0:1]
	s_cbranch_execz .LBB24_28
; %bb.24:
	v_and_b32_e32 v6, 0xffff, v12
	s_mov_b64 s[0:1], 0
	v_mov_b32_e32 v7, s17
.LBB24_25:                              ; =>This Loop Header: Depth=1
                                        ;     Child Loop BB24_26 Depth 2
	v_mul_lo_u32 v4, v1, s20
	v_mul_lo_u32 v5, v0, s21
	v_mad_u64_u32 v[2:3], s[2:3], v0, s20, 0
	s_mov_b64 s[2:3], 0
	v_add3_u32 v3, v3, v5, v4
	v_lshlrev_b64 v[2:3], 2, v[2:3]
	v_lshl_add_u32 v4, v0, 2, 0
	v_add_co_u32_e32 v2, vcc, s16, v2
	v_addc_co_u32_e32 v3, vcc, v7, v3, vcc
	global_load_dword v5, v[2:3], off
	ds_read_b32 v8, v4
.LBB24_26:                              ;   Parent Loop BB24_25 Depth=1
                                        ; =>  This Inner Loop Header: Depth=2
	s_waitcnt vmcnt(0) lgkmcnt(0)
	v_add_f32_e32 v4, v5, v8
	global_atomic_cmpswap v4, v[2:3], v[4:5], off glc
	s_waitcnt vmcnt(0)
	v_cmp_eq_u32_e32 vcc, v4, v5
	s_or_b64 s[2:3], vcc, s[2:3]
	v_mov_b32_e32 v5, v4
	s_andn2_b64 exec, exec, s[2:3]
	s_cbranch_execnz .LBB24_26
; %bb.27:                               ;   in Loop: Header=BB24_25 Depth=1
	s_or_b64 exec, exec, s[2:3]
	v_add_co_u32_e32 v0, vcc, v0, v6
	v_addc_co_u32_e32 v1, vcc, 0, v1, vcc
	v_cmp_le_i64_e32 vcc, s[18:19], v[0:1]
	s_or_b64 s[0:1], vcc, s[0:1]
	s_andn2_b64 exec, exec, s[0:1]
	s_cbranch_execnz .LBB24_25
.LBB24_28:
	s_endpgm
	.section	.rodata,"a",@progbits
	.p2align	6, 0x0
	.amdhsa_kernel _ZN2at4cuda17kernelHistogram1DIfilLi1ELi2ELin1ELNS0_23CUDAHistogramMemoryTypeE0EZNS0_21CUDA_tensor_histogramIfiLb1EEEbNS_6TensorES4_S4_lNS_14AccumulateTypeIT0_Lb1EE4typeES8_NS0_13TensorArgTypeES9_S9_EUllE_EEvNS0_6detail10TensorInfoIT_T1_EESF_NSC_IKS6_SE_EElS8_S8_SE_T6_
		.amdhsa_group_segment_fixed_size 0
		.amdhsa_private_segment_fixed_size 0
		.amdhsa_kernarg_size 1952
		.amdhsa_user_sgpr_count 6
		.amdhsa_user_sgpr_private_segment_buffer 1
		.amdhsa_user_sgpr_dispatch_ptr 0
		.amdhsa_user_sgpr_queue_ptr 0
		.amdhsa_user_sgpr_kernarg_segment_ptr 1
		.amdhsa_user_sgpr_dispatch_id 0
		.amdhsa_user_sgpr_flat_scratch_init 0
		.amdhsa_user_sgpr_private_segment_size 0
		.amdhsa_uses_dynamic_stack 0
		.amdhsa_system_sgpr_private_segment_wavefront_offset 0
		.amdhsa_system_sgpr_workgroup_id_x 1
		.amdhsa_system_sgpr_workgroup_id_y 0
		.amdhsa_system_sgpr_workgroup_id_z 0
		.amdhsa_system_sgpr_workgroup_info 0
		.amdhsa_system_vgpr_workitem_id 0
		.amdhsa_next_free_vgpr 22
		.amdhsa_next_free_sgpr 56
		.amdhsa_reserve_vcc 1
		.amdhsa_reserve_flat_scratch 0
		.amdhsa_float_round_mode_32 0
		.amdhsa_float_round_mode_16_64 0
		.amdhsa_float_denorm_mode_32 3
		.amdhsa_float_denorm_mode_16_64 3
		.amdhsa_dx10_clamp 1
		.amdhsa_ieee_mode 1
		.amdhsa_fp16_overflow 0
		.amdhsa_exception_fp_ieee_invalid_op 0
		.amdhsa_exception_fp_denorm_src 0
		.amdhsa_exception_fp_ieee_div_zero 0
		.amdhsa_exception_fp_ieee_overflow 0
		.amdhsa_exception_fp_ieee_underflow 0
		.amdhsa_exception_fp_ieee_inexact 0
		.amdhsa_exception_int_div_zero 0
	.end_amdhsa_kernel
	.section	.text._ZN2at4cuda17kernelHistogram1DIfilLi1ELi2ELin1ELNS0_23CUDAHistogramMemoryTypeE0EZNS0_21CUDA_tensor_histogramIfiLb1EEEbNS_6TensorES4_S4_lNS_14AccumulateTypeIT0_Lb1EE4typeES8_NS0_13TensorArgTypeES9_S9_EUllE_EEvNS0_6detail10TensorInfoIT_T1_EESF_NSC_IKS6_SE_EElS8_S8_SE_T6_,"axG",@progbits,_ZN2at4cuda17kernelHistogram1DIfilLi1ELi2ELin1ELNS0_23CUDAHistogramMemoryTypeE0EZNS0_21CUDA_tensor_histogramIfiLb1EEEbNS_6TensorES4_S4_lNS_14AccumulateTypeIT0_Lb1EE4typeES8_NS0_13TensorArgTypeES9_S9_EUllE_EEvNS0_6detail10TensorInfoIT_T1_EESF_NSC_IKS6_SE_EElS8_S8_SE_T6_,comdat
.Lfunc_end24:
	.size	_ZN2at4cuda17kernelHistogram1DIfilLi1ELi2ELin1ELNS0_23CUDAHistogramMemoryTypeE0EZNS0_21CUDA_tensor_histogramIfiLb1EEEbNS_6TensorES4_S4_lNS_14AccumulateTypeIT0_Lb1EE4typeES8_NS0_13TensorArgTypeES9_S9_EUllE_EEvNS0_6detail10TensorInfoIT_T1_EESF_NSC_IKS6_SE_EElS8_S8_SE_T6_, .Lfunc_end24-_ZN2at4cuda17kernelHistogram1DIfilLi1ELi2ELin1ELNS0_23CUDAHistogramMemoryTypeE0EZNS0_21CUDA_tensor_histogramIfiLb1EEEbNS_6TensorES4_S4_lNS_14AccumulateTypeIT0_Lb1EE4typeES8_NS0_13TensorArgTypeES9_S9_EUllE_EEvNS0_6detail10TensorInfoIT_T1_EESF_NSC_IKS6_SE_EElS8_S8_SE_T6_
                                        ; -- End function
	.set _ZN2at4cuda17kernelHistogram1DIfilLi1ELi2ELin1ELNS0_23CUDAHistogramMemoryTypeE0EZNS0_21CUDA_tensor_histogramIfiLb1EEEbNS_6TensorES4_S4_lNS_14AccumulateTypeIT0_Lb1EE4typeES8_NS0_13TensorArgTypeES9_S9_EUllE_EEvNS0_6detail10TensorInfoIT_T1_EESF_NSC_IKS6_SE_EElS8_S8_SE_T6_.num_vgpr, 22
	.set _ZN2at4cuda17kernelHistogram1DIfilLi1ELi2ELin1ELNS0_23CUDAHistogramMemoryTypeE0EZNS0_21CUDA_tensor_histogramIfiLb1EEEbNS_6TensorES4_S4_lNS_14AccumulateTypeIT0_Lb1EE4typeES8_NS0_13TensorArgTypeES9_S9_EUllE_EEvNS0_6detail10TensorInfoIT_T1_EESF_NSC_IKS6_SE_EElS8_S8_SE_T6_.num_agpr, 0
	.set _ZN2at4cuda17kernelHistogram1DIfilLi1ELi2ELin1ELNS0_23CUDAHistogramMemoryTypeE0EZNS0_21CUDA_tensor_histogramIfiLb1EEEbNS_6TensorES4_S4_lNS_14AccumulateTypeIT0_Lb1EE4typeES8_NS0_13TensorArgTypeES9_S9_EUllE_EEvNS0_6detail10TensorInfoIT_T1_EESF_NSC_IKS6_SE_EElS8_S8_SE_T6_.numbered_sgpr, 56
	.set _ZN2at4cuda17kernelHistogram1DIfilLi1ELi2ELin1ELNS0_23CUDAHistogramMemoryTypeE0EZNS0_21CUDA_tensor_histogramIfiLb1EEEbNS_6TensorES4_S4_lNS_14AccumulateTypeIT0_Lb1EE4typeES8_NS0_13TensorArgTypeES9_S9_EUllE_EEvNS0_6detail10TensorInfoIT_T1_EESF_NSC_IKS6_SE_EElS8_S8_SE_T6_.num_named_barrier, 0
	.set _ZN2at4cuda17kernelHistogram1DIfilLi1ELi2ELin1ELNS0_23CUDAHistogramMemoryTypeE0EZNS0_21CUDA_tensor_histogramIfiLb1EEEbNS_6TensorES4_S4_lNS_14AccumulateTypeIT0_Lb1EE4typeES8_NS0_13TensorArgTypeES9_S9_EUllE_EEvNS0_6detail10TensorInfoIT_T1_EESF_NSC_IKS6_SE_EElS8_S8_SE_T6_.private_seg_size, 0
	.set _ZN2at4cuda17kernelHistogram1DIfilLi1ELi2ELin1ELNS0_23CUDAHistogramMemoryTypeE0EZNS0_21CUDA_tensor_histogramIfiLb1EEEbNS_6TensorES4_S4_lNS_14AccumulateTypeIT0_Lb1EE4typeES8_NS0_13TensorArgTypeES9_S9_EUllE_EEvNS0_6detail10TensorInfoIT_T1_EESF_NSC_IKS6_SE_EElS8_S8_SE_T6_.uses_vcc, 1
	.set _ZN2at4cuda17kernelHistogram1DIfilLi1ELi2ELin1ELNS0_23CUDAHistogramMemoryTypeE0EZNS0_21CUDA_tensor_histogramIfiLb1EEEbNS_6TensorES4_S4_lNS_14AccumulateTypeIT0_Lb1EE4typeES8_NS0_13TensorArgTypeES9_S9_EUllE_EEvNS0_6detail10TensorInfoIT_T1_EESF_NSC_IKS6_SE_EElS8_S8_SE_T6_.uses_flat_scratch, 0
	.set _ZN2at4cuda17kernelHistogram1DIfilLi1ELi2ELin1ELNS0_23CUDAHistogramMemoryTypeE0EZNS0_21CUDA_tensor_histogramIfiLb1EEEbNS_6TensorES4_S4_lNS_14AccumulateTypeIT0_Lb1EE4typeES8_NS0_13TensorArgTypeES9_S9_EUllE_EEvNS0_6detail10TensorInfoIT_T1_EESF_NSC_IKS6_SE_EElS8_S8_SE_T6_.has_dyn_sized_stack, 0
	.set _ZN2at4cuda17kernelHistogram1DIfilLi1ELi2ELin1ELNS0_23CUDAHistogramMemoryTypeE0EZNS0_21CUDA_tensor_histogramIfiLb1EEEbNS_6TensorES4_S4_lNS_14AccumulateTypeIT0_Lb1EE4typeES8_NS0_13TensorArgTypeES9_S9_EUllE_EEvNS0_6detail10TensorInfoIT_T1_EESF_NSC_IKS6_SE_EElS8_S8_SE_T6_.has_recursion, 0
	.set _ZN2at4cuda17kernelHistogram1DIfilLi1ELi2ELin1ELNS0_23CUDAHistogramMemoryTypeE0EZNS0_21CUDA_tensor_histogramIfiLb1EEEbNS_6TensorES4_S4_lNS_14AccumulateTypeIT0_Lb1EE4typeES8_NS0_13TensorArgTypeES9_S9_EUllE_EEvNS0_6detail10TensorInfoIT_T1_EESF_NSC_IKS6_SE_EElS8_S8_SE_T6_.has_indirect_call, 0
	.section	.AMDGPU.csdata,"",@progbits
; Kernel info:
; codeLenInByte = 2440
; TotalNumSgprs: 60
; NumVgprs: 22
; ScratchSize: 0
; MemoryBound: 0
; FloatMode: 240
; IeeeMode: 1
; LDSByteSize: 0 bytes/workgroup (compile time only)
; SGPRBlocks: 7
; VGPRBlocks: 5
; NumSGPRsForWavesPerEU: 60
; NumVGPRsForWavesPerEU: 22
; Occupancy: 10
; WaveLimiterHint : 1
; COMPUTE_PGM_RSRC2:SCRATCH_EN: 0
; COMPUTE_PGM_RSRC2:USER_SGPR: 6
; COMPUTE_PGM_RSRC2:TRAP_HANDLER: 0
; COMPUTE_PGM_RSRC2:TGID_X_EN: 1
; COMPUTE_PGM_RSRC2:TGID_Y_EN: 0
; COMPUTE_PGM_RSRC2:TGID_Z_EN: 0
; COMPUTE_PGM_RSRC2:TIDIG_COMP_CNT: 0
	.section	.text._ZN2at4cuda17kernelHistogram1DIfilLi1ELi2ELin1ELNS0_23CUDAHistogramMemoryTypeE1EZNS0_21CUDA_tensor_histogramIfiLb1EEEbNS_6TensorES4_S4_lNS_14AccumulateTypeIT0_Lb1EE4typeES8_NS0_13TensorArgTypeES9_S9_EUllE_EEvNS0_6detail10TensorInfoIT_T1_EESF_NSC_IKS6_SE_EElS8_S8_SE_T6_,"axG",@progbits,_ZN2at4cuda17kernelHistogram1DIfilLi1ELi2ELin1ELNS0_23CUDAHistogramMemoryTypeE1EZNS0_21CUDA_tensor_histogramIfiLb1EEEbNS_6TensorES4_S4_lNS_14AccumulateTypeIT0_Lb1EE4typeES8_NS0_13TensorArgTypeES9_S9_EUllE_EEvNS0_6detail10TensorInfoIT_T1_EESF_NSC_IKS6_SE_EElS8_S8_SE_T6_,comdat
	.protected	_ZN2at4cuda17kernelHistogram1DIfilLi1ELi2ELin1ELNS0_23CUDAHistogramMemoryTypeE1EZNS0_21CUDA_tensor_histogramIfiLb1EEEbNS_6TensorES4_S4_lNS_14AccumulateTypeIT0_Lb1EE4typeES8_NS0_13TensorArgTypeES9_S9_EUllE_EEvNS0_6detail10TensorInfoIT_T1_EESF_NSC_IKS6_SE_EElS8_S8_SE_T6_ ; -- Begin function _ZN2at4cuda17kernelHistogram1DIfilLi1ELi2ELin1ELNS0_23CUDAHistogramMemoryTypeE1EZNS0_21CUDA_tensor_histogramIfiLb1EEEbNS_6TensorES4_S4_lNS_14AccumulateTypeIT0_Lb1EE4typeES8_NS0_13TensorArgTypeES9_S9_EUllE_EEvNS0_6detail10TensorInfoIT_T1_EESF_NSC_IKS6_SE_EElS8_S8_SE_T6_
	.globl	_ZN2at4cuda17kernelHistogram1DIfilLi1ELi2ELin1ELNS0_23CUDAHistogramMemoryTypeE1EZNS0_21CUDA_tensor_histogramIfiLb1EEEbNS_6TensorES4_S4_lNS_14AccumulateTypeIT0_Lb1EE4typeES8_NS0_13TensorArgTypeES9_S9_EUllE_EEvNS0_6detail10TensorInfoIT_T1_EESF_NSC_IKS6_SE_EElS8_S8_SE_T6_
	.p2align	8
	.type	_ZN2at4cuda17kernelHistogram1DIfilLi1ELi2ELin1ELNS0_23CUDAHistogramMemoryTypeE1EZNS0_21CUDA_tensor_histogramIfiLb1EEEbNS_6TensorES4_S4_lNS_14AccumulateTypeIT0_Lb1EE4typeES8_NS0_13TensorArgTypeES9_S9_EUllE_EEvNS0_6detail10TensorInfoIT_T1_EESF_NSC_IKS6_SE_EElS8_S8_SE_T6_,@function
_ZN2at4cuda17kernelHistogram1DIfilLi1ELi2ELin1ELNS0_23CUDAHistogramMemoryTypeE1EZNS0_21CUDA_tensor_histogramIfiLb1EEEbNS_6TensorES4_S4_lNS_14AccumulateTypeIT0_Lb1EE4typeES8_NS0_13TensorArgTypeES9_S9_EUllE_EEvNS0_6detail10TensorInfoIT_T1_EESF_NSC_IKS6_SE_EElS8_S8_SE_T6_: ; @_ZN2at4cuda17kernelHistogram1DIfilLi1ELi2ELin1ELNS0_23CUDAHistogramMemoryTypeE1EZNS0_21CUDA_tensor_histogramIfiLb1EEEbNS_6TensorES4_S4_lNS_14AccumulateTypeIT0_Lb1EE4typeES8_NS0_13TensorArgTypeES9_S9_EUllE_EEvNS0_6detail10TensorInfoIT_T1_EESF_NSC_IKS6_SE_EElS8_S8_SE_T6_
; %bb.0:
	s_load_dword s2, s[4:5], 0x6ac
	s_load_dwordx8 s[8:15], s[4:5], 0x4e0
	s_add_u32 s0, s4, 0x6a0
	s_addc_u32 s1, s5, 0
	v_mov_b32_e32 v2, 0
	s_waitcnt lgkmcnt(0)
	s_and_b32 s2, s2, 0xffff
	s_mul_i32 s6, s6, s2
	v_add_u32_e32 v0, s6, v0
	v_mov_b32_e32 v1, v2
	v_cmp_gt_i64_e32 vcc, s[14:15], v[0:1]
	s_and_saveexec_b64 s[6:7], vcc
	s_cbranch_execz .LBB25_17
; %bb.1:
	s_load_dwordx2 s[6:7], s[4:5], 0x5d0
	s_load_dword s26, s[4:5], 0x4d8
	s_load_dwordx2 s[16:17], s[4:5], 0x500
	s_load_dword s3, s[0:1], 0x0
	s_add_u32 s27, s4, 0x340
	s_addc_u32 s28, s5, 0
	s_waitcnt lgkmcnt(0)
	s_cmp_gt_i32 s26, 1
	s_cselect_b64 s[0:1], -1, 0
	s_load_dwordx2 s[18:19], s[4:5], 0x0
	s_load_dwordx2 s[20:21], s[4:5], 0xd0
	;; [unrolled: 1-line block ×4, first 2 shown]
	s_sub_u32 s33, s12, s10
	s_subb_u32 s40, s13, s11
	s_mul_i32 s41, s3, s2
	s_mov_b32 s3, 0
	s_add_i32 s2, s26, -1
	s_add_i32 s42, s26, 1
	s_lshl_b64 s[2:3], s[2:3], 3
	s_add_u32 s2, s27, s2
	s_addc_u32 s3, s28, s3
	s_add_u32 s4, s2, 8
	v_cndmask_b32_e64 v3, 0, 1, s[0:1]
	s_addc_u32 s5, s3, 0
	s_mov_b64 s[26:27], 0
	v_cmp_ne_u32_e64 s[0:1], 1, v3
	s_branch .LBB25_3
.LBB25_2:                               ;   in Loop: Header=BB25_3 Depth=1
	s_or_b64 exec, exec, s[28:29]
	v_add_co_u32_e32 v0, vcc, s41, v0
	v_addc_co_u32_e32 v1, vcc, 0, v1, vcc
	v_cmp_le_i64_e32 vcc, s[14:15], v[0:1]
	s_or_b64 s[26:27], vcc, s[26:27]
	s_andn2_b64 exec, exec, s[26:27]
	s_cbranch_execz .LBB25_17
.LBB25_3:                               ; =>This Loop Header: Depth=1
                                        ;     Child Loop BB25_4 Depth 2
                                        ;     Child Loop BB25_16 Depth 2
	v_mov_b32_e32 v4, 0
	v_mov_b32_e32 v7, v1
	;; [unrolled: 1-line block ×4, first 2 shown]
	s_and_b64 vcc, exec, s[0:1]
	s_mov_b64 s[28:29], s[4:5]
	s_mov_b32 s43, s42
	v_mov_b32_e32 v6, v0
	v_mov_b32_e32 v8, v0
	s_cbranch_vccnz .LBB25_10
.LBB25_4:                               ;   Parent Loop BB25_3 Depth=1
                                        ; =>  This Inner Loop Header: Depth=2
	s_load_dwordx2 s[30:31], s[28:29], 0x0
                                        ; implicit-def: $vgpr8_vgpr9
	s_waitcnt lgkmcnt(0)
	v_or_b32_e32 v3, s31, v7
	v_cmp_ne_u64_e32 vcc, 0, v[2:3]
	s_and_saveexec_b64 s[2:3], vcc
	s_xor_b64 s[34:35], exec, s[2:3]
	s_cbranch_execz .LBB25_6
; %bb.5:                                ;   in Loop: Header=BB25_4 Depth=2
	s_ashr_i32 s36, s31, 31
	s_add_u32 s2, s30, s36
	s_mov_b32 s37, s36
	s_addc_u32 s3, s31, s36
	s_xor_b64 s[38:39], s[2:3], s[36:37]
	v_cvt_f32_u32_e32 v3, s38
	v_cvt_f32_u32_e32 v8, s39
	s_sub_u32 s37, 0, s38
	s_subb_u32 s44, 0, s39
	v_mac_f32_e32 v3, 0x4f800000, v8
	v_rcp_f32_e32 v3, v3
	v_mul_f32_e32 v3, 0x5f7ffffc, v3
	v_mul_f32_e32 v8, 0x2f800000, v3
	v_trunc_f32_e32 v8, v8
	v_mac_f32_e32 v3, 0xcf800000, v8
	v_cvt_u32_f32_e32 v8, v8
	v_cvt_u32_f32_e32 v3, v3
	v_readfirstlane_b32 s45, v8
	v_readfirstlane_b32 s2, v3
	s_mul_i32 s3, s37, s45
	s_mul_hi_u32 s47, s37, s2
	s_mul_i32 s46, s44, s2
	s_add_i32 s3, s47, s3
	s_add_i32 s3, s3, s46
	s_mul_i32 s48, s37, s2
	s_mul_i32 s47, s2, s3
	s_mul_hi_u32 s49, s2, s48
	s_mul_hi_u32 s46, s2, s3
	s_add_u32 s47, s49, s47
	s_addc_u32 s46, 0, s46
	s_mul_hi_u32 s50, s45, s48
	s_mul_i32 s48, s45, s48
	s_add_u32 s47, s47, s48
	s_mul_hi_u32 s49, s45, s3
	s_addc_u32 s46, s46, s50
	s_addc_u32 s47, s49, 0
	s_mul_i32 s3, s45, s3
	s_add_u32 s3, s46, s3
	s_addc_u32 s46, 0, s47
	s_add_u32 s47, s2, s3
	s_cselect_b64 s[2:3], -1, 0
	s_cmp_lg_u64 s[2:3], 0
	s_addc_u32 s45, s45, s46
	s_mul_i32 s2, s37, s45
	s_mul_hi_u32 s3, s37, s47
	s_add_i32 s2, s3, s2
	s_mul_i32 s44, s44, s47
	s_add_i32 s2, s2, s44
	s_mul_i32 s37, s37, s47
	s_mul_hi_u32 s44, s45, s37
	s_mul_i32 s46, s45, s37
	s_mul_i32 s49, s47, s2
	s_mul_hi_u32 s37, s47, s37
	s_mul_hi_u32 s48, s47, s2
	s_add_u32 s37, s37, s49
	s_addc_u32 s48, 0, s48
	s_add_u32 s37, s37, s46
	s_mul_hi_u32 s3, s45, s2
	s_addc_u32 s37, s48, s44
	s_addc_u32 s3, s3, 0
	s_mul_i32 s2, s45, s2
	s_add_u32 s2, s37, s2
	s_addc_u32 s37, 0, s3
	s_add_u32 s44, s47, s2
	s_cselect_b64 s[2:3], -1, 0
	v_ashrrev_i32_e32 v3, 31, v7
	s_cmp_lg_u64 s[2:3], 0
	v_add_co_u32_e32 v8, vcc, v6, v3
	s_addc_u32 s37, s45, s37
	v_xor_b32_e32 v12, v8, v3
	v_mad_u64_u32 v[8:9], s[2:3], v12, s37, 0
	v_mul_hi_u32 v11, v12, s44
	v_addc_co_u32_e32 v10, vcc, v7, v3, vcc
	v_xor_b32_e32 v13, v10, v3
	v_add_co_u32_e32 v14, vcc, v11, v8
	v_addc_co_u32_e32 v15, vcc, 0, v9, vcc
	v_mad_u64_u32 v[8:9], s[2:3], v13, s44, 0
	v_mad_u64_u32 v[10:11], s[2:3], v13, s37, 0
	v_add_co_u32_e32 v8, vcc, v14, v8
	v_addc_co_u32_e32 v8, vcc, v15, v9, vcc
	v_addc_co_u32_e32 v9, vcc, 0, v11, vcc
	v_add_co_u32_e32 v10, vcc, v8, v10
	v_addc_co_u32_e32 v11, vcc, 0, v9, vcc
	v_mul_lo_u32 v14, s39, v10
	v_mul_lo_u32 v15, s38, v11
	v_mad_u64_u32 v[8:9], s[2:3], s38, v10, 0
	v_xor_b32_e32 v3, s36, v3
	v_add3_u32 v9, v9, v15, v14
	v_sub_u32_e32 v14, v13, v9
	v_mov_b32_e32 v15, s39
	v_sub_co_u32_e32 v8, vcc, v12, v8
	v_subb_co_u32_e64 v12, s[2:3], v14, v15, vcc
	v_subrev_co_u32_e64 v14, s[2:3], s38, v8
	v_subbrev_co_u32_e64 v12, s[2:3], 0, v12, s[2:3]
	v_cmp_le_u32_e64 s[2:3], s39, v12
	v_cndmask_b32_e64 v15, 0, -1, s[2:3]
	v_cmp_le_u32_e64 s[2:3], s38, v14
	v_cndmask_b32_e64 v14, 0, -1, s[2:3]
	v_cmp_eq_u32_e64 s[2:3], s39, v12
	v_cndmask_b32_e64 v12, v15, v14, s[2:3]
	v_add_co_u32_e64 v14, s[2:3], 2, v10
	v_subb_co_u32_e32 v9, vcc, v13, v9, vcc
	v_addc_co_u32_e64 v15, s[2:3], 0, v11, s[2:3]
	v_cmp_le_u32_e32 vcc, s39, v9
	v_add_co_u32_e64 v16, s[2:3], 1, v10
	v_cndmask_b32_e64 v13, 0, -1, vcc
	v_cmp_le_u32_e32 vcc, s38, v8
	v_addc_co_u32_e64 v17, s[2:3], 0, v11, s[2:3]
	v_cndmask_b32_e64 v8, 0, -1, vcc
	v_cmp_eq_u32_e32 vcc, s39, v9
	v_cmp_ne_u32_e64 s[2:3], 0, v12
	v_cndmask_b32_e32 v8, v13, v8, vcc
	v_cndmask_b32_e64 v12, v17, v15, s[2:3]
	v_cmp_ne_u32_e32 vcc, 0, v8
	v_cndmask_b32_e64 v9, v16, v14, s[2:3]
	v_cndmask_b32_e32 v8, v11, v12, vcc
	v_cndmask_b32_e32 v9, v10, v9, vcc
	v_xor_b32_e32 v10, v8, v3
	v_xor_b32_e32 v8, v9, v3
	v_sub_co_u32_e32 v8, vcc, v8, v3
	v_subb_co_u32_e32 v9, vcc, v10, v3, vcc
.LBB25_6:                               ;   in Loop: Header=BB25_4 Depth=2
	s_andn2_saveexec_b64 s[2:3], s[34:35]
	s_cbranch_execz .LBB25_8
; %bb.7:                                ;   in Loop: Header=BB25_4 Depth=2
	v_cvt_f32_u32_e32 v3, s30
	s_sub_i32 s34, 0, s30
	v_rcp_iflag_f32_e32 v3, v3
	v_mul_f32_e32 v3, 0x4f7ffffe, v3
	v_cvt_u32_f32_e32 v3, v3
	v_mul_lo_u32 v8, s34, v3
	v_mul_hi_u32 v8, v3, v8
	v_add_u32_e32 v3, v3, v8
	v_mul_hi_u32 v3, v6, v3
	v_mul_lo_u32 v8, v3, s30
	v_add_u32_e32 v9, 1, v3
	v_sub_u32_e32 v8, v6, v8
	v_subrev_u32_e32 v10, s30, v8
	v_cmp_le_u32_e32 vcc, s30, v8
	v_cndmask_b32_e32 v8, v8, v10, vcc
	v_cndmask_b32_e32 v3, v3, v9, vcc
	v_add_u32_e32 v9, 1, v3
	v_cmp_le_u32_e32 vcc, s30, v8
	v_cndmask_b32_e32 v8, v3, v9, vcc
	v_mov_b32_e32 v9, v2
.LBB25_8:                               ;   in Loop: Header=BB25_4 Depth=2
	s_or_b64 exec, exec, s[2:3]
	v_mul_lo_u32 v3, v9, s30
	v_mul_lo_u32 v12, v8, s31
	v_mad_u64_u32 v[10:11], s[2:3], v8, s30, 0
	s_load_dwordx2 s[2:3], s[28:29], 0xc8
	s_add_i32 s43, s43, -1
	v_add3_u32 v3, v11, v12, v3
	v_sub_co_u32_e32 v6, vcc, v6, v10
	v_subb_co_u32_e32 v3, vcc, v7, v3, vcc
	s_waitcnt lgkmcnt(0)
	v_mul_lo_u32 v3, s2, v3
	v_mul_lo_u32 v7, s3, v6
	v_mad_u64_u32 v[4:5], s[2:3], s2, v6, v[4:5]
	s_add_u32 s28, s28, -8
	s_addc_u32 s29, s29, -1
	s_cmp_gt_u32 s43, 2
	v_add3_u32 v5, v7, v5, v3
	s_cbranch_scc0 .LBB25_10
; %bb.9:                                ;   in Loop: Header=BB25_4 Depth=2
	v_mov_b32_e32 v6, v8
	v_mov_b32_e32 v7, v9
	s_branch .LBB25_4
.LBB25_10:                              ;   in Loop: Header=BB25_3 Depth=1
	s_waitcnt lgkmcnt(0)
	v_mul_lo_u32 v3, s23, v8
	v_mul_lo_u32 v9, s22, v9
	v_mad_u64_u32 v[6:7], s[2:3], s22, v8, 0
	v_add3_u32 v7, v7, v9, v3
	v_lshlrev_b64 v[6:7], 2, v[6:7]
	v_mov_b32_e32 v3, s25
	v_add_co_u32_e32 v6, vcc, s24, v6
	v_addc_co_u32_e32 v7, vcc, v3, v7, vcc
	v_lshlrev_b64 v[3:4], 2, v[4:5]
	v_add_co_u32_e32 v3, vcc, v6, v3
	v_addc_co_u32_e32 v4, vcc, v7, v4, vcc
	global_load_dword v3, v[3:4], off
	s_waitcnt vmcnt(0)
	v_ashrrev_i32_e32 v4, 31, v3
	v_cmp_le_i64_e32 vcc, s[10:11], v[3:4]
	v_cmp_ge_i64_e64 s[2:3], s[12:13], v[3:4]
	s_and_b64 s[2:3], vcc, s[2:3]
	s_and_saveexec_b64 s[28:29], s[2:3]
	s_cbranch_execz .LBB25_2
; %bb.11:                               ;   in Loop: Header=BB25_3 Depth=1
	v_mov_b32_e32 v5, s11
	v_subrev_co_u32_e32 v3, vcc, s10, v3
	v_subb_co_u32_e32 v4, vcc, v4, v5, vcc
	v_mul_lo_u32 v6, v4, s8
	v_mul_lo_u32 v7, v3, s9
	v_mad_u64_u32 v[4:5], s[2:3], v3, s8, 0
	v_add3_u32 v5, v5, v7, v6
	v_or_b32_e32 v3, s40, v5
	v_cmp_ne_u64_e32 vcc, 0, v[2:3]
                                        ; implicit-def: $vgpr6_vgpr7
	s_and_saveexec_b64 s[2:3], vcc
	s_xor_b64 s[30:31], exec, s[2:3]
	s_cbranch_execz .LBB25_13
; %bb.12:                               ;   in Loop: Header=BB25_3 Depth=1
	s_ashr_i32 s34, s40, 31
	s_add_u32 s2, s33, s34
	s_mov_b32 s35, s34
	s_addc_u32 s3, s40, s34
	s_xor_b64 s[36:37], s[2:3], s[34:35]
	v_cvt_f32_u32_e32 v3, s36
	v_cvt_f32_u32_e32 v6, s37
	s_sub_u32 s35, 0, s36
	s_subb_u32 s38, 0, s37
	v_ashrrev_i32_e32 v7, 31, v5
	v_mac_f32_e32 v3, 0x4f800000, v6
	v_rcp_f32_e32 v3, v3
	v_mul_f32_e32 v3, 0x5f7ffffc, v3
	v_mul_f32_e32 v6, 0x2f800000, v3
	v_trunc_f32_e32 v6, v6
	v_mac_f32_e32 v3, 0xcf800000, v6
	v_cvt_u32_f32_e32 v6, v6
	v_cvt_u32_f32_e32 v3, v3
	v_readfirstlane_b32 s39, v6
	v_readfirstlane_b32 s2, v3
	s_mul_i32 s3, s35, s39
	s_mul_hi_u32 s44, s35, s2
	s_mul_i32 s43, s38, s2
	s_add_i32 s3, s44, s3
	s_add_i32 s3, s3, s43
	s_mul_i32 s45, s35, s2
	s_mul_i32 s44, s2, s3
	s_mul_hi_u32 s46, s2, s45
	s_mul_hi_u32 s43, s2, s3
	s_add_u32 s44, s46, s44
	s_addc_u32 s43, 0, s43
	s_mul_hi_u32 s47, s39, s45
	s_mul_i32 s45, s39, s45
	s_add_u32 s44, s44, s45
	s_mul_hi_u32 s46, s39, s3
	s_addc_u32 s43, s43, s47
	s_addc_u32 s44, s46, 0
	s_mul_i32 s3, s39, s3
	s_add_u32 s3, s43, s3
	s_addc_u32 s43, 0, s44
	s_add_u32 s44, s2, s3
	s_cselect_b64 s[2:3], -1, 0
	s_cmp_lg_u64 s[2:3], 0
	s_addc_u32 s39, s39, s43
	s_mul_i32 s2, s35, s39
	s_mul_hi_u32 s3, s35, s44
	s_add_i32 s2, s3, s2
	s_mul_i32 s38, s38, s44
	s_add_i32 s2, s2, s38
	s_mul_i32 s35, s35, s44
	s_mul_hi_u32 s38, s39, s35
	s_mul_i32 s43, s39, s35
	s_mul_i32 s46, s44, s2
	s_mul_hi_u32 s35, s44, s35
	s_mul_hi_u32 s45, s44, s2
	s_add_u32 s35, s35, s46
	s_addc_u32 s45, 0, s45
	s_add_u32 s35, s35, s43
	s_mul_hi_u32 s3, s39, s2
	s_addc_u32 s35, s45, s38
	s_addc_u32 s3, s3, 0
	s_mul_i32 s2, s39, s2
	s_add_u32 s2, s35, s2
	s_addc_u32 s35, 0, s3
	s_add_u32 s38, s44, s2
	s_cselect_b64 s[2:3], -1, 0
	s_cmp_lg_u64 s[2:3], 0
	v_add_co_u32_e32 v3, vcc, v4, v7
	s_addc_u32 s35, s39, s35
	v_xor_b32_e32 v8, v3, v7
	v_mad_u64_u32 v[3:4], s[2:3], v8, s35, 0
	v_mul_hi_u32 v6, v8, s38
	v_addc_co_u32_e32 v5, vcc, v5, v7, vcc
	v_xor_b32_e32 v9, v5, v7
	v_add_co_u32_e32 v10, vcc, v6, v3
	v_addc_co_u32_e32 v11, vcc, 0, v4, vcc
	v_mad_u64_u32 v[3:4], s[2:3], v9, s38, 0
	v_mad_u64_u32 v[5:6], s[2:3], v9, s35, 0
	v_add_co_u32_e32 v3, vcc, v10, v3
	v_addc_co_u32_e32 v3, vcc, v11, v4, vcc
	v_addc_co_u32_e32 v4, vcc, 0, v6, vcc
	v_add_co_u32_e32 v5, vcc, v3, v5
	v_addc_co_u32_e32 v3, vcc, 0, v4, vcc
	v_mul_lo_u32 v6, s37, v5
	v_mul_lo_u32 v10, s36, v3
	v_mad_u64_u32 v[3:4], s[2:3], s36, v5, 0
	v_add3_u32 v4, v4, v10, v6
	v_sub_u32_e32 v6, v9, v4
	v_mov_b32_e32 v10, s37
	v_sub_co_u32_e32 v3, vcc, v8, v3
	v_subb_co_u32_e64 v6, s[2:3], v6, v10, vcc
	v_subrev_co_u32_e64 v8, s[2:3], s36, v3
	v_subbrev_co_u32_e64 v6, s[2:3], 0, v6, s[2:3]
	v_cmp_le_u32_e64 s[2:3], s37, v6
	v_subb_co_u32_e32 v4, vcc, v9, v4, vcc
	v_cndmask_b32_e64 v10, 0, -1, s[2:3]
	v_cmp_le_u32_e64 s[2:3], s36, v8
	v_cmp_le_u32_e32 vcc, s37, v4
	v_cndmask_b32_e64 v8, 0, -1, s[2:3]
	v_cmp_eq_u32_e64 s[2:3], s37, v6
	v_cndmask_b32_e64 v9, 0, -1, vcc
	v_cmp_le_u32_e32 vcc, s36, v3
	v_cndmask_b32_e64 v6, v10, v8, s[2:3]
	v_cndmask_b32_e64 v3, 0, -1, vcc
	v_cmp_eq_u32_e32 vcc, s37, v4
	v_add_co_u32_e64 v8, s[2:3], 2, v5
	v_add_co_u32_e64 v10, s[2:3], 1, v5
	v_cndmask_b32_e32 v3, v9, v3, vcc
	v_cmp_ne_u32_e32 vcc, 0, v6
	v_cndmask_b32_e32 v4, v10, v8, vcc
	v_cmp_ne_u32_e32 vcc, 0, v3
	v_cndmask_b32_e32 v3, v5, v4, vcc
	v_xor_b32_e32 v4, s34, v7
	v_xor_b32_e32 v3, v3, v4
	v_sub_co_u32_e32 v6, vcc, v3, v4
                                        ; implicit-def: $vgpr4_vgpr5
.LBB25_13:                              ;   in Loop: Header=BB25_3 Depth=1
	s_andn2_saveexec_b64 s[2:3], s[30:31]
	s_cbranch_execz .LBB25_15
; %bb.14:                               ;   in Loop: Header=BB25_3 Depth=1
	v_cvt_f32_u32_e32 v3, s33
	s_sub_i32 s30, 0, s33
	v_rcp_iflag_f32_e32 v3, v3
	v_mul_f32_e32 v3, 0x4f7ffffe, v3
	v_cvt_u32_f32_e32 v3, v3
	v_mul_lo_u32 v5, s30, v3
	v_mul_hi_u32 v5, v3, v5
	v_add_u32_e32 v3, v3, v5
	v_mul_hi_u32 v3, v4, v3
	v_mul_lo_u32 v5, v3, s33
	v_add_u32_e32 v6, 1, v3
	v_sub_u32_e32 v4, v4, v5
	v_subrev_u32_e32 v5, s33, v4
	v_cmp_le_u32_e32 vcc, s33, v4
	v_cndmask_b32_e32 v4, v4, v5, vcc
	v_cndmask_b32_e32 v3, v3, v6, vcc
	v_add_u32_e32 v5, 1, v3
	v_cmp_le_u32_e32 vcc, s33, v4
	v_cndmask_b32_e32 v6, v3, v5, vcc
.LBB25_15:                              ;   in Loop: Header=BB25_3 Depth=1
	s_or_b64 exec, exec, s[2:3]
	v_ashrrev_i32_e32 v7, 31, v6
	v_cmp_eq_u64_e32 vcc, s[8:9], v[6:7]
	v_mul_lo_u32 v8, v1, s6
	v_cndmask_b32_e64 v3, 0, 1, vcc
	v_sub_co_u32_e32 v3, vcc, v6, v3
	v_subbrev_co_u32_e32 v4, vcc, 0, v7, vcc
	v_mul_lo_u32 v5, v4, s20
	v_mul_lo_u32 v6, v3, s21
	v_mad_u64_u32 v[3:4], s[2:3], v3, s20, 0
	v_mul_lo_u32 v9, v0, s7
	v_mov_b32_e32 v7, s19
	v_add3_u32 v4, v4, v6, v5
	v_mad_u64_u32 v[5:6], s[2:3], v0, s6, 0
	v_lshlrev_b64 v[3:4], 2, v[3:4]
	s_mov_b64 s[2:3], 0
	v_add3_u32 v6, v6, v9, v8
	v_add_co_u32_e32 v3, vcc, s18, v3
	v_lshlrev_b64 v[5:6], 2, v[5:6]
	v_addc_co_u32_e32 v4, vcc, v7, v4, vcc
	v_mov_b32_e32 v7, s17
	v_add_co_u32_e32 v8, vcc, s16, v5
	v_addc_co_u32_e32 v9, vcc, v7, v6, vcc
	global_load_dword v7, v[8:9], off
	global_load_dword v6, v[3:4], off
.LBB25_16:                              ;   Parent Loop BB25_3 Depth=1
                                        ; =>  This Inner Loop Header: Depth=2
	s_waitcnt vmcnt(0)
	v_add_f32_e32 v5, v6, v7
	global_atomic_cmpswap v5, v[3:4], v[5:6], off glc
	s_waitcnt vmcnt(0)
	v_cmp_eq_u32_e32 vcc, v5, v6
	s_or_b64 s[2:3], vcc, s[2:3]
	v_mov_b32_e32 v6, v5
	s_andn2_b64 exec, exec, s[2:3]
	s_cbranch_execnz .LBB25_16
	s_branch .LBB25_2
.LBB25_17:
	s_endpgm
	.section	.rodata,"a",@progbits
	.p2align	6, 0x0
	.amdhsa_kernel _ZN2at4cuda17kernelHistogram1DIfilLi1ELi2ELin1ELNS0_23CUDAHistogramMemoryTypeE1EZNS0_21CUDA_tensor_histogramIfiLb1EEEbNS_6TensorES4_S4_lNS_14AccumulateTypeIT0_Lb1EE4typeES8_NS0_13TensorArgTypeES9_S9_EUllE_EEvNS0_6detail10TensorInfoIT_T1_EESF_NSC_IKS6_SE_EElS8_S8_SE_T6_
		.amdhsa_group_segment_fixed_size 0
		.amdhsa_private_segment_fixed_size 0
		.amdhsa_kernarg_size 1952
		.amdhsa_user_sgpr_count 6
		.amdhsa_user_sgpr_private_segment_buffer 1
		.amdhsa_user_sgpr_dispatch_ptr 0
		.amdhsa_user_sgpr_queue_ptr 0
		.amdhsa_user_sgpr_kernarg_segment_ptr 1
		.amdhsa_user_sgpr_dispatch_id 0
		.amdhsa_user_sgpr_flat_scratch_init 0
		.amdhsa_user_sgpr_private_segment_size 0
		.amdhsa_uses_dynamic_stack 0
		.amdhsa_system_sgpr_private_segment_wavefront_offset 0
		.amdhsa_system_sgpr_workgroup_id_x 1
		.amdhsa_system_sgpr_workgroup_id_y 0
		.amdhsa_system_sgpr_workgroup_id_z 0
		.amdhsa_system_sgpr_workgroup_info 0
		.amdhsa_system_vgpr_workitem_id 0
		.amdhsa_next_free_vgpr 18
		.amdhsa_next_free_sgpr 51
		.amdhsa_reserve_vcc 1
		.amdhsa_reserve_flat_scratch 0
		.amdhsa_float_round_mode_32 0
		.amdhsa_float_round_mode_16_64 0
		.amdhsa_float_denorm_mode_32 3
		.amdhsa_float_denorm_mode_16_64 3
		.amdhsa_dx10_clamp 1
		.amdhsa_ieee_mode 1
		.amdhsa_fp16_overflow 0
		.amdhsa_exception_fp_ieee_invalid_op 0
		.amdhsa_exception_fp_denorm_src 0
		.amdhsa_exception_fp_ieee_div_zero 0
		.amdhsa_exception_fp_ieee_overflow 0
		.amdhsa_exception_fp_ieee_underflow 0
		.amdhsa_exception_fp_ieee_inexact 0
		.amdhsa_exception_int_div_zero 0
	.end_amdhsa_kernel
	.section	.text._ZN2at4cuda17kernelHistogram1DIfilLi1ELi2ELin1ELNS0_23CUDAHistogramMemoryTypeE1EZNS0_21CUDA_tensor_histogramIfiLb1EEEbNS_6TensorES4_S4_lNS_14AccumulateTypeIT0_Lb1EE4typeES8_NS0_13TensorArgTypeES9_S9_EUllE_EEvNS0_6detail10TensorInfoIT_T1_EESF_NSC_IKS6_SE_EElS8_S8_SE_T6_,"axG",@progbits,_ZN2at4cuda17kernelHistogram1DIfilLi1ELi2ELin1ELNS0_23CUDAHistogramMemoryTypeE1EZNS0_21CUDA_tensor_histogramIfiLb1EEEbNS_6TensorES4_S4_lNS_14AccumulateTypeIT0_Lb1EE4typeES8_NS0_13TensorArgTypeES9_S9_EUllE_EEvNS0_6detail10TensorInfoIT_T1_EESF_NSC_IKS6_SE_EElS8_S8_SE_T6_,comdat
.Lfunc_end25:
	.size	_ZN2at4cuda17kernelHistogram1DIfilLi1ELi2ELin1ELNS0_23CUDAHistogramMemoryTypeE1EZNS0_21CUDA_tensor_histogramIfiLb1EEEbNS_6TensorES4_S4_lNS_14AccumulateTypeIT0_Lb1EE4typeES8_NS0_13TensorArgTypeES9_S9_EUllE_EEvNS0_6detail10TensorInfoIT_T1_EESF_NSC_IKS6_SE_EElS8_S8_SE_T6_, .Lfunc_end25-_ZN2at4cuda17kernelHistogram1DIfilLi1ELi2ELin1ELNS0_23CUDAHistogramMemoryTypeE1EZNS0_21CUDA_tensor_histogramIfiLb1EEEbNS_6TensorES4_S4_lNS_14AccumulateTypeIT0_Lb1EE4typeES8_NS0_13TensorArgTypeES9_S9_EUllE_EEvNS0_6detail10TensorInfoIT_T1_EESF_NSC_IKS6_SE_EElS8_S8_SE_T6_
                                        ; -- End function
	.set _ZN2at4cuda17kernelHistogram1DIfilLi1ELi2ELin1ELNS0_23CUDAHistogramMemoryTypeE1EZNS0_21CUDA_tensor_histogramIfiLb1EEEbNS_6TensorES4_S4_lNS_14AccumulateTypeIT0_Lb1EE4typeES8_NS0_13TensorArgTypeES9_S9_EUllE_EEvNS0_6detail10TensorInfoIT_T1_EESF_NSC_IKS6_SE_EElS8_S8_SE_T6_.num_vgpr, 18
	.set _ZN2at4cuda17kernelHistogram1DIfilLi1ELi2ELin1ELNS0_23CUDAHistogramMemoryTypeE1EZNS0_21CUDA_tensor_histogramIfiLb1EEEbNS_6TensorES4_S4_lNS_14AccumulateTypeIT0_Lb1EE4typeES8_NS0_13TensorArgTypeES9_S9_EUllE_EEvNS0_6detail10TensorInfoIT_T1_EESF_NSC_IKS6_SE_EElS8_S8_SE_T6_.num_agpr, 0
	.set _ZN2at4cuda17kernelHistogram1DIfilLi1ELi2ELin1ELNS0_23CUDAHistogramMemoryTypeE1EZNS0_21CUDA_tensor_histogramIfiLb1EEEbNS_6TensorES4_S4_lNS_14AccumulateTypeIT0_Lb1EE4typeES8_NS0_13TensorArgTypeES9_S9_EUllE_EEvNS0_6detail10TensorInfoIT_T1_EESF_NSC_IKS6_SE_EElS8_S8_SE_T6_.numbered_sgpr, 51
	.set _ZN2at4cuda17kernelHistogram1DIfilLi1ELi2ELin1ELNS0_23CUDAHistogramMemoryTypeE1EZNS0_21CUDA_tensor_histogramIfiLb1EEEbNS_6TensorES4_S4_lNS_14AccumulateTypeIT0_Lb1EE4typeES8_NS0_13TensorArgTypeES9_S9_EUllE_EEvNS0_6detail10TensorInfoIT_T1_EESF_NSC_IKS6_SE_EElS8_S8_SE_T6_.num_named_barrier, 0
	.set _ZN2at4cuda17kernelHistogram1DIfilLi1ELi2ELin1ELNS0_23CUDAHistogramMemoryTypeE1EZNS0_21CUDA_tensor_histogramIfiLb1EEEbNS_6TensorES4_S4_lNS_14AccumulateTypeIT0_Lb1EE4typeES8_NS0_13TensorArgTypeES9_S9_EUllE_EEvNS0_6detail10TensorInfoIT_T1_EESF_NSC_IKS6_SE_EElS8_S8_SE_T6_.private_seg_size, 0
	.set _ZN2at4cuda17kernelHistogram1DIfilLi1ELi2ELin1ELNS0_23CUDAHistogramMemoryTypeE1EZNS0_21CUDA_tensor_histogramIfiLb1EEEbNS_6TensorES4_S4_lNS_14AccumulateTypeIT0_Lb1EE4typeES8_NS0_13TensorArgTypeES9_S9_EUllE_EEvNS0_6detail10TensorInfoIT_T1_EESF_NSC_IKS6_SE_EElS8_S8_SE_T6_.uses_vcc, 1
	.set _ZN2at4cuda17kernelHistogram1DIfilLi1ELi2ELin1ELNS0_23CUDAHistogramMemoryTypeE1EZNS0_21CUDA_tensor_histogramIfiLb1EEEbNS_6TensorES4_S4_lNS_14AccumulateTypeIT0_Lb1EE4typeES8_NS0_13TensorArgTypeES9_S9_EUllE_EEvNS0_6detail10TensorInfoIT_T1_EESF_NSC_IKS6_SE_EElS8_S8_SE_T6_.uses_flat_scratch, 0
	.set _ZN2at4cuda17kernelHistogram1DIfilLi1ELi2ELin1ELNS0_23CUDAHistogramMemoryTypeE1EZNS0_21CUDA_tensor_histogramIfiLb1EEEbNS_6TensorES4_S4_lNS_14AccumulateTypeIT0_Lb1EE4typeES8_NS0_13TensorArgTypeES9_S9_EUllE_EEvNS0_6detail10TensorInfoIT_T1_EESF_NSC_IKS6_SE_EElS8_S8_SE_T6_.has_dyn_sized_stack, 0
	.set _ZN2at4cuda17kernelHistogram1DIfilLi1ELi2ELin1ELNS0_23CUDAHistogramMemoryTypeE1EZNS0_21CUDA_tensor_histogramIfiLb1EEEbNS_6TensorES4_S4_lNS_14AccumulateTypeIT0_Lb1EE4typeES8_NS0_13TensorArgTypeES9_S9_EUllE_EEvNS0_6detail10TensorInfoIT_T1_EESF_NSC_IKS6_SE_EElS8_S8_SE_T6_.has_recursion, 0
	.set _ZN2at4cuda17kernelHistogram1DIfilLi1ELi2ELin1ELNS0_23CUDAHistogramMemoryTypeE1EZNS0_21CUDA_tensor_histogramIfiLb1EEEbNS_6TensorES4_S4_lNS_14AccumulateTypeIT0_Lb1EE4typeES8_NS0_13TensorArgTypeES9_S9_EUllE_EEvNS0_6detail10TensorInfoIT_T1_EESF_NSC_IKS6_SE_EElS8_S8_SE_T6_.has_indirect_call, 0
	.section	.AMDGPU.csdata,"",@progbits
; Kernel info:
; codeLenInByte = 2196
; TotalNumSgprs: 55
; NumVgprs: 18
; ScratchSize: 0
; MemoryBound: 0
; FloatMode: 240
; IeeeMode: 1
; LDSByteSize: 0 bytes/workgroup (compile time only)
; SGPRBlocks: 6
; VGPRBlocks: 4
; NumSGPRsForWavesPerEU: 55
; NumVGPRsForWavesPerEU: 18
; Occupancy: 10
; WaveLimiterHint : 1
; COMPUTE_PGM_RSRC2:SCRATCH_EN: 0
; COMPUTE_PGM_RSRC2:USER_SGPR: 6
; COMPUTE_PGM_RSRC2:TRAP_HANDLER: 0
; COMPUTE_PGM_RSRC2:TGID_X_EN: 1
; COMPUTE_PGM_RSRC2:TGID_Y_EN: 0
; COMPUTE_PGM_RSRC2:TGID_Z_EN: 0
; COMPUTE_PGM_RSRC2:TIDIG_COMP_CNT: 0
	.section	.text._ZN2at4cuda17kernelHistogram1DIfilLi1ELi2ELin1ELNS0_23CUDAHistogramMemoryTypeE0EZNS0_21CUDA_tensor_histogramIfiLb1EEEbNS_6TensorES4_S4_lNS_14AccumulateTypeIT0_Lb1EE4typeES8_NS0_13TensorArgTypeES9_S9_EUllE0_EEvNS0_6detail10TensorInfoIT_T1_EESF_NSC_IKS6_SE_EElS8_S8_SE_T6_,"axG",@progbits,_ZN2at4cuda17kernelHistogram1DIfilLi1ELi2ELin1ELNS0_23CUDAHistogramMemoryTypeE0EZNS0_21CUDA_tensor_histogramIfiLb1EEEbNS_6TensorES4_S4_lNS_14AccumulateTypeIT0_Lb1EE4typeES8_NS0_13TensorArgTypeES9_S9_EUllE0_EEvNS0_6detail10TensorInfoIT_T1_EESF_NSC_IKS6_SE_EElS8_S8_SE_T6_,comdat
	.protected	_ZN2at4cuda17kernelHistogram1DIfilLi1ELi2ELin1ELNS0_23CUDAHistogramMemoryTypeE0EZNS0_21CUDA_tensor_histogramIfiLb1EEEbNS_6TensorES4_S4_lNS_14AccumulateTypeIT0_Lb1EE4typeES8_NS0_13TensorArgTypeES9_S9_EUllE0_EEvNS0_6detail10TensorInfoIT_T1_EESF_NSC_IKS6_SE_EElS8_S8_SE_T6_ ; -- Begin function _ZN2at4cuda17kernelHistogram1DIfilLi1ELi2ELin1ELNS0_23CUDAHistogramMemoryTypeE0EZNS0_21CUDA_tensor_histogramIfiLb1EEEbNS_6TensorES4_S4_lNS_14AccumulateTypeIT0_Lb1EE4typeES8_NS0_13TensorArgTypeES9_S9_EUllE0_EEvNS0_6detail10TensorInfoIT_T1_EESF_NSC_IKS6_SE_EElS8_S8_SE_T6_
	.globl	_ZN2at4cuda17kernelHistogram1DIfilLi1ELi2ELin1ELNS0_23CUDAHistogramMemoryTypeE0EZNS0_21CUDA_tensor_histogramIfiLb1EEEbNS_6TensorES4_S4_lNS_14AccumulateTypeIT0_Lb1EE4typeES8_NS0_13TensorArgTypeES9_S9_EUllE0_EEvNS0_6detail10TensorInfoIT_T1_EESF_NSC_IKS6_SE_EElS8_S8_SE_T6_
	.p2align	8
	.type	_ZN2at4cuda17kernelHistogram1DIfilLi1ELi2ELin1ELNS0_23CUDAHistogramMemoryTypeE0EZNS0_21CUDA_tensor_histogramIfiLb1EEEbNS_6TensorES4_S4_lNS_14AccumulateTypeIT0_Lb1EE4typeES8_NS0_13TensorArgTypeES9_S9_EUllE0_EEvNS0_6detail10TensorInfoIT_T1_EESF_NSC_IKS6_SE_EElS8_S8_SE_T6_,@function
_ZN2at4cuda17kernelHistogram1DIfilLi1ELi2ELin1ELNS0_23CUDAHistogramMemoryTypeE0EZNS0_21CUDA_tensor_histogramIfiLb1EEEbNS_6TensorES4_S4_lNS_14AccumulateTypeIT0_Lb1EE4typeES8_NS0_13TensorArgTypeES9_S9_EUllE0_EEvNS0_6detail10TensorInfoIT_T1_EESF_NSC_IKS6_SE_EElS8_S8_SE_T6_: ; @_ZN2at4cuda17kernelHistogram1DIfilLi1ELi2ELin1ELNS0_23CUDAHistogramMemoryTypeE0EZNS0_21CUDA_tensor_histogramIfiLb1EEEbNS_6TensorES4_S4_lNS_14AccumulateTypeIT0_Lb1EE4typeES8_NS0_13TensorArgTypeES9_S9_EUllE0_EEvNS0_6detail10TensorInfoIT_T1_EESF_NSC_IKS6_SE_EElS8_S8_SE_T6_
; %bb.0:
	s_load_dwordx4 s[16:19], s[4:5], 0x0
	v_mov_b32_e32 v1, 0
	s_add_u32 s2, s4, 0x508
	s_addc_u32 s3, s5, 0
                                        ; implicit-def: $sgpr10
                                        ; implicit-def: $sgpr7
	s_waitcnt lgkmcnt(0)
	v_cmp_gt_i64_e64 s[0:1], s[18:19], v[0:1]
	v_cmp_le_i64_e32 vcc, s[18:19], v[0:1]
	s_and_saveexec_b64 s[8:9], vcc
	s_xor_b64 s[8:9], exec, s[8:9]
	s_cbranch_execz .LBB26_2
; %bb.1:
	s_load_dword s10, s[2:3], 0xc
	s_waitcnt lgkmcnt(0)
	s_and_b32 s7, s10, 0xffff
.LBB26_2:
	s_or_saveexec_b64 s[8:9], s[8:9]
	s_load_dwordx2 s[20:21], s[4:5], 0xd0
	v_mov_b32_e32 v12, s10
	v_mov_b32_e32 v5, s7
	s_xor_b64 exec, exec, s[8:9]
	s_cbranch_execz .LBB26_6
; %bb.3:
	s_load_dword s7, s[2:3], 0xc
	v_mov_b32_e32 v3, v1
	v_lshl_add_u32 v4, v0, 2, 0
	s_mov_b64 s[10:11], 0
	v_mov_b32_e32 v5, 0
	s_waitcnt lgkmcnt(0)
	s_and_b32 s12, s7, 0xffff
	s_lshl_b32 s13, s12, 2
	v_mov_b32_e32 v2, v0
.LBB26_4:                               ; =>This Inner Loop Header: Depth=1
	v_add_co_u32_e32 v2, vcc, s12, v2
	v_addc_co_u32_e32 v3, vcc, 0, v3, vcc
	v_cmp_le_i64_e32 vcc, s[18:19], v[2:3]
	ds_write_b32 v4, v5
	s_or_b64 s[10:11], vcc, s[10:11]
	v_add_u32_e32 v4, s13, v4
	s_andn2_b64 exec, exec, s[10:11]
	s_cbranch_execnz .LBB26_4
; %bb.5:
	s_or_b64 exec, exec, s[10:11]
	v_mov_b32_e32 v12, s7
	v_mov_b32_e32 v5, s12
.LBB26_6:
	s_or_b64 exec, exec, s[8:9]
	s_load_dwordx8 s[8:15], s[4:5], 0x4e0
	v_mad_u64_u32 v[2:3], s[6:7], s6, v5, v[0:1]
	v_mov_b32_e32 v4, 0
	v_mov_b32_e32 v3, v4
	s_waitcnt lgkmcnt(0)
	v_cmp_gt_i64_e32 vcc, s[14:15], v[2:3]
	s_barrier
	s_and_saveexec_b64 s[6:7], vcc
	s_cbranch_execz .LBB26_22
; %bb.7:
	s_load_dword s26, s[4:5], 0x4d8
	s_load_dwordx2 s[24:25], s[4:5], 0x340
	s_add_u32 s27, s4, 0x340
	s_addc_u32 s29, s5, 0
	s_load_dword s28, s[2:3], 0x0
	s_load_dwordx2 s[22:23], s[4:5], 0x410
	s_waitcnt lgkmcnt(0)
	s_cmp_gt_i32 s26, 1
	s_cselect_b64 s[2:3], -1, 0
	s_sub_u32 s33, s12, s10
	s_subb_u32 s42, s13, s11
	s_mov_b32 s5, 0
	s_add_i32 s4, s26, -1
	s_add_i32 s43, s26, 1
	s_lshl_b64 s[4:5], s[4:5], 3
	v_mul_lo_u32 v13, s28, v5
	s_add_u32 s4, s27, s4
	s_addc_u32 s5, s29, s5
	s_add_u32 s26, s4, 8
	v_cndmask_b32_e64 v5, 0, 1, s[2:3]
	s_addc_u32 s27, s5, 0
	s_mov_b64 s[28:29], 0
	v_mov_b32_e32 v14, 1.0
	v_cmp_ne_u32_e64 s[2:3], 1, v5
	s_branch .LBB26_10
.LBB26_8:                               ;   in Loop: Header=BB26_10 Depth=1
	s_or_b64 exec, exec, s[4:5]
	v_ashrrev_i32_e32 v9, 31, v8
	v_cmp_eq_u64_e32 vcc, s[8:9], v[8:9]
	v_subbrev_co_u32_e32 v5, vcc, 0, v8, vcc
	v_lshl_add_u32 v5, v5, 2, 0
	ds_add_f32 v5, v14
.LBB26_9:                               ;   in Loop: Header=BB26_10 Depth=1
	s_or_b64 exec, exec, s[30:31]
	v_add_co_u32_e32 v2, vcc, v2, v13
	v_addc_co_u32_e32 v3, vcc, 0, v3, vcc
	v_cmp_le_i64_e32 vcc, s[14:15], v[2:3]
	s_or_b64 s[28:29], vcc, s[28:29]
	s_andn2_b64 exec, exec, s[28:29]
	s_cbranch_execz .LBB26_22
.LBB26_10:                              ; =>This Loop Header: Depth=1
                                        ;     Child Loop BB26_11 Depth 2
	v_mov_b32_e32 v6, 0
	v_mov_b32_e32 v9, v3
	v_mov_b32_e32 v11, v3
	v_mov_b32_e32 v7, 0
	s_and_b64 vcc, exec, s[2:3]
	s_mov_b64 s[30:31], s[26:27]
	s_mov_b32 s44, s43
	v_mov_b32_e32 v8, v2
	v_mov_b32_e32 v10, v2
	s_cbranch_vccnz .LBB26_17
.LBB26_11:                              ;   Parent Loop BB26_10 Depth=1
                                        ; =>  This Inner Loop Header: Depth=2
	s_load_dwordx2 s[34:35], s[30:31], 0x0
                                        ; implicit-def: $vgpr10_vgpr11
	s_waitcnt lgkmcnt(0)
	v_or_b32_e32 v5, s35, v9
	v_cmp_ne_u64_e32 vcc, 0, v[4:5]
	s_and_saveexec_b64 s[4:5], vcc
	s_xor_b64 s[36:37], exec, s[4:5]
	s_cbranch_execz .LBB26_13
; %bb.12:                               ;   in Loop: Header=BB26_11 Depth=2
	s_ashr_i32 s38, s35, 31
	s_add_u32 s4, s34, s38
	s_mov_b32 s39, s38
	s_addc_u32 s5, s35, s38
	s_xor_b64 s[40:41], s[4:5], s[38:39]
	v_cvt_f32_u32_e32 v5, s40
	v_cvt_f32_u32_e32 v10, s41
	s_sub_u32 s39, 0, s40
	s_subb_u32 s45, 0, s41
	v_mac_f32_e32 v5, 0x4f800000, v10
	v_rcp_f32_e32 v5, v5
	v_mul_f32_e32 v5, 0x5f7ffffc, v5
	v_mul_f32_e32 v10, 0x2f800000, v5
	v_trunc_f32_e32 v10, v10
	v_mac_f32_e32 v5, 0xcf800000, v10
	v_cvt_u32_f32_e32 v10, v10
	v_cvt_u32_f32_e32 v5, v5
	v_readfirstlane_b32 s46, v10
	v_readfirstlane_b32 s4, v5
	s_mul_i32 s5, s39, s46
	s_mul_hi_u32 s48, s39, s4
	s_mul_i32 s47, s45, s4
	s_add_i32 s5, s48, s5
	s_add_i32 s5, s5, s47
	s_mul_i32 s49, s39, s4
	s_mul_i32 s48, s4, s5
	s_mul_hi_u32 s50, s4, s49
	s_mul_hi_u32 s47, s4, s5
	s_add_u32 s48, s50, s48
	s_addc_u32 s47, 0, s47
	s_mul_hi_u32 s51, s46, s49
	s_mul_i32 s49, s46, s49
	s_add_u32 s48, s48, s49
	s_mul_hi_u32 s50, s46, s5
	s_addc_u32 s47, s47, s51
	s_addc_u32 s48, s50, 0
	s_mul_i32 s5, s46, s5
	s_add_u32 s5, s47, s5
	s_addc_u32 s47, 0, s48
	s_add_u32 s48, s4, s5
	s_cselect_b64 s[4:5], -1, 0
	s_cmp_lg_u64 s[4:5], 0
	s_addc_u32 s46, s46, s47
	s_mul_i32 s4, s39, s46
	s_mul_hi_u32 s5, s39, s48
	s_add_i32 s4, s5, s4
	s_mul_i32 s45, s45, s48
	s_add_i32 s4, s4, s45
	s_mul_i32 s39, s39, s48
	s_mul_hi_u32 s45, s46, s39
	s_mul_i32 s47, s46, s39
	s_mul_i32 s50, s48, s4
	s_mul_hi_u32 s39, s48, s39
	s_mul_hi_u32 s49, s48, s4
	s_add_u32 s39, s39, s50
	s_addc_u32 s49, 0, s49
	s_add_u32 s39, s39, s47
	s_mul_hi_u32 s5, s46, s4
	s_addc_u32 s39, s49, s45
	s_addc_u32 s5, s5, 0
	s_mul_i32 s4, s46, s4
	s_add_u32 s4, s39, s4
	s_addc_u32 s39, 0, s5
	s_add_u32 s45, s48, s4
	s_cselect_b64 s[4:5], -1, 0
	v_ashrrev_i32_e32 v5, 31, v9
	s_cmp_lg_u64 s[4:5], 0
	v_add_co_u32_e32 v10, vcc, v8, v5
	s_addc_u32 s39, s46, s39
	v_xor_b32_e32 v17, v10, v5
	v_mad_u64_u32 v[10:11], s[4:5], v17, s39, 0
	v_mul_hi_u32 v16, v17, s45
	v_addc_co_u32_e32 v15, vcc, v9, v5, vcc
	v_xor_b32_e32 v18, v15, v5
	v_add_co_u32_e32 v19, vcc, v16, v10
	v_addc_co_u32_e32 v20, vcc, 0, v11, vcc
	v_mad_u64_u32 v[10:11], s[4:5], v18, s45, 0
	v_mad_u64_u32 v[15:16], s[4:5], v18, s39, 0
	v_add_co_u32_e32 v10, vcc, v19, v10
	v_addc_co_u32_e32 v10, vcc, v20, v11, vcc
	v_addc_co_u32_e32 v11, vcc, 0, v16, vcc
	v_add_co_u32_e32 v15, vcc, v10, v15
	v_addc_co_u32_e32 v16, vcc, 0, v11, vcc
	v_mul_lo_u32 v19, s41, v15
	v_mul_lo_u32 v20, s40, v16
	v_mad_u64_u32 v[10:11], s[4:5], s40, v15, 0
	v_xor_b32_e32 v5, s38, v5
	v_add3_u32 v11, v11, v20, v19
	v_sub_u32_e32 v19, v18, v11
	v_mov_b32_e32 v20, s41
	v_sub_co_u32_e32 v10, vcc, v17, v10
	v_subb_co_u32_e64 v17, s[4:5], v19, v20, vcc
	v_subrev_co_u32_e64 v19, s[4:5], s40, v10
	v_subbrev_co_u32_e64 v17, s[4:5], 0, v17, s[4:5]
	v_cmp_le_u32_e64 s[4:5], s41, v17
	v_cndmask_b32_e64 v20, 0, -1, s[4:5]
	v_cmp_le_u32_e64 s[4:5], s40, v19
	v_cndmask_b32_e64 v19, 0, -1, s[4:5]
	v_cmp_eq_u32_e64 s[4:5], s41, v17
	v_cndmask_b32_e64 v17, v20, v19, s[4:5]
	v_add_co_u32_e64 v19, s[4:5], 2, v15
	v_subb_co_u32_e32 v11, vcc, v18, v11, vcc
	v_addc_co_u32_e64 v20, s[4:5], 0, v16, s[4:5]
	v_cmp_le_u32_e32 vcc, s41, v11
	v_add_co_u32_e64 v21, s[4:5], 1, v15
	v_cndmask_b32_e64 v18, 0, -1, vcc
	v_cmp_le_u32_e32 vcc, s40, v10
	v_addc_co_u32_e64 v22, s[4:5], 0, v16, s[4:5]
	v_cndmask_b32_e64 v10, 0, -1, vcc
	v_cmp_eq_u32_e32 vcc, s41, v11
	v_cmp_ne_u32_e64 s[4:5], 0, v17
	v_cndmask_b32_e32 v10, v18, v10, vcc
	v_cndmask_b32_e64 v17, v22, v20, s[4:5]
	v_cmp_ne_u32_e32 vcc, 0, v10
	v_cndmask_b32_e64 v11, v21, v19, s[4:5]
	v_cndmask_b32_e32 v10, v16, v17, vcc
	v_cndmask_b32_e32 v11, v15, v11, vcc
	v_xor_b32_e32 v15, v10, v5
	v_xor_b32_e32 v10, v11, v5
	v_sub_co_u32_e32 v10, vcc, v10, v5
	v_subb_co_u32_e32 v11, vcc, v15, v5, vcc
.LBB26_13:                              ;   in Loop: Header=BB26_11 Depth=2
	s_andn2_saveexec_b64 s[4:5], s[36:37]
	s_cbranch_execz .LBB26_15
; %bb.14:                               ;   in Loop: Header=BB26_11 Depth=2
	v_cvt_f32_u32_e32 v5, s34
	s_sub_i32 s36, 0, s34
	v_rcp_iflag_f32_e32 v5, v5
	v_mul_f32_e32 v5, 0x4f7ffffe, v5
	v_cvt_u32_f32_e32 v5, v5
	v_mul_lo_u32 v10, s36, v5
	v_mul_hi_u32 v10, v5, v10
	v_add_u32_e32 v5, v5, v10
	v_mul_hi_u32 v5, v8, v5
	v_mul_lo_u32 v10, v5, s34
	v_add_u32_e32 v11, 1, v5
	v_sub_u32_e32 v10, v8, v10
	v_subrev_u32_e32 v15, s34, v10
	v_cmp_le_u32_e32 vcc, s34, v10
	v_cndmask_b32_e32 v10, v10, v15, vcc
	v_cndmask_b32_e32 v5, v5, v11, vcc
	v_add_u32_e32 v11, 1, v5
	v_cmp_le_u32_e32 vcc, s34, v10
	v_cndmask_b32_e32 v10, v5, v11, vcc
	v_mov_b32_e32 v11, v4
.LBB26_15:                              ;   in Loop: Header=BB26_11 Depth=2
	s_or_b64 exec, exec, s[4:5]
	v_mul_lo_u32 v5, v11, s34
	v_mul_lo_u32 v17, v10, s35
	v_mad_u64_u32 v[15:16], s[4:5], v10, s34, 0
	s_load_dwordx2 s[4:5], s[30:31], 0xc8
	s_add_i32 s44, s44, -1
	v_add3_u32 v5, v16, v17, v5
	v_sub_co_u32_e32 v8, vcc, v8, v15
	v_subb_co_u32_e32 v5, vcc, v9, v5, vcc
	s_waitcnt lgkmcnt(0)
	v_mul_lo_u32 v5, s4, v5
	v_mul_lo_u32 v9, s5, v8
	v_mad_u64_u32 v[6:7], s[4:5], s4, v8, v[6:7]
	s_add_u32 s30, s30, -8
	s_addc_u32 s31, s31, -1
	s_cmp_gt_u32 s44, 2
	v_add3_u32 v7, v9, v7, v5
	s_cbranch_scc0 .LBB26_17
; %bb.16:                               ;   in Loop: Header=BB26_11 Depth=2
	v_mov_b32_e32 v8, v10
	v_mov_b32_e32 v9, v11
	s_branch .LBB26_11
.LBB26_17:                              ;   in Loop: Header=BB26_10 Depth=1
	v_mul_lo_u32 v5, s23, v10
	v_mul_lo_u32 v11, s22, v11
	v_mad_u64_u32 v[8:9], s[4:5], s22, v10, 0
	v_add3_u32 v9, v9, v11, v5
	v_lshlrev_b64 v[8:9], 2, v[8:9]
	v_mov_b32_e32 v5, s25
	v_add_co_u32_e32 v8, vcc, s24, v8
	v_addc_co_u32_e32 v9, vcc, v5, v9, vcc
	v_lshlrev_b64 v[5:6], 2, v[6:7]
	v_add_co_u32_e32 v5, vcc, v8, v5
	v_addc_co_u32_e32 v6, vcc, v9, v6, vcc
	global_load_dword v5, v[5:6], off
	s_waitcnt vmcnt(0)
	v_ashrrev_i32_e32 v6, 31, v5
	v_cmp_le_i64_e32 vcc, s[10:11], v[5:6]
	v_cmp_ge_i64_e64 s[4:5], s[12:13], v[5:6]
	s_and_b64 s[4:5], vcc, s[4:5]
	s_and_saveexec_b64 s[30:31], s[4:5]
	s_cbranch_execz .LBB26_9
; %bb.18:                               ;   in Loop: Header=BB26_10 Depth=1
	v_mov_b32_e32 v7, s11
	v_subrev_co_u32_e32 v5, vcc, s10, v5
	v_subb_co_u32_e32 v6, vcc, v6, v7, vcc
	v_mul_lo_u32 v8, v6, s8
	v_mul_lo_u32 v9, v5, s9
	v_mad_u64_u32 v[6:7], s[4:5], v5, s8, 0
	v_add3_u32 v7, v7, v9, v8
	v_or_b32_e32 v5, s42, v7
	v_cmp_ne_u64_e32 vcc, 0, v[4:5]
                                        ; implicit-def: $vgpr8_vgpr9
	s_and_saveexec_b64 s[4:5], vcc
	s_xor_b64 s[34:35], exec, s[4:5]
	s_cbranch_execz .LBB26_20
; %bb.19:                               ;   in Loop: Header=BB26_10 Depth=1
	s_ashr_i32 s36, s42, 31
	s_add_u32 s4, s33, s36
	s_mov_b32 s37, s36
	s_addc_u32 s5, s42, s36
	s_xor_b64 s[38:39], s[4:5], s[36:37]
	v_cvt_f32_u32_e32 v5, s38
	v_cvt_f32_u32_e32 v8, s39
	s_sub_u32 s37, 0, s38
	s_subb_u32 s40, 0, s39
	v_ashrrev_i32_e32 v9, 31, v7
	v_mac_f32_e32 v5, 0x4f800000, v8
	v_rcp_f32_e32 v5, v5
	v_mul_f32_e32 v5, 0x5f7ffffc, v5
	v_mul_f32_e32 v8, 0x2f800000, v5
	v_trunc_f32_e32 v8, v8
	v_mac_f32_e32 v5, 0xcf800000, v8
	v_cvt_u32_f32_e32 v8, v8
	v_cvt_u32_f32_e32 v5, v5
	v_readfirstlane_b32 s41, v8
	v_readfirstlane_b32 s4, v5
	s_mul_i32 s5, s37, s41
	s_mul_hi_u32 s45, s37, s4
	s_mul_i32 s44, s40, s4
	s_add_i32 s5, s45, s5
	s_add_i32 s5, s5, s44
	s_mul_i32 s46, s37, s4
	s_mul_i32 s45, s4, s5
	s_mul_hi_u32 s47, s4, s46
	s_mul_hi_u32 s44, s4, s5
	s_add_u32 s45, s47, s45
	s_addc_u32 s44, 0, s44
	s_mul_hi_u32 s48, s41, s46
	s_mul_i32 s46, s41, s46
	s_add_u32 s45, s45, s46
	s_mul_hi_u32 s47, s41, s5
	s_addc_u32 s44, s44, s48
	s_addc_u32 s45, s47, 0
	s_mul_i32 s5, s41, s5
	s_add_u32 s5, s44, s5
	s_addc_u32 s44, 0, s45
	s_add_u32 s45, s4, s5
	s_cselect_b64 s[4:5], -1, 0
	s_cmp_lg_u64 s[4:5], 0
	s_addc_u32 s41, s41, s44
	s_mul_i32 s4, s37, s41
	s_mul_hi_u32 s5, s37, s45
	s_add_i32 s4, s5, s4
	s_mul_i32 s40, s40, s45
	s_add_i32 s4, s4, s40
	s_mul_i32 s37, s37, s45
	s_mul_hi_u32 s40, s41, s37
	s_mul_i32 s44, s41, s37
	s_mul_i32 s47, s45, s4
	s_mul_hi_u32 s37, s45, s37
	s_mul_hi_u32 s46, s45, s4
	s_add_u32 s37, s37, s47
	s_addc_u32 s46, 0, s46
	s_add_u32 s37, s37, s44
	s_mul_hi_u32 s5, s41, s4
	s_addc_u32 s37, s46, s40
	s_addc_u32 s5, s5, 0
	s_mul_i32 s4, s41, s4
	s_add_u32 s4, s37, s4
	s_addc_u32 s37, 0, s5
	s_add_u32 s40, s45, s4
	s_cselect_b64 s[4:5], -1, 0
	s_cmp_lg_u64 s[4:5], 0
	v_add_co_u32_e32 v5, vcc, v6, v9
	s_addc_u32 s37, s41, s37
	v_xor_b32_e32 v10, v5, v9
	v_mad_u64_u32 v[5:6], s[4:5], v10, s37, 0
	v_mul_hi_u32 v8, v10, s40
	v_addc_co_u32_e32 v7, vcc, v7, v9, vcc
	v_xor_b32_e32 v11, v7, v9
	v_add_co_u32_e32 v15, vcc, v8, v5
	v_addc_co_u32_e32 v16, vcc, 0, v6, vcc
	v_mad_u64_u32 v[5:6], s[4:5], v11, s40, 0
	v_mad_u64_u32 v[7:8], s[4:5], v11, s37, 0
	v_add_co_u32_e32 v5, vcc, v15, v5
	v_addc_co_u32_e32 v5, vcc, v16, v6, vcc
	v_addc_co_u32_e32 v6, vcc, 0, v8, vcc
	v_add_co_u32_e32 v7, vcc, v5, v7
	v_addc_co_u32_e32 v5, vcc, 0, v6, vcc
	v_mul_lo_u32 v8, s39, v7
	v_mul_lo_u32 v15, s38, v5
	v_mad_u64_u32 v[5:6], s[4:5], s38, v7, 0
	v_add3_u32 v6, v6, v15, v8
	v_sub_u32_e32 v8, v11, v6
	v_mov_b32_e32 v15, s39
	v_sub_co_u32_e32 v5, vcc, v10, v5
	v_subb_co_u32_e64 v8, s[4:5], v8, v15, vcc
	v_subrev_co_u32_e64 v10, s[4:5], s38, v5
	v_subbrev_co_u32_e64 v8, s[4:5], 0, v8, s[4:5]
	v_cmp_le_u32_e64 s[4:5], s39, v8
	v_subb_co_u32_e32 v6, vcc, v11, v6, vcc
	v_cndmask_b32_e64 v15, 0, -1, s[4:5]
	v_cmp_le_u32_e64 s[4:5], s38, v10
	v_cmp_le_u32_e32 vcc, s39, v6
	v_cndmask_b32_e64 v10, 0, -1, s[4:5]
	v_cmp_eq_u32_e64 s[4:5], s39, v8
	v_cndmask_b32_e64 v11, 0, -1, vcc
	v_cmp_le_u32_e32 vcc, s38, v5
	v_cndmask_b32_e64 v8, v15, v10, s[4:5]
	v_cndmask_b32_e64 v5, 0, -1, vcc
	v_cmp_eq_u32_e32 vcc, s39, v6
	v_add_co_u32_e64 v10, s[4:5], 2, v7
	v_add_co_u32_e64 v15, s[4:5], 1, v7
	v_cndmask_b32_e32 v5, v11, v5, vcc
	v_cmp_ne_u32_e32 vcc, 0, v8
	v_cndmask_b32_e32 v6, v15, v10, vcc
	v_cmp_ne_u32_e32 vcc, 0, v5
	v_cndmask_b32_e32 v5, v7, v6, vcc
	v_xor_b32_e32 v6, s36, v9
	v_xor_b32_e32 v5, v5, v6
	v_sub_co_u32_e32 v8, vcc, v5, v6
                                        ; implicit-def: $vgpr6_vgpr7
.LBB26_20:                              ;   in Loop: Header=BB26_10 Depth=1
	s_andn2_saveexec_b64 s[4:5], s[34:35]
	s_cbranch_execz .LBB26_8
; %bb.21:                               ;   in Loop: Header=BB26_10 Depth=1
	v_cvt_f32_u32_e32 v5, s33
	s_sub_i32 s34, 0, s33
	v_rcp_iflag_f32_e32 v5, v5
	v_mul_f32_e32 v5, 0x4f7ffffe, v5
	v_cvt_u32_f32_e32 v5, v5
	v_mul_lo_u32 v7, s34, v5
	v_mul_hi_u32 v7, v5, v7
	v_add_u32_e32 v5, v5, v7
	v_mul_hi_u32 v5, v6, v5
	v_mul_lo_u32 v7, v5, s33
	v_add_u32_e32 v8, 1, v5
	v_sub_u32_e32 v6, v6, v7
	v_subrev_u32_e32 v7, s33, v6
	v_cmp_le_u32_e32 vcc, s33, v6
	v_cndmask_b32_e32 v6, v6, v7, vcc
	v_cndmask_b32_e32 v5, v5, v8, vcc
	v_add_u32_e32 v7, 1, v5
	v_cmp_le_u32_e32 vcc, s33, v6
	v_cndmask_b32_e32 v8, v5, v7, vcc
	s_branch .LBB26_8
.LBB26_22:
	s_or_b64 exec, exec, s[6:7]
; %bb.23:
	s_waitcnt lgkmcnt(0)
	s_barrier
	s_and_saveexec_b64 s[2:3], s[0:1]
	s_cbranch_execz .LBB26_28
; %bb.24:
	v_and_b32_e32 v6, 0xffff, v12
	s_mov_b64 s[0:1], 0
	v_mov_b32_e32 v7, s17
.LBB26_25:                              ; =>This Loop Header: Depth=1
                                        ;     Child Loop BB26_26 Depth 2
	v_mul_lo_u32 v4, v1, s20
	v_mul_lo_u32 v5, v0, s21
	v_mad_u64_u32 v[2:3], s[2:3], v0, s20, 0
	s_mov_b64 s[2:3], 0
	v_add3_u32 v3, v3, v5, v4
	v_lshlrev_b64 v[2:3], 2, v[2:3]
	v_lshl_add_u32 v4, v0, 2, 0
	v_add_co_u32_e32 v2, vcc, s16, v2
	v_addc_co_u32_e32 v3, vcc, v7, v3, vcc
	global_load_dword v5, v[2:3], off
	ds_read_b32 v8, v4
.LBB26_26:                              ;   Parent Loop BB26_25 Depth=1
                                        ; =>  This Inner Loop Header: Depth=2
	s_waitcnt vmcnt(0) lgkmcnt(0)
	v_add_f32_e32 v4, v5, v8
	global_atomic_cmpswap v4, v[2:3], v[4:5], off glc
	s_waitcnt vmcnt(0)
	v_cmp_eq_u32_e32 vcc, v4, v5
	s_or_b64 s[2:3], vcc, s[2:3]
	v_mov_b32_e32 v5, v4
	s_andn2_b64 exec, exec, s[2:3]
	s_cbranch_execnz .LBB26_26
; %bb.27:                               ;   in Loop: Header=BB26_25 Depth=1
	s_or_b64 exec, exec, s[2:3]
	v_add_co_u32_e32 v0, vcc, v0, v6
	v_addc_co_u32_e32 v1, vcc, 0, v1, vcc
	v_cmp_le_i64_e32 vcc, s[18:19], v[0:1]
	s_or_b64 s[0:1], vcc, s[0:1]
	s_andn2_b64 exec, exec, s[0:1]
	s_cbranch_execnz .LBB26_25
.LBB26_28:
	s_endpgm
	.section	.rodata,"a",@progbits
	.p2align	6, 0x0
	.amdhsa_kernel _ZN2at4cuda17kernelHistogram1DIfilLi1ELi2ELin1ELNS0_23CUDAHistogramMemoryTypeE0EZNS0_21CUDA_tensor_histogramIfiLb1EEEbNS_6TensorES4_S4_lNS_14AccumulateTypeIT0_Lb1EE4typeES8_NS0_13TensorArgTypeES9_S9_EUllE0_EEvNS0_6detail10TensorInfoIT_T1_EESF_NSC_IKS6_SE_EElS8_S8_SE_T6_
		.amdhsa_group_segment_fixed_size 0
		.amdhsa_private_segment_fixed_size 0
		.amdhsa_kernarg_size 1544
		.amdhsa_user_sgpr_count 6
		.amdhsa_user_sgpr_private_segment_buffer 1
		.amdhsa_user_sgpr_dispatch_ptr 0
		.amdhsa_user_sgpr_queue_ptr 0
		.amdhsa_user_sgpr_kernarg_segment_ptr 1
		.amdhsa_user_sgpr_dispatch_id 0
		.amdhsa_user_sgpr_flat_scratch_init 0
		.amdhsa_user_sgpr_private_segment_size 0
		.amdhsa_uses_dynamic_stack 0
		.amdhsa_system_sgpr_private_segment_wavefront_offset 0
		.amdhsa_system_sgpr_workgroup_id_x 1
		.amdhsa_system_sgpr_workgroup_id_y 0
		.amdhsa_system_sgpr_workgroup_id_z 0
		.amdhsa_system_sgpr_workgroup_info 0
		.amdhsa_system_vgpr_workitem_id 0
		.amdhsa_next_free_vgpr 23
		.amdhsa_next_free_sgpr 52
		.amdhsa_reserve_vcc 1
		.amdhsa_reserve_flat_scratch 0
		.amdhsa_float_round_mode_32 0
		.amdhsa_float_round_mode_16_64 0
		.amdhsa_float_denorm_mode_32 3
		.amdhsa_float_denorm_mode_16_64 3
		.amdhsa_dx10_clamp 1
		.amdhsa_ieee_mode 1
		.amdhsa_fp16_overflow 0
		.amdhsa_exception_fp_ieee_invalid_op 0
		.amdhsa_exception_fp_denorm_src 0
		.amdhsa_exception_fp_ieee_div_zero 0
		.amdhsa_exception_fp_ieee_overflow 0
		.amdhsa_exception_fp_ieee_underflow 0
		.amdhsa_exception_fp_ieee_inexact 0
		.amdhsa_exception_int_div_zero 0
	.end_amdhsa_kernel
	.section	.text._ZN2at4cuda17kernelHistogram1DIfilLi1ELi2ELin1ELNS0_23CUDAHistogramMemoryTypeE0EZNS0_21CUDA_tensor_histogramIfiLb1EEEbNS_6TensorES4_S4_lNS_14AccumulateTypeIT0_Lb1EE4typeES8_NS0_13TensorArgTypeES9_S9_EUllE0_EEvNS0_6detail10TensorInfoIT_T1_EESF_NSC_IKS6_SE_EElS8_S8_SE_T6_,"axG",@progbits,_ZN2at4cuda17kernelHistogram1DIfilLi1ELi2ELin1ELNS0_23CUDAHistogramMemoryTypeE0EZNS0_21CUDA_tensor_histogramIfiLb1EEEbNS_6TensorES4_S4_lNS_14AccumulateTypeIT0_Lb1EE4typeES8_NS0_13TensorArgTypeES9_S9_EUllE0_EEvNS0_6detail10TensorInfoIT_T1_EESF_NSC_IKS6_SE_EElS8_S8_SE_T6_,comdat
.Lfunc_end26:
	.size	_ZN2at4cuda17kernelHistogram1DIfilLi1ELi2ELin1ELNS0_23CUDAHistogramMemoryTypeE0EZNS0_21CUDA_tensor_histogramIfiLb1EEEbNS_6TensorES4_S4_lNS_14AccumulateTypeIT0_Lb1EE4typeES8_NS0_13TensorArgTypeES9_S9_EUllE0_EEvNS0_6detail10TensorInfoIT_T1_EESF_NSC_IKS6_SE_EElS8_S8_SE_T6_, .Lfunc_end26-_ZN2at4cuda17kernelHistogram1DIfilLi1ELi2ELin1ELNS0_23CUDAHistogramMemoryTypeE0EZNS0_21CUDA_tensor_histogramIfiLb1EEEbNS_6TensorES4_S4_lNS_14AccumulateTypeIT0_Lb1EE4typeES8_NS0_13TensorArgTypeES9_S9_EUllE0_EEvNS0_6detail10TensorInfoIT_T1_EESF_NSC_IKS6_SE_EElS8_S8_SE_T6_
                                        ; -- End function
	.set _ZN2at4cuda17kernelHistogram1DIfilLi1ELi2ELin1ELNS0_23CUDAHistogramMemoryTypeE0EZNS0_21CUDA_tensor_histogramIfiLb1EEEbNS_6TensorES4_S4_lNS_14AccumulateTypeIT0_Lb1EE4typeES8_NS0_13TensorArgTypeES9_S9_EUllE0_EEvNS0_6detail10TensorInfoIT_T1_EESF_NSC_IKS6_SE_EElS8_S8_SE_T6_.num_vgpr, 23
	.set _ZN2at4cuda17kernelHistogram1DIfilLi1ELi2ELin1ELNS0_23CUDAHistogramMemoryTypeE0EZNS0_21CUDA_tensor_histogramIfiLb1EEEbNS_6TensorES4_S4_lNS_14AccumulateTypeIT0_Lb1EE4typeES8_NS0_13TensorArgTypeES9_S9_EUllE0_EEvNS0_6detail10TensorInfoIT_T1_EESF_NSC_IKS6_SE_EElS8_S8_SE_T6_.num_agpr, 0
	.set _ZN2at4cuda17kernelHistogram1DIfilLi1ELi2ELin1ELNS0_23CUDAHistogramMemoryTypeE0EZNS0_21CUDA_tensor_histogramIfiLb1EEEbNS_6TensorES4_S4_lNS_14AccumulateTypeIT0_Lb1EE4typeES8_NS0_13TensorArgTypeES9_S9_EUllE0_EEvNS0_6detail10TensorInfoIT_T1_EESF_NSC_IKS6_SE_EElS8_S8_SE_T6_.numbered_sgpr, 52
	.set _ZN2at4cuda17kernelHistogram1DIfilLi1ELi2ELin1ELNS0_23CUDAHistogramMemoryTypeE0EZNS0_21CUDA_tensor_histogramIfiLb1EEEbNS_6TensorES4_S4_lNS_14AccumulateTypeIT0_Lb1EE4typeES8_NS0_13TensorArgTypeES9_S9_EUllE0_EEvNS0_6detail10TensorInfoIT_T1_EESF_NSC_IKS6_SE_EElS8_S8_SE_T6_.num_named_barrier, 0
	.set _ZN2at4cuda17kernelHistogram1DIfilLi1ELi2ELin1ELNS0_23CUDAHistogramMemoryTypeE0EZNS0_21CUDA_tensor_histogramIfiLb1EEEbNS_6TensorES4_S4_lNS_14AccumulateTypeIT0_Lb1EE4typeES8_NS0_13TensorArgTypeES9_S9_EUllE0_EEvNS0_6detail10TensorInfoIT_T1_EESF_NSC_IKS6_SE_EElS8_S8_SE_T6_.private_seg_size, 0
	.set _ZN2at4cuda17kernelHistogram1DIfilLi1ELi2ELin1ELNS0_23CUDAHistogramMemoryTypeE0EZNS0_21CUDA_tensor_histogramIfiLb1EEEbNS_6TensorES4_S4_lNS_14AccumulateTypeIT0_Lb1EE4typeES8_NS0_13TensorArgTypeES9_S9_EUllE0_EEvNS0_6detail10TensorInfoIT_T1_EESF_NSC_IKS6_SE_EElS8_S8_SE_T6_.uses_vcc, 1
	.set _ZN2at4cuda17kernelHistogram1DIfilLi1ELi2ELin1ELNS0_23CUDAHistogramMemoryTypeE0EZNS0_21CUDA_tensor_histogramIfiLb1EEEbNS_6TensorES4_S4_lNS_14AccumulateTypeIT0_Lb1EE4typeES8_NS0_13TensorArgTypeES9_S9_EUllE0_EEvNS0_6detail10TensorInfoIT_T1_EESF_NSC_IKS6_SE_EElS8_S8_SE_T6_.uses_flat_scratch, 0
	.set _ZN2at4cuda17kernelHistogram1DIfilLi1ELi2ELin1ELNS0_23CUDAHistogramMemoryTypeE0EZNS0_21CUDA_tensor_histogramIfiLb1EEEbNS_6TensorES4_S4_lNS_14AccumulateTypeIT0_Lb1EE4typeES8_NS0_13TensorArgTypeES9_S9_EUllE0_EEvNS0_6detail10TensorInfoIT_T1_EESF_NSC_IKS6_SE_EElS8_S8_SE_T6_.has_dyn_sized_stack, 0
	.set _ZN2at4cuda17kernelHistogram1DIfilLi1ELi2ELin1ELNS0_23CUDAHistogramMemoryTypeE0EZNS0_21CUDA_tensor_histogramIfiLb1EEEbNS_6TensorES4_S4_lNS_14AccumulateTypeIT0_Lb1EE4typeES8_NS0_13TensorArgTypeES9_S9_EUllE0_EEvNS0_6detail10TensorInfoIT_T1_EESF_NSC_IKS6_SE_EElS8_S8_SE_T6_.has_recursion, 0
	.set _ZN2at4cuda17kernelHistogram1DIfilLi1ELi2ELin1ELNS0_23CUDAHistogramMemoryTypeE0EZNS0_21CUDA_tensor_histogramIfiLb1EEEbNS_6TensorES4_S4_lNS_14AccumulateTypeIT0_Lb1EE4typeES8_NS0_13TensorArgTypeES9_S9_EUllE0_EEvNS0_6detail10TensorInfoIT_T1_EESF_NSC_IKS6_SE_EElS8_S8_SE_T6_.has_indirect_call, 0
	.section	.AMDGPU.csdata,"",@progbits
; Kernel info:
; codeLenInByte = 2364
; TotalNumSgprs: 56
; NumVgprs: 23
; ScratchSize: 0
; MemoryBound: 0
; FloatMode: 240
; IeeeMode: 1
; LDSByteSize: 0 bytes/workgroup (compile time only)
; SGPRBlocks: 6
; VGPRBlocks: 5
; NumSGPRsForWavesPerEU: 56
; NumVGPRsForWavesPerEU: 23
; Occupancy: 10
; WaveLimiterHint : 1
; COMPUTE_PGM_RSRC2:SCRATCH_EN: 0
; COMPUTE_PGM_RSRC2:USER_SGPR: 6
; COMPUTE_PGM_RSRC2:TRAP_HANDLER: 0
; COMPUTE_PGM_RSRC2:TGID_X_EN: 1
; COMPUTE_PGM_RSRC2:TGID_Y_EN: 0
; COMPUTE_PGM_RSRC2:TGID_Z_EN: 0
; COMPUTE_PGM_RSRC2:TIDIG_COMP_CNT: 0
	.section	.text._ZN2at4cuda17kernelHistogram1DIfilLi1ELi2ELin1ELNS0_23CUDAHistogramMemoryTypeE1EZNS0_21CUDA_tensor_histogramIfiLb1EEEbNS_6TensorES4_S4_lNS_14AccumulateTypeIT0_Lb1EE4typeES8_NS0_13TensorArgTypeES9_S9_EUllE0_EEvNS0_6detail10TensorInfoIT_T1_EESF_NSC_IKS6_SE_EElS8_S8_SE_T6_,"axG",@progbits,_ZN2at4cuda17kernelHistogram1DIfilLi1ELi2ELin1ELNS0_23CUDAHistogramMemoryTypeE1EZNS0_21CUDA_tensor_histogramIfiLb1EEEbNS_6TensorES4_S4_lNS_14AccumulateTypeIT0_Lb1EE4typeES8_NS0_13TensorArgTypeES9_S9_EUllE0_EEvNS0_6detail10TensorInfoIT_T1_EESF_NSC_IKS6_SE_EElS8_S8_SE_T6_,comdat
	.protected	_ZN2at4cuda17kernelHistogram1DIfilLi1ELi2ELin1ELNS0_23CUDAHistogramMemoryTypeE1EZNS0_21CUDA_tensor_histogramIfiLb1EEEbNS_6TensorES4_S4_lNS_14AccumulateTypeIT0_Lb1EE4typeES8_NS0_13TensorArgTypeES9_S9_EUllE0_EEvNS0_6detail10TensorInfoIT_T1_EESF_NSC_IKS6_SE_EElS8_S8_SE_T6_ ; -- Begin function _ZN2at4cuda17kernelHistogram1DIfilLi1ELi2ELin1ELNS0_23CUDAHistogramMemoryTypeE1EZNS0_21CUDA_tensor_histogramIfiLb1EEEbNS_6TensorES4_S4_lNS_14AccumulateTypeIT0_Lb1EE4typeES8_NS0_13TensorArgTypeES9_S9_EUllE0_EEvNS0_6detail10TensorInfoIT_T1_EESF_NSC_IKS6_SE_EElS8_S8_SE_T6_
	.globl	_ZN2at4cuda17kernelHistogram1DIfilLi1ELi2ELin1ELNS0_23CUDAHistogramMemoryTypeE1EZNS0_21CUDA_tensor_histogramIfiLb1EEEbNS_6TensorES4_S4_lNS_14AccumulateTypeIT0_Lb1EE4typeES8_NS0_13TensorArgTypeES9_S9_EUllE0_EEvNS0_6detail10TensorInfoIT_T1_EESF_NSC_IKS6_SE_EElS8_S8_SE_T6_
	.p2align	8
	.type	_ZN2at4cuda17kernelHistogram1DIfilLi1ELi2ELin1ELNS0_23CUDAHistogramMemoryTypeE1EZNS0_21CUDA_tensor_histogramIfiLb1EEEbNS_6TensorES4_S4_lNS_14AccumulateTypeIT0_Lb1EE4typeES8_NS0_13TensorArgTypeES9_S9_EUllE0_EEvNS0_6detail10TensorInfoIT_T1_EESF_NSC_IKS6_SE_EElS8_S8_SE_T6_,@function
_ZN2at4cuda17kernelHistogram1DIfilLi1ELi2ELin1ELNS0_23CUDAHistogramMemoryTypeE1EZNS0_21CUDA_tensor_histogramIfiLb1EEEbNS_6TensorES4_S4_lNS_14AccumulateTypeIT0_Lb1EE4typeES8_NS0_13TensorArgTypeES9_S9_EUllE0_EEvNS0_6detail10TensorInfoIT_T1_EESF_NSC_IKS6_SE_EElS8_S8_SE_T6_: ; @_ZN2at4cuda17kernelHistogram1DIfilLi1ELi2ELin1ELNS0_23CUDAHistogramMemoryTypeE1EZNS0_21CUDA_tensor_histogramIfiLb1EEEbNS_6TensorES4_S4_lNS_14AccumulateTypeIT0_Lb1EE4typeES8_NS0_13TensorArgTypeES9_S9_EUllE0_EEvNS0_6detail10TensorInfoIT_T1_EESF_NSC_IKS6_SE_EElS8_S8_SE_T6_
; %bb.0:
	s_load_dword s2, s[4:5], 0x514
	s_load_dwordx8 s[8:15], s[4:5], 0x4e0
	s_add_u32 s0, s4, 0x508
	s_addc_u32 s1, s5, 0
	v_mov_b32_e32 v2, 0
	s_waitcnt lgkmcnt(0)
	s_and_b32 s2, s2, 0xffff
	s_mul_i32 s6, s6, s2
	v_add_u32_e32 v0, s6, v0
	v_mov_b32_e32 v1, v2
	v_cmp_gt_i64_e32 vcc, s[14:15], v[0:1]
	s_and_saveexec_b64 s[6:7], vcc
	s_cbranch_execz .LBB27_17
; %bb.1:
	s_load_dword s22, s[4:5], 0x4d8
	s_load_dword s3, s[0:1], 0x0
	s_add_u32 s23, s4, 0x340
	s_addc_u32 s24, s5, 0
	s_load_dwordx2 s[6:7], s[4:5], 0x0
	s_load_dwordx2 s[16:17], s[4:5], 0xd0
	;; [unrolled: 1-line block ×4, first 2 shown]
	s_waitcnt lgkmcnt(0)
	s_cmp_gt_i32 s22, 1
	s_cselect_b64 s[0:1], -1, 0
	s_sub_u32 s33, s12, s10
	s_subb_u32 s36, s13, s11
	s_mul_i32 s37, s3, s2
	s_mov_b32 s3, 0
	s_add_i32 s2, s22, -1
	s_add_i32 s38, s22, 1
	s_lshl_b64 s[2:3], s[2:3], 3
	s_add_u32 s2, s23, s2
	s_addc_u32 s3, s24, s3
	s_add_u32 s4, s2, 8
	v_cndmask_b32_e64 v3, 0, 1, s[0:1]
	s_addc_u32 s5, s3, 0
	s_mov_b64 s[22:23], 0
	v_cmp_ne_u32_e64 s[0:1], 1, v3
	s_branch .LBB27_3
.LBB27_2:                               ;   in Loop: Header=BB27_3 Depth=1
	s_or_b64 exec, exec, s[24:25]
	v_add_co_u32_e32 v0, vcc, s37, v0
	v_addc_co_u32_e32 v1, vcc, 0, v1, vcc
	v_cmp_le_i64_e32 vcc, s[14:15], v[0:1]
	s_or_b64 s[22:23], vcc, s[22:23]
	s_andn2_b64 exec, exec, s[22:23]
	s_cbranch_execz .LBB27_17
.LBB27_3:                               ; =>This Loop Header: Depth=1
                                        ;     Child Loop BB27_4 Depth 2
                                        ;     Child Loop BB27_16 Depth 2
	v_mov_b32_e32 v4, 0
	v_mov_b32_e32 v7, v1
	;; [unrolled: 1-line block ×4, first 2 shown]
	s_and_b64 vcc, exec, s[0:1]
	s_mov_b64 s[24:25], s[4:5]
	s_mov_b32 s39, s38
	v_mov_b32_e32 v6, v0
	v_mov_b32_e32 v8, v0
	s_cbranch_vccnz .LBB27_10
.LBB27_4:                               ;   Parent Loop BB27_3 Depth=1
                                        ; =>  This Inner Loop Header: Depth=2
	s_load_dwordx2 s[26:27], s[24:25], 0x0
                                        ; implicit-def: $vgpr8_vgpr9
	s_waitcnt lgkmcnt(0)
	v_or_b32_e32 v3, s27, v7
	v_cmp_ne_u64_e32 vcc, 0, v[2:3]
	s_and_saveexec_b64 s[2:3], vcc
	s_xor_b64 s[28:29], exec, s[2:3]
	s_cbranch_execz .LBB27_6
; %bb.5:                                ;   in Loop: Header=BB27_4 Depth=2
	s_ashr_i32 s30, s27, 31
	s_add_u32 s2, s26, s30
	s_mov_b32 s31, s30
	s_addc_u32 s3, s27, s30
	s_xor_b64 s[34:35], s[2:3], s[30:31]
	v_cvt_f32_u32_e32 v3, s34
	v_cvt_f32_u32_e32 v8, s35
	s_sub_u32 s31, 0, s34
	s_subb_u32 s40, 0, s35
	v_mac_f32_e32 v3, 0x4f800000, v8
	v_rcp_f32_e32 v3, v3
	v_mul_f32_e32 v3, 0x5f7ffffc, v3
	v_mul_f32_e32 v8, 0x2f800000, v3
	v_trunc_f32_e32 v8, v8
	v_mac_f32_e32 v3, 0xcf800000, v8
	v_cvt_u32_f32_e32 v8, v8
	v_cvt_u32_f32_e32 v3, v3
	v_readfirstlane_b32 s41, v8
	v_readfirstlane_b32 s2, v3
	s_mul_i32 s3, s31, s41
	s_mul_hi_u32 s43, s31, s2
	s_mul_i32 s42, s40, s2
	s_add_i32 s3, s43, s3
	s_add_i32 s3, s3, s42
	s_mul_i32 s44, s31, s2
	s_mul_i32 s43, s2, s3
	s_mul_hi_u32 s45, s2, s44
	s_mul_hi_u32 s42, s2, s3
	s_add_u32 s43, s45, s43
	s_addc_u32 s42, 0, s42
	s_mul_hi_u32 s46, s41, s44
	s_mul_i32 s44, s41, s44
	s_add_u32 s43, s43, s44
	s_mul_hi_u32 s45, s41, s3
	s_addc_u32 s42, s42, s46
	s_addc_u32 s43, s45, 0
	s_mul_i32 s3, s41, s3
	s_add_u32 s3, s42, s3
	s_addc_u32 s42, 0, s43
	s_add_u32 s43, s2, s3
	s_cselect_b64 s[2:3], -1, 0
	s_cmp_lg_u64 s[2:3], 0
	s_addc_u32 s41, s41, s42
	s_mul_i32 s2, s31, s41
	s_mul_hi_u32 s3, s31, s43
	s_add_i32 s2, s3, s2
	s_mul_i32 s40, s40, s43
	s_add_i32 s2, s2, s40
	s_mul_i32 s31, s31, s43
	s_mul_hi_u32 s40, s41, s31
	s_mul_i32 s42, s41, s31
	s_mul_i32 s45, s43, s2
	s_mul_hi_u32 s31, s43, s31
	s_mul_hi_u32 s44, s43, s2
	s_add_u32 s31, s31, s45
	s_addc_u32 s44, 0, s44
	s_add_u32 s31, s31, s42
	s_mul_hi_u32 s3, s41, s2
	s_addc_u32 s31, s44, s40
	s_addc_u32 s3, s3, 0
	s_mul_i32 s2, s41, s2
	s_add_u32 s2, s31, s2
	s_addc_u32 s31, 0, s3
	s_add_u32 s40, s43, s2
	s_cselect_b64 s[2:3], -1, 0
	v_ashrrev_i32_e32 v3, 31, v7
	s_cmp_lg_u64 s[2:3], 0
	v_add_co_u32_e32 v8, vcc, v6, v3
	s_addc_u32 s31, s41, s31
	v_xor_b32_e32 v12, v8, v3
	v_mad_u64_u32 v[8:9], s[2:3], v12, s31, 0
	v_mul_hi_u32 v11, v12, s40
	v_addc_co_u32_e32 v10, vcc, v7, v3, vcc
	v_xor_b32_e32 v13, v10, v3
	v_add_co_u32_e32 v14, vcc, v11, v8
	v_addc_co_u32_e32 v15, vcc, 0, v9, vcc
	v_mad_u64_u32 v[8:9], s[2:3], v13, s40, 0
	v_mad_u64_u32 v[10:11], s[2:3], v13, s31, 0
	v_add_co_u32_e32 v8, vcc, v14, v8
	v_addc_co_u32_e32 v8, vcc, v15, v9, vcc
	v_addc_co_u32_e32 v9, vcc, 0, v11, vcc
	v_add_co_u32_e32 v10, vcc, v8, v10
	v_addc_co_u32_e32 v11, vcc, 0, v9, vcc
	v_mul_lo_u32 v14, s35, v10
	v_mul_lo_u32 v15, s34, v11
	v_mad_u64_u32 v[8:9], s[2:3], s34, v10, 0
	v_xor_b32_e32 v3, s30, v3
	v_add3_u32 v9, v9, v15, v14
	v_sub_u32_e32 v14, v13, v9
	v_mov_b32_e32 v15, s35
	v_sub_co_u32_e32 v8, vcc, v12, v8
	v_subb_co_u32_e64 v12, s[2:3], v14, v15, vcc
	v_subrev_co_u32_e64 v14, s[2:3], s34, v8
	v_subbrev_co_u32_e64 v12, s[2:3], 0, v12, s[2:3]
	v_cmp_le_u32_e64 s[2:3], s35, v12
	v_cndmask_b32_e64 v15, 0, -1, s[2:3]
	v_cmp_le_u32_e64 s[2:3], s34, v14
	v_cndmask_b32_e64 v14, 0, -1, s[2:3]
	v_cmp_eq_u32_e64 s[2:3], s35, v12
	v_cndmask_b32_e64 v12, v15, v14, s[2:3]
	v_add_co_u32_e64 v14, s[2:3], 2, v10
	v_subb_co_u32_e32 v9, vcc, v13, v9, vcc
	v_addc_co_u32_e64 v15, s[2:3], 0, v11, s[2:3]
	v_cmp_le_u32_e32 vcc, s35, v9
	v_add_co_u32_e64 v16, s[2:3], 1, v10
	v_cndmask_b32_e64 v13, 0, -1, vcc
	v_cmp_le_u32_e32 vcc, s34, v8
	v_addc_co_u32_e64 v17, s[2:3], 0, v11, s[2:3]
	v_cndmask_b32_e64 v8, 0, -1, vcc
	v_cmp_eq_u32_e32 vcc, s35, v9
	v_cmp_ne_u32_e64 s[2:3], 0, v12
	v_cndmask_b32_e32 v8, v13, v8, vcc
	v_cndmask_b32_e64 v12, v17, v15, s[2:3]
	v_cmp_ne_u32_e32 vcc, 0, v8
	v_cndmask_b32_e64 v9, v16, v14, s[2:3]
	v_cndmask_b32_e32 v8, v11, v12, vcc
	v_cndmask_b32_e32 v9, v10, v9, vcc
	v_xor_b32_e32 v10, v8, v3
	v_xor_b32_e32 v8, v9, v3
	v_sub_co_u32_e32 v8, vcc, v8, v3
	v_subb_co_u32_e32 v9, vcc, v10, v3, vcc
.LBB27_6:                               ;   in Loop: Header=BB27_4 Depth=2
	s_andn2_saveexec_b64 s[2:3], s[28:29]
	s_cbranch_execz .LBB27_8
; %bb.7:                                ;   in Loop: Header=BB27_4 Depth=2
	v_cvt_f32_u32_e32 v3, s26
	s_sub_i32 s28, 0, s26
	v_rcp_iflag_f32_e32 v3, v3
	v_mul_f32_e32 v3, 0x4f7ffffe, v3
	v_cvt_u32_f32_e32 v3, v3
	v_mul_lo_u32 v8, s28, v3
	v_mul_hi_u32 v8, v3, v8
	v_add_u32_e32 v3, v3, v8
	v_mul_hi_u32 v3, v6, v3
	v_mul_lo_u32 v8, v3, s26
	v_add_u32_e32 v9, 1, v3
	v_sub_u32_e32 v8, v6, v8
	v_subrev_u32_e32 v10, s26, v8
	v_cmp_le_u32_e32 vcc, s26, v8
	v_cndmask_b32_e32 v8, v8, v10, vcc
	v_cndmask_b32_e32 v3, v3, v9, vcc
	v_add_u32_e32 v9, 1, v3
	v_cmp_le_u32_e32 vcc, s26, v8
	v_cndmask_b32_e32 v8, v3, v9, vcc
	v_mov_b32_e32 v9, v2
.LBB27_8:                               ;   in Loop: Header=BB27_4 Depth=2
	s_or_b64 exec, exec, s[2:3]
	v_mul_lo_u32 v3, v9, s26
	v_mul_lo_u32 v12, v8, s27
	v_mad_u64_u32 v[10:11], s[2:3], v8, s26, 0
	s_load_dwordx2 s[2:3], s[24:25], 0xc8
	s_add_i32 s39, s39, -1
	v_add3_u32 v3, v11, v12, v3
	v_sub_co_u32_e32 v6, vcc, v6, v10
	v_subb_co_u32_e32 v3, vcc, v7, v3, vcc
	s_waitcnt lgkmcnt(0)
	v_mul_lo_u32 v3, s2, v3
	v_mul_lo_u32 v7, s3, v6
	v_mad_u64_u32 v[4:5], s[2:3], s2, v6, v[4:5]
	s_add_u32 s24, s24, -8
	s_addc_u32 s25, s25, -1
	s_cmp_gt_u32 s39, 2
	v_add3_u32 v5, v7, v5, v3
	s_cbranch_scc0 .LBB27_10
; %bb.9:                                ;   in Loop: Header=BB27_4 Depth=2
	v_mov_b32_e32 v6, v8
	v_mov_b32_e32 v7, v9
	s_branch .LBB27_4
.LBB27_10:                              ;   in Loop: Header=BB27_3 Depth=1
	v_mul_lo_u32 v3, s19, v8
	v_mul_lo_u32 v9, s18, v9
	v_mad_u64_u32 v[6:7], s[2:3], s18, v8, 0
	v_add3_u32 v7, v7, v9, v3
	v_lshlrev_b64 v[6:7], 2, v[6:7]
	v_mov_b32_e32 v3, s21
	v_add_co_u32_e32 v6, vcc, s20, v6
	v_addc_co_u32_e32 v7, vcc, v3, v7, vcc
	v_lshlrev_b64 v[3:4], 2, v[4:5]
	v_add_co_u32_e32 v3, vcc, v6, v3
	v_addc_co_u32_e32 v4, vcc, v7, v4, vcc
	global_load_dword v3, v[3:4], off
	s_waitcnt vmcnt(0)
	v_ashrrev_i32_e32 v4, 31, v3
	v_cmp_le_i64_e32 vcc, s[10:11], v[3:4]
	v_cmp_ge_i64_e64 s[2:3], s[12:13], v[3:4]
	s_and_b64 s[2:3], vcc, s[2:3]
	s_and_saveexec_b64 s[24:25], s[2:3]
	s_cbranch_execz .LBB27_2
; %bb.11:                               ;   in Loop: Header=BB27_3 Depth=1
	v_mov_b32_e32 v5, s11
	v_subrev_co_u32_e32 v3, vcc, s10, v3
	v_subb_co_u32_e32 v4, vcc, v4, v5, vcc
	v_mul_lo_u32 v6, v4, s8
	v_mul_lo_u32 v7, v3, s9
	v_mad_u64_u32 v[4:5], s[2:3], v3, s8, 0
	v_add3_u32 v5, v5, v7, v6
	v_or_b32_e32 v3, s36, v5
	v_cmp_ne_u64_e32 vcc, 0, v[2:3]
                                        ; implicit-def: $vgpr6_vgpr7
	s_and_saveexec_b64 s[2:3], vcc
	s_xor_b64 s[26:27], exec, s[2:3]
	s_cbranch_execz .LBB27_13
; %bb.12:                               ;   in Loop: Header=BB27_3 Depth=1
	s_ashr_i32 s28, s36, 31
	s_add_u32 s2, s33, s28
	s_mov_b32 s29, s28
	s_addc_u32 s3, s36, s28
	s_xor_b64 s[30:31], s[2:3], s[28:29]
	v_cvt_f32_u32_e32 v3, s30
	v_cvt_f32_u32_e32 v6, s31
	s_sub_u32 s29, 0, s30
	s_subb_u32 s34, 0, s31
	v_ashrrev_i32_e32 v7, 31, v5
	v_mac_f32_e32 v3, 0x4f800000, v6
	v_rcp_f32_e32 v3, v3
	v_mul_f32_e32 v3, 0x5f7ffffc, v3
	v_mul_f32_e32 v6, 0x2f800000, v3
	v_trunc_f32_e32 v6, v6
	v_mac_f32_e32 v3, 0xcf800000, v6
	v_cvt_u32_f32_e32 v6, v6
	v_cvt_u32_f32_e32 v3, v3
	v_readfirstlane_b32 s35, v6
	v_readfirstlane_b32 s2, v3
	s_mul_i32 s3, s29, s35
	s_mul_hi_u32 s40, s29, s2
	s_mul_i32 s39, s34, s2
	s_add_i32 s3, s40, s3
	s_add_i32 s3, s3, s39
	s_mul_i32 s41, s29, s2
	s_mul_i32 s40, s2, s3
	s_mul_hi_u32 s42, s2, s41
	s_mul_hi_u32 s39, s2, s3
	s_add_u32 s40, s42, s40
	s_addc_u32 s39, 0, s39
	s_mul_hi_u32 s43, s35, s41
	s_mul_i32 s41, s35, s41
	s_add_u32 s40, s40, s41
	s_mul_hi_u32 s42, s35, s3
	s_addc_u32 s39, s39, s43
	s_addc_u32 s40, s42, 0
	s_mul_i32 s3, s35, s3
	s_add_u32 s3, s39, s3
	s_addc_u32 s39, 0, s40
	s_add_u32 s40, s2, s3
	s_cselect_b64 s[2:3], -1, 0
	s_cmp_lg_u64 s[2:3], 0
	s_addc_u32 s35, s35, s39
	s_mul_i32 s2, s29, s35
	s_mul_hi_u32 s3, s29, s40
	s_add_i32 s2, s3, s2
	s_mul_i32 s34, s34, s40
	s_add_i32 s2, s2, s34
	s_mul_i32 s29, s29, s40
	s_mul_hi_u32 s34, s35, s29
	s_mul_i32 s39, s35, s29
	s_mul_i32 s42, s40, s2
	s_mul_hi_u32 s29, s40, s29
	s_mul_hi_u32 s41, s40, s2
	s_add_u32 s29, s29, s42
	s_addc_u32 s41, 0, s41
	s_add_u32 s29, s29, s39
	s_mul_hi_u32 s3, s35, s2
	s_addc_u32 s29, s41, s34
	s_addc_u32 s3, s3, 0
	s_mul_i32 s2, s35, s2
	s_add_u32 s2, s29, s2
	s_addc_u32 s29, 0, s3
	s_add_u32 s34, s40, s2
	s_cselect_b64 s[2:3], -1, 0
	s_cmp_lg_u64 s[2:3], 0
	v_add_co_u32_e32 v3, vcc, v4, v7
	s_addc_u32 s29, s35, s29
	v_xor_b32_e32 v8, v3, v7
	v_mad_u64_u32 v[3:4], s[2:3], v8, s29, 0
	v_mul_hi_u32 v6, v8, s34
	v_addc_co_u32_e32 v5, vcc, v5, v7, vcc
	v_xor_b32_e32 v9, v5, v7
	v_add_co_u32_e32 v10, vcc, v6, v3
	v_addc_co_u32_e32 v11, vcc, 0, v4, vcc
	v_mad_u64_u32 v[3:4], s[2:3], v9, s34, 0
	v_mad_u64_u32 v[5:6], s[2:3], v9, s29, 0
	v_add_co_u32_e32 v3, vcc, v10, v3
	v_addc_co_u32_e32 v3, vcc, v11, v4, vcc
	v_addc_co_u32_e32 v4, vcc, 0, v6, vcc
	v_add_co_u32_e32 v5, vcc, v3, v5
	v_addc_co_u32_e32 v3, vcc, 0, v4, vcc
	v_mul_lo_u32 v6, s31, v5
	v_mul_lo_u32 v10, s30, v3
	v_mad_u64_u32 v[3:4], s[2:3], s30, v5, 0
	v_add3_u32 v4, v4, v10, v6
	v_sub_u32_e32 v6, v9, v4
	v_mov_b32_e32 v10, s31
	v_sub_co_u32_e32 v3, vcc, v8, v3
	v_subb_co_u32_e64 v6, s[2:3], v6, v10, vcc
	v_subrev_co_u32_e64 v8, s[2:3], s30, v3
	v_subbrev_co_u32_e64 v6, s[2:3], 0, v6, s[2:3]
	v_cmp_le_u32_e64 s[2:3], s31, v6
	v_subb_co_u32_e32 v4, vcc, v9, v4, vcc
	v_cndmask_b32_e64 v10, 0, -1, s[2:3]
	v_cmp_le_u32_e64 s[2:3], s30, v8
	v_cmp_le_u32_e32 vcc, s31, v4
	v_cndmask_b32_e64 v8, 0, -1, s[2:3]
	v_cmp_eq_u32_e64 s[2:3], s31, v6
	v_cndmask_b32_e64 v9, 0, -1, vcc
	v_cmp_le_u32_e32 vcc, s30, v3
	v_cndmask_b32_e64 v6, v10, v8, s[2:3]
	v_cndmask_b32_e64 v3, 0, -1, vcc
	v_cmp_eq_u32_e32 vcc, s31, v4
	v_add_co_u32_e64 v8, s[2:3], 2, v5
	v_add_co_u32_e64 v10, s[2:3], 1, v5
	v_cndmask_b32_e32 v3, v9, v3, vcc
	v_cmp_ne_u32_e32 vcc, 0, v6
	v_cndmask_b32_e32 v4, v10, v8, vcc
	v_cmp_ne_u32_e32 vcc, 0, v3
	v_cndmask_b32_e32 v3, v5, v4, vcc
	v_xor_b32_e32 v4, s28, v7
	v_xor_b32_e32 v3, v3, v4
	v_sub_co_u32_e32 v6, vcc, v3, v4
                                        ; implicit-def: $vgpr4_vgpr5
.LBB27_13:                              ;   in Loop: Header=BB27_3 Depth=1
	s_andn2_saveexec_b64 s[2:3], s[26:27]
	s_cbranch_execz .LBB27_15
; %bb.14:                               ;   in Loop: Header=BB27_3 Depth=1
	v_cvt_f32_u32_e32 v3, s33
	s_sub_i32 s26, 0, s33
	v_rcp_iflag_f32_e32 v3, v3
	v_mul_f32_e32 v3, 0x4f7ffffe, v3
	v_cvt_u32_f32_e32 v3, v3
	v_mul_lo_u32 v5, s26, v3
	v_mul_hi_u32 v5, v3, v5
	v_add_u32_e32 v3, v3, v5
	v_mul_hi_u32 v3, v4, v3
	v_mul_lo_u32 v5, v3, s33
	v_add_u32_e32 v6, 1, v3
	v_sub_u32_e32 v4, v4, v5
	v_subrev_u32_e32 v5, s33, v4
	v_cmp_le_u32_e32 vcc, s33, v4
	v_cndmask_b32_e32 v4, v4, v5, vcc
	v_cndmask_b32_e32 v3, v3, v6, vcc
	v_add_u32_e32 v5, 1, v3
	v_cmp_le_u32_e32 vcc, s33, v4
	v_cndmask_b32_e32 v6, v3, v5, vcc
.LBB27_15:                              ;   in Loop: Header=BB27_3 Depth=1
	s_or_b64 exec, exec, s[2:3]
	v_ashrrev_i32_e32 v7, 31, v6
	v_cmp_eq_u64_e32 vcc, s[8:9], v[6:7]
	v_cndmask_b32_e64 v3, 0, 1, vcc
	v_sub_co_u32_e32 v3, vcc, v6, v3
	v_subbrev_co_u32_e32 v4, vcc, 0, v7, vcc
	v_mul_lo_u32 v5, v4, s16
	v_mul_lo_u32 v6, v3, s17
	v_mad_u64_u32 v[3:4], s[2:3], v3, s16, 0
	s_mov_b64 s[2:3], 0
	v_add3_u32 v4, v4, v6, v5
	v_lshlrev_b64 v[3:4], 2, v[3:4]
	v_mov_b32_e32 v5, s7
	v_add_co_u32_e32 v3, vcc, s6, v3
	v_addc_co_u32_e32 v4, vcc, v5, v4, vcc
	global_load_dword v6, v[3:4], off
.LBB27_16:                              ;   Parent Loop BB27_3 Depth=1
                                        ; =>  This Inner Loop Header: Depth=2
	s_waitcnt vmcnt(0)
	v_add_f32_e32 v5, 1.0, v6
	global_atomic_cmpswap v5, v[3:4], v[5:6], off glc
	s_waitcnt vmcnt(0)
	v_cmp_eq_u32_e32 vcc, v5, v6
	s_or_b64 s[2:3], vcc, s[2:3]
	v_mov_b32_e32 v6, v5
	s_andn2_b64 exec, exec, s[2:3]
	s_cbranch_execnz .LBB27_16
	s_branch .LBB27_2
.LBB27_17:
	s_endpgm
	.section	.rodata,"a",@progbits
	.p2align	6, 0x0
	.amdhsa_kernel _ZN2at4cuda17kernelHistogram1DIfilLi1ELi2ELin1ELNS0_23CUDAHistogramMemoryTypeE1EZNS0_21CUDA_tensor_histogramIfiLb1EEEbNS_6TensorES4_S4_lNS_14AccumulateTypeIT0_Lb1EE4typeES8_NS0_13TensorArgTypeES9_S9_EUllE0_EEvNS0_6detail10TensorInfoIT_T1_EESF_NSC_IKS6_SE_EElS8_S8_SE_T6_
		.amdhsa_group_segment_fixed_size 0
		.amdhsa_private_segment_fixed_size 0
		.amdhsa_kernarg_size 1544
		.amdhsa_user_sgpr_count 6
		.amdhsa_user_sgpr_private_segment_buffer 1
		.amdhsa_user_sgpr_dispatch_ptr 0
		.amdhsa_user_sgpr_queue_ptr 0
		.amdhsa_user_sgpr_kernarg_segment_ptr 1
		.amdhsa_user_sgpr_dispatch_id 0
		.amdhsa_user_sgpr_flat_scratch_init 0
		.amdhsa_user_sgpr_private_segment_size 0
		.amdhsa_uses_dynamic_stack 0
		.amdhsa_system_sgpr_private_segment_wavefront_offset 0
		.amdhsa_system_sgpr_workgroup_id_x 1
		.amdhsa_system_sgpr_workgroup_id_y 0
		.amdhsa_system_sgpr_workgroup_id_z 0
		.amdhsa_system_sgpr_workgroup_info 0
		.amdhsa_system_vgpr_workitem_id 0
		.amdhsa_next_free_vgpr 18
		.amdhsa_next_free_sgpr 47
		.amdhsa_reserve_vcc 1
		.amdhsa_reserve_flat_scratch 0
		.amdhsa_float_round_mode_32 0
		.amdhsa_float_round_mode_16_64 0
		.amdhsa_float_denorm_mode_32 3
		.amdhsa_float_denorm_mode_16_64 3
		.amdhsa_dx10_clamp 1
		.amdhsa_ieee_mode 1
		.amdhsa_fp16_overflow 0
		.amdhsa_exception_fp_ieee_invalid_op 0
		.amdhsa_exception_fp_denorm_src 0
		.amdhsa_exception_fp_ieee_div_zero 0
		.amdhsa_exception_fp_ieee_overflow 0
		.amdhsa_exception_fp_ieee_underflow 0
		.amdhsa_exception_fp_ieee_inexact 0
		.amdhsa_exception_int_div_zero 0
	.end_amdhsa_kernel
	.section	.text._ZN2at4cuda17kernelHistogram1DIfilLi1ELi2ELin1ELNS0_23CUDAHistogramMemoryTypeE1EZNS0_21CUDA_tensor_histogramIfiLb1EEEbNS_6TensorES4_S4_lNS_14AccumulateTypeIT0_Lb1EE4typeES8_NS0_13TensorArgTypeES9_S9_EUllE0_EEvNS0_6detail10TensorInfoIT_T1_EESF_NSC_IKS6_SE_EElS8_S8_SE_T6_,"axG",@progbits,_ZN2at4cuda17kernelHistogram1DIfilLi1ELi2ELin1ELNS0_23CUDAHistogramMemoryTypeE1EZNS0_21CUDA_tensor_histogramIfiLb1EEEbNS_6TensorES4_S4_lNS_14AccumulateTypeIT0_Lb1EE4typeES8_NS0_13TensorArgTypeES9_S9_EUllE0_EEvNS0_6detail10TensorInfoIT_T1_EESF_NSC_IKS6_SE_EElS8_S8_SE_T6_,comdat
.Lfunc_end27:
	.size	_ZN2at4cuda17kernelHistogram1DIfilLi1ELi2ELin1ELNS0_23CUDAHistogramMemoryTypeE1EZNS0_21CUDA_tensor_histogramIfiLb1EEEbNS_6TensorES4_S4_lNS_14AccumulateTypeIT0_Lb1EE4typeES8_NS0_13TensorArgTypeES9_S9_EUllE0_EEvNS0_6detail10TensorInfoIT_T1_EESF_NSC_IKS6_SE_EElS8_S8_SE_T6_, .Lfunc_end27-_ZN2at4cuda17kernelHistogram1DIfilLi1ELi2ELin1ELNS0_23CUDAHistogramMemoryTypeE1EZNS0_21CUDA_tensor_histogramIfiLb1EEEbNS_6TensorES4_S4_lNS_14AccumulateTypeIT0_Lb1EE4typeES8_NS0_13TensorArgTypeES9_S9_EUllE0_EEvNS0_6detail10TensorInfoIT_T1_EESF_NSC_IKS6_SE_EElS8_S8_SE_T6_
                                        ; -- End function
	.set _ZN2at4cuda17kernelHistogram1DIfilLi1ELi2ELin1ELNS0_23CUDAHistogramMemoryTypeE1EZNS0_21CUDA_tensor_histogramIfiLb1EEEbNS_6TensorES4_S4_lNS_14AccumulateTypeIT0_Lb1EE4typeES8_NS0_13TensorArgTypeES9_S9_EUllE0_EEvNS0_6detail10TensorInfoIT_T1_EESF_NSC_IKS6_SE_EElS8_S8_SE_T6_.num_vgpr, 18
	.set _ZN2at4cuda17kernelHistogram1DIfilLi1ELi2ELin1ELNS0_23CUDAHistogramMemoryTypeE1EZNS0_21CUDA_tensor_histogramIfiLb1EEEbNS_6TensorES4_S4_lNS_14AccumulateTypeIT0_Lb1EE4typeES8_NS0_13TensorArgTypeES9_S9_EUllE0_EEvNS0_6detail10TensorInfoIT_T1_EESF_NSC_IKS6_SE_EElS8_S8_SE_T6_.num_agpr, 0
	.set _ZN2at4cuda17kernelHistogram1DIfilLi1ELi2ELin1ELNS0_23CUDAHistogramMemoryTypeE1EZNS0_21CUDA_tensor_histogramIfiLb1EEEbNS_6TensorES4_S4_lNS_14AccumulateTypeIT0_Lb1EE4typeES8_NS0_13TensorArgTypeES9_S9_EUllE0_EEvNS0_6detail10TensorInfoIT_T1_EESF_NSC_IKS6_SE_EElS8_S8_SE_T6_.numbered_sgpr, 47
	.set _ZN2at4cuda17kernelHistogram1DIfilLi1ELi2ELin1ELNS0_23CUDAHistogramMemoryTypeE1EZNS0_21CUDA_tensor_histogramIfiLb1EEEbNS_6TensorES4_S4_lNS_14AccumulateTypeIT0_Lb1EE4typeES8_NS0_13TensorArgTypeES9_S9_EUllE0_EEvNS0_6detail10TensorInfoIT_T1_EESF_NSC_IKS6_SE_EElS8_S8_SE_T6_.num_named_barrier, 0
	.set _ZN2at4cuda17kernelHistogram1DIfilLi1ELi2ELin1ELNS0_23CUDAHistogramMemoryTypeE1EZNS0_21CUDA_tensor_histogramIfiLb1EEEbNS_6TensorES4_S4_lNS_14AccumulateTypeIT0_Lb1EE4typeES8_NS0_13TensorArgTypeES9_S9_EUllE0_EEvNS0_6detail10TensorInfoIT_T1_EESF_NSC_IKS6_SE_EElS8_S8_SE_T6_.private_seg_size, 0
	.set _ZN2at4cuda17kernelHistogram1DIfilLi1ELi2ELin1ELNS0_23CUDAHistogramMemoryTypeE1EZNS0_21CUDA_tensor_histogramIfiLb1EEEbNS_6TensorES4_S4_lNS_14AccumulateTypeIT0_Lb1EE4typeES8_NS0_13TensorArgTypeES9_S9_EUllE0_EEvNS0_6detail10TensorInfoIT_T1_EESF_NSC_IKS6_SE_EElS8_S8_SE_T6_.uses_vcc, 1
	.set _ZN2at4cuda17kernelHistogram1DIfilLi1ELi2ELin1ELNS0_23CUDAHistogramMemoryTypeE1EZNS0_21CUDA_tensor_histogramIfiLb1EEEbNS_6TensorES4_S4_lNS_14AccumulateTypeIT0_Lb1EE4typeES8_NS0_13TensorArgTypeES9_S9_EUllE0_EEvNS0_6detail10TensorInfoIT_T1_EESF_NSC_IKS6_SE_EElS8_S8_SE_T6_.uses_flat_scratch, 0
	.set _ZN2at4cuda17kernelHistogram1DIfilLi1ELi2ELin1ELNS0_23CUDAHistogramMemoryTypeE1EZNS0_21CUDA_tensor_histogramIfiLb1EEEbNS_6TensorES4_S4_lNS_14AccumulateTypeIT0_Lb1EE4typeES8_NS0_13TensorArgTypeES9_S9_EUllE0_EEvNS0_6detail10TensorInfoIT_T1_EESF_NSC_IKS6_SE_EElS8_S8_SE_T6_.has_dyn_sized_stack, 0
	.set _ZN2at4cuda17kernelHistogram1DIfilLi1ELi2ELin1ELNS0_23CUDAHistogramMemoryTypeE1EZNS0_21CUDA_tensor_histogramIfiLb1EEEbNS_6TensorES4_S4_lNS_14AccumulateTypeIT0_Lb1EE4typeES8_NS0_13TensorArgTypeES9_S9_EUllE0_EEvNS0_6detail10TensorInfoIT_T1_EESF_NSC_IKS6_SE_EElS8_S8_SE_T6_.has_recursion, 0
	.set _ZN2at4cuda17kernelHistogram1DIfilLi1ELi2ELin1ELNS0_23CUDAHistogramMemoryTypeE1EZNS0_21CUDA_tensor_histogramIfiLb1EEEbNS_6TensorES4_S4_lNS_14AccumulateTypeIT0_Lb1EE4typeES8_NS0_13TensorArgTypeES9_S9_EUllE0_EEvNS0_6detail10TensorInfoIT_T1_EESF_NSC_IKS6_SE_EElS8_S8_SE_T6_.has_indirect_call, 0
	.section	.AMDGPU.csdata,"",@progbits
; Kernel info:
; codeLenInByte = 2116
; TotalNumSgprs: 51
; NumVgprs: 18
; ScratchSize: 0
; MemoryBound: 0
; FloatMode: 240
; IeeeMode: 1
; LDSByteSize: 0 bytes/workgroup (compile time only)
; SGPRBlocks: 6
; VGPRBlocks: 4
; NumSGPRsForWavesPerEU: 51
; NumVGPRsForWavesPerEU: 18
; Occupancy: 10
; WaveLimiterHint : 1
; COMPUTE_PGM_RSRC2:SCRATCH_EN: 0
; COMPUTE_PGM_RSRC2:USER_SGPR: 6
; COMPUTE_PGM_RSRC2:TRAP_HANDLER: 0
; COMPUTE_PGM_RSRC2:TGID_X_EN: 1
; COMPUTE_PGM_RSRC2:TGID_Y_EN: 0
; COMPUTE_PGM_RSRC2:TGID_Z_EN: 0
; COMPUTE_PGM_RSRC2:TIDIG_COMP_CNT: 0
	.section	.text._ZN2at4cuda17kernelHistogram1DIlilLi1ELi2ELin1ELNS0_23CUDAHistogramMemoryTypeE0EZNS0_21CUDA_tensor_histogramIliLb0EEEbNS_6TensorES4_S4_lNS_14AccumulateTypeIT0_Lb1EE4typeES8_NS0_13TensorArgTypeES9_S9_EUllE_EEvNS0_6detail10TensorInfoIT_T1_EESF_NSC_IKS6_SE_EElS8_S8_SE_T6_,"axG",@progbits,_ZN2at4cuda17kernelHistogram1DIlilLi1ELi2ELin1ELNS0_23CUDAHistogramMemoryTypeE0EZNS0_21CUDA_tensor_histogramIliLb0EEEbNS_6TensorES4_S4_lNS_14AccumulateTypeIT0_Lb1EE4typeES8_NS0_13TensorArgTypeES9_S9_EUllE_EEvNS0_6detail10TensorInfoIT_T1_EESF_NSC_IKS6_SE_EElS8_S8_SE_T6_,comdat
	.protected	_ZN2at4cuda17kernelHistogram1DIlilLi1ELi2ELin1ELNS0_23CUDAHistogramMemoryTypeE0EZNS0_21CUDA_tensor_histogramIliLb0EEEbNS_6TensorES4_S4_lNS_14AccumulateTypeIT0_Lb1EE4typeES8_NS0_13TensorArgTypeES9_S9_EUllE_EEvNS0_6detail10TensorInfoIT_T1_EESF_NSC_IKS6_SE_EElS8_S8_SE_T6_ ; -- Begin function _ZN2at4cuda17kernelHistogram1DIlilLi1ELi2ELin1ELNS0_23CUDAHistogramMemoryTypeE0EZNS0_21CUDA_tensor_histogramIliLb0EEEbNS_6TensorES4_S4_lNS_14AccumulateTypeIT0_Lb1EE4typeES8_NS0_13TensorArgTypeES9_S9_EUllE_EEvNS0_6detail10TensorInfoIT_T1_EESF_NSC_IKS6_SE_EElS8_S8_SE_T6_
	.globl	_ZN2at4cuda17kernelHistogram1DIlilLi1ELi2ELin1ELNS0_23CUDAHistogramMemoryTypeE0EZNS0_21CUDA_tensor_histogramIliLb0EEEbNS_6TensorES4_S4_lNS_14AccumulateTypeIT0_Lb1EE4typeES8_NS0_13TensorArgTypeES9_S9_EUllE_EEvNS0_6detail10TensorInfoIT_T1_EESF_NSC_IKS6_SE_EElS8_S8_SE_T6_
	.p2align	8
	.type	_ZN2at4cuda17kernelHistogram1DIlilLi1ELi2ELin1ELNS0_23CUDAHistogramMemoryTypeE0EZNS0_21CUDA_tensor_histogramIliLb0EEEbNS_6TensorES4_S4_lNS_14AccumulateTypeIT0_Lb1EE4typeES8_NS0_13TensorArgTypeES9_S9_EUllE_EEvNS0_6detail10TensorInfoIT_T1_EESF_NSC_IKS6_SE_EElS8_S8_SE_T6_,@function
_ZN2at4cuda17kernelHistogram1DIlilLi1ELi2ELin1ELNS0_23CUDAHistogramMemoryTypeE0EZNS0_21CUDA_tensor_histogramIliLb0EEEbNS_6TensorES4_S4_lNS_14AccumulateTypeIT0_Lb1EE4typeES8_NS0_13TensorArgTypeES9_S9_EUllE_EEvNS0_6detail10TensorInfoIT_T1_EESF_NSC_IKS6_SE_EElS8_S8_SE_T6_: ; @_ZN2at4cuda17kernelHistogram1DIlilLi1ELi2ELin1ELNS0_23CUDAHistogramMemoryTypeE0EZNS0_21CUDA_tensor_histogramIliLb0EEEbNS_6TensorES4_S4_lNS_14AccumulateTypeIT0_Lb1EE4typeES8_NS0_13TensorArgTypeES9_S9_EUllE_EEvNS0_6detail10TensorInfoIT_T1_EESF_NSC_IKS6_SE_EElS8_S8_SE_T6_
; %bb.0:
	s_load_dwordx4 s[16:19], s[4:5], 0x0
	s_load_dwordx2 s[20:21], s[4:5], 0x500
	s_load_dwordx8 s[8:15], s[4:5], 0x4e0
	v_mov_b32_e32 v1, 0
	s_add_u32 s2, s4, 0x6a0
	s_waitcnt lgkmcnt(0)
	v_cmp_gt_i64_e64 s[0:1], s[18:19], v[0:1]
	v_cmp_le_i64_e32 vcc, s[18:19], v[0:1]
	s_addc_u32 s3, s5, 0
                                        ; implicit-def: $sgpr7
                                        ; implicit-def: $sgpr28
	s_and_saveexec_b64 s[22:23], vcc
	s_xor_b64 s[22:23], exec, s[22:23]
	s_cbranch_execz .LBB28_2
; %bb.1:
	s_load_dword s7, s[2:3], 0xc
	s_waitcnt lgkmcnt(0)
	s_and_b32 s28, s7, 0xffff
.LBB28_2:
	s_or_saveexec_b64 s[26:27], s[22:23]
	s_load_dwordx2 s[22:23], s[4:5], 0xd0
	s_load_dwordx2 s[24:25], s[4:5], 0x5d0
	v_mov_b32_e32 v14, s7
	v_mov_b32_e32 v13, s28
	v_lshl_add_u32 v12, v0, 3, 0
	s_xor_b64 exec, exec, s[26:27]
	s_cbranch_execz .LBB28_6
; %bb.3:
	s_load_dword s7, s[2:3], 0xc
	v_mov_b32_e32 v2, 0
	v_mov_b32_e32 v5, v1
	v_lshl_add_u32 v6, v0, 3, 0
	s_mov_b64 s[28:29], 0
	s_waitcnt lgkmcnt(0)
	s_and_b32 s30, s7, 0xffff
	v_mov_b32_e32 v3, v2
	s_lshl_b32 s31, s30, 3
	v_mov_b32_e32 v4, v0
.LBB28_4:                               ; =>This Inner Loop Header: Depth=1
	v_add_co_u32_e32 v4, vcc, s30, v4
	v_addc_co_u32_e32 v5, vcc, 0, v5, vcc
	v_cmp_le_i64_e32 vcc, s[18:19], v[4:5]
	ds_write_b64 v6, v[2:3]
	s_or_b64 s[28:29], vcc, s[28:29]
	v_add_u32_e32 v6, s31, v6
	s_andn2_b64 exec, exec, s[28:29]
	s_cbranch_execnz .LBB28_4
; %bb.5:
	s_or_b64 exec, exec, s[28:29]
	v_mov_b32_e32 v14, s7
	v_mov_b32_e32 v13, s30
.LBB28_6:
	s_or_b64 exec, exec, s[26:27]
	v_mad_u64_u32 v[2:3], s[6:7], s6, v13, v[0:1]
	v_mov_b32_e32 v4, 0
	v_mov_b32_e32 v3, v4
	v_cmp_gt_i64_e32 vcc, s[14:15], v[2:3]
	s_waitcnt lgkmcnt(0)
	s_barrier
	s_and_saveexec_b64 s[6:7], vcc
	s_cbranch_execz .LBB28_22
; %bb.7:
	s_load_dword s30, s[4:5], 0x4d8
	s_load_dwordx2 s[28:29], s[4:5], 0x340
	s_add_u32 s31, s4, 0x340
	s_addc_u32 s35, s5, 0
	s_load_dword s34, s[2:3], 0x0
	s_load_dwordx2 s[26:27], s[4:5], 0x410
	s_waitcnt lgkmcnt(0)
	s_cmp_gt_i32 s30, 1
	s_cselect_b64 s[2:3], -1, 0
	s_sub_u32 s33, s12, s10
	s_subb_u32 s46, s13, s11
	s_mov_b32 s5, 0
	s_add_i32 s4, s30, -1
	s_add_i32 s47, s30, 1
	s_lshl_b64 s[4:5], s[4:5], 3
	v_mul_lo_u32 v15, s34, v13
	s_add_u32 s4, s31, s4
	s_addc_u32 s5, s35, s5
	s_add_u32 s30, s4, 8
	v_cndmask_b32_e64 v5, 0, 1, s[2:3]
	s_addc_u32 s31, s5, 0
	s_mov_b64 s[34:35], 0
	v_cmp_ne_u32_e64 s[2:3], 1, v5
	s_branch .LBB28_10
.LBB28_8:                               ;   in Loop: Header=BB28_10 Depth=1
	s_or_b64 exec, exec, s[4:5]
	v_mul_lo_u32 v7, v3, s24
	v_mul_lo_u32 v9, v2, s25
	v_mad_u64_u32 v[5:6], s[4:5], v2, s24, 0
	v_add3_u32 v6, v6, v9, v7
	v_lshlrev_b64 v[5:6], 3, v[5:6]
	v_mov_b32_e32 v7, s21
	v_add_co_u32_e32 v5, vcc, s20, v5
	v_addc_co_u32_e32 v6, vcc, v7, v6, vcc
	global_load_dwordx2 v[5:6], v[5:6], off
	v_ashrrev_i32_e32 v9, 31, v8
	v_cmp_eq_u64_e32 vcc, s[8:9], v[8:9]
	v_subbrev_co_u32_e32 v7, vcc, 0, v8, vcc
	v_lshl_add_u32 v7, v7, 3, 0
	s_waitcnt vmcnt(0)
	ds_add_u64 v7, v[5:6]
.LBB28_9:                               ;   in Loop: Header=BB28_10 Depth=1
	s_or_b64 exec, exec, s[36:37]
	v_add_co_u32_e32 v2, vcc, v2, v15
	v_addc_co_u32_e32 v3, vcc, 0, v3, vcc
	v_cmp_le_i64_e32 vcc, s[14:15], v[2:3]
	s_or_b64 s[34:35], vcc, s[34:35]
	s_andn2_b64 exec, exec, s[34:35]
	s_cbranch_execz .LBB28_22
.LBB28_10:                              ; =>This Loop Header: Depth=1
                                        ;     Child Loop BB28_11 Depth 2
	v_mov_b32_e32 v6, 0
	v_mov_b32_e32 v9, v3
	;; [unrolled: 1-line block ×4, first 2 shown]
	s_and_b64 vcc, exec, s[2:3]
	s_mov_b64 s[36:37], s[30:31]
	s_mov_b32 s48, s47
	v_mov_b32_e32 v8, v2
	v_mov_b32_e32 v10, v2
	s_cbranch_vccnz .LBB28_17
.LBB28_11:                              ;   Parent Loop BB28_10 Depth=1
                                        ; =>  This Inner Loop Header: Depth=2
	s_load_dwordx2 s[38:39], s[36:37], 0x0
                                        ; implicit-def: $vgpr10_vgpr11
	s_waitcnt lgkmcnt(0)
	v_or_b32_e32 v5, s39, v9
	v_cmp_ne_u64_e32 vcc, 0, v[4:5]
	s_and_saveexec_b64 s[4:5], vcc
	s_xor_b64 s[40:41], exec, s[4:5]
	s_cbranch_execz .LBB28_13
; %bb.12:                               ;   in Loop: Header=BB28_11 Depth=2
	s_ashr_i32 s42, s39, 31
	s_add_u32 s4, s38, s42
	s_mov_b32 s43, s42
	s_addc_u32 s5, s39, s42
	s_xor_b64 s[44:45], s[4:5], s[42:43]
	v_cvt_f32_u32_e32 v5, s44
	v_cvt_f32_u32_e32 v10, s45
	s_sub_u32 s43, 0, s44
	s_subb_u32 s49, 0, s45
	v_mac_f32_e32 v5, 0x4f800000, v10
	v_rcp_f32_e32 v5, v5
	v_mul_f32_e32 v5, 0x5f7ffffc, v5
	v_mul_f32_e32 v10, 0x2f800000, v5
	v_trunc_f32_e32 v10, v10
	v_mac_f32_e32 v5, 0xcf800000, v10
	v_cvt_u32_f32_e32 v10, v10
	v_cvt_u32_f32_e32 v5, v5
	v_readfirstlane_b32 s50, v10
	v_readfirstlane_b32 s4, v5
	s_mul_i32 s5, s43, s50
	s_mul_hi_u32 s52, s43, s4
	s_mul_i32 s51, s49, s4
	s_add_i32 s5, s52, s5
	s_add_i32 s5, s5, s51
	s_mul_i32 s53, s43, s4
	s_mul_i32 s52, s4, s5
	s_mul_hi_u32 s54, s4, s53
	s_mul_hi_u32 s51, s4, s5
	s_add_u32 s52, s54, s52
	s_addc_u32 s51, 0, s51
	s_mul_hi_u32 s55, s50, s53
	s_mul_i32 s53, s50, s53
	s_add_u32 s52, s52, s53
	s_mul_hi_u32 s54, s50, s5
	s_addc_u32 s51, s51, s55
	s_addc_u32 s52, s54, 0
	s_mul_i32 s5, s50, s5
	s_add_u32 s5, s51, s5
	s_addc_u32 s51, 0, s52
	s_add_u32 s52, s4, s5
	s_cselect_b64 s[4:5], -1, 0
	s_cmp_lg_u64 s[4:5], 0
	s_addc_u32 s50, s50, s51
	s_mul_i32 s4, s43, s50
	s_mul_hi_u32 s5, s43, s52
	s_add_i32 s4, s5, s4
	s_mul_i32 s49, s49, s52
	s_add_i32 s4, s4, s49
	s_mul_i32 s43, s43, s52
	s_mul_hi_u32 s49, s50, s43
	s_mul_i32 s51, s50, s43
	s_mul_i32 s54, s52, s4
	s_mul_hi_u32 s43, s52, s43
	s_mul_hi_u32 s53, s52, s4
	s_add_u32 s43, s43, s54
	s_addc_u32 s53, 0, s53
	s_add_u32 s43, s43, s51
	s_mul_hi_u32 s5, s50, s4
	s_addc_u32 s43, s53, s49
	s_addc_u32 s5, s5, 0
	s_mul_i32 s4, s50, s4
	s_add_u32 s4, s43, s4
	s_addc_u32 s43, 0, s5
	s_add_u32 s49, s52, s4
	s_cselect_b64 s[4:5], -1, 0
	v_ashrrev_i32_e32 v5, 31, v9
	s_cmp_lg_u64 s[4:5], 0
	v_add_co_u32_e32 v10, vcc, v8, v5
	s_addc_u32 s43, s50, s43
	v_xor_b32_e32 v18, v10, v5
	v_mad_u64_u32 v[10:11], s[4:5], v18, s43, 0
	v_mul_hi_u32 v17, v18, s49
	v_addc_co_u32_e32 v16, vcc, v9, v5, vcc
	v_xor_b32_e32 v19, v16, v5
	v_add_co_u32_e32 v20, vcc, v17, v10
	v_addc_co_u32_e32 v21, vcc, 0, v11, vcc
	v_mad_u64_u32 v[10:11], s[4:5], v19, s49, 0
	v_mad_u64_u32 v[16:17], s[4:5], v19, s43, 0
	v_add_co_u32_e32 v10, vcc, v20, v10
	v_addc_co_u32_e32 v10, vcc, v21, v11, vcc
	v_addc_co_u32_e32 v11, vcc, 0, v17, vcc
	v_add_co_u32_e32 v16, vcc, v10, v16
	v_addc_co_u32_e32 v17, vcc, 0, v11, vcc
	v_mul_lo_u32 v20, s45, v16
	v_mul_lo_u32 v21, s44, v17
	v_mad_u64_u32 v[10:11], s[4:5], s44, v16, 0
	v_xor_b32_e32 v5, s42, v5
	v_add3_u32 v11, v11, v21, v20
	v_sub_u32_e32 v20, v19, v11
	v_mov_b32_e32 v21, s45
	v_sub_co_u32_e32 v10, vcc, v18, v10
	v_subb_co_u32_e64 v18, s[4:5], v20, v21, vcc
	v_subrev_co_u32_e64 v20, s[4:5], s44, v10
	v_subbrev_co_u32_e64 v18, s[4:5], 0, v18, s[4:5]
	v_cmp_le_u32_e64 s[4:5], s45, v18
	v_cndmask_b32_e64 v21, 0, -1, s[4:5]
	v_cmp_le_u32_e64 s[4:5], s44, v20
	v_cndmask_b32_e64 v20, 0, -1, s[4:5]
	v_cmp_eq_u32_e64 s[4:5], s45, v18
	v_cndmask_b32_e64 v18, v21, v20, s[4:5]
	v_add_co_u32_e64 v20, s[4:5], 2, v16
	v_subb_co_u32_e32 v11, vcc, v19, v11, vcc
	v_addc_co_u32_e64 v21, s[4:5], 0, v17, s[4:5]
	v_cmp_le_u32_e32 vcc, s45, v11
	v_add_co_u32_e64 v22, s[4:5], 1, v16
	v_cndmask_b32_e64 v19, 0, -1, vcc
	v_cmp_le_u32_e32 vcc, s44, v10
	v_addc_co_u32_e64 v23, s[4:5], 0, v17, s[4:5]
	v_cndmask_b32_e64 v10, 0, -1, vcc
	v_cmp_eq_u32_e32 vcc, s45, v11
	v_cmp_ne_u32_e64 s[4:5], 0, v18
	v_cndmask_b32_e32 v10, v19, v10, vcc
	v_cndmask_b32_e64 v18, v23, v21, s[4:5]
	v_cmp_ne_u32_e32 vcc, 0, v10
	v_cndmask_b32_e64 v11, v22, v20, s[4:5]
	v_cndmask_b32_e32 v10, v17, v18, vcc
	v_cndmask_b32_e32 v11, v16, v11, vcc
	v_xor_b32_e32 v16, v10, v5
	v_xor_b32_e32 v10, v11, v5
	v_sub_co_u32_e32 v10, vcc, v10, v5
	v_subb_co_u32_e32 v11, vcc, v16, v5, vcc
.LBB28_13:                              ;   in Loop: Header=BB28_11 Depth=2
	s_andn2_saveexec_b64 s[4:5], s[40:41]
	s_cbranch_execz .LBB28_15
; %bb.14:                               ;   in Loop: Header=BB28_11 Depth=2
	v_cvt_f32_u32_e32 v5, s38
	s_sub_i32 s40, 0, s38
	v_rcp_iflag_f32_e32 v5, v5
	v_mul_f32_e32 v5, 0x4f7ffffe, v5
	v_cvt_u32_f32_e32 v5, v5
	v_mul_lo_u32 v10, s40, v5
	v_mul_hi_u32 v10, v5, v10
	v_add_u32_e32 v5, v5, v10
	v_mul_hi_u32 v5, v8, v5
	v_mul_lo_u32 v10, v5, s38
	v_add_u32_e32 v11, 1, v5
	v_sub_u32_e32 v10, v8, v10
	v_subrev_u32_e32 v16, s38, v10
	v_cmp_le_u32_e32 vcc, s38, v10
	v_cndmask_b32_e32 v10, v10, v16, vcc
	v_cndmask_b32_e32 v5, v5, v11, vcc
	v_add_u32_e32 v11, 1, v5
	v_cmp_le_u32_e32 vcc, s38, v10
	v_cndmask_b32_e32 v10, v5, v11, vcc
	v_mov_b32_e32 v11, v4
.LBB28_15:                              ;   in Loop: Header=BB28_11 Depth=2
	s_or_b64 exec, exec, s[4:5]
	v_mul_lo_u32 v5, v11, s38
	v_mul_lo_u32 v18, v10, s39
	v_mad_u64_u32 v[16:17], s[4:5], v10, s38, 0
	s_load_dwordx2 s[4:5], s[36:37], 0xc8
	s_add_i32 s48, s48, -1
	v_add3_u32 v5, v17, v18, v5
	v_sub_co_u32_e32 v8, vcc, v8, v16
	v_subb_co_u32_e32 v5, vcc, v9, v5, vcc
	s_waitcnt lgkmcnt(0)
	v_mul_lo_u32 v5, s4, v5
	v_mul_lo_u32 v9, s5, v8
	v_mad_u64_u32 v[6:7], s[4:5], s4, v8, v[6:7]
	s_add_u32 s36, s36, -8
	s_addc_u32 s37, s37, -1
	s_cmp_gt_u32 s48, 2
	v_add3_u32 v7, v9, v7, v5
	s_cbranch_scc0 .LBB28_17
; %bb.16:                               ;   in Loop: Header=BB28_11 Depth=2
	v_mov_b32_e32 v8, v10
	v_mov_b32_e32 v9, v11
	s_branch .LBB28_11
.LBB28_17:                              ;   in Loop: Header=BB28_10 Depth=1
	v_mul_lo_u32 v5, s27, v10
	v_mul_lo_u32 v11, s26, v11
	v_mad_u64_u32 v[8:9], s[4:5], s26, v10, 0
	v_add3_u32 v9, v9, v11, v5
	v_lshlrev_b64 v[8:9], 2, v[8:9]
	v_mov_b32_e32 v5, s29
	v_add_co_u32_e32 v8, vcc, s28, v8
	v_addc_co_u32_e32 v9, vcc, v5, v9, vcc
	v_lshlrev_b64 v[5:6], 2, v[6:7]
	v_add_co_u32_e32 v5, vcc, v8, v5
	v_addc_co_u32_e32 v6, vcc, v9, v6, vcc
	global_load_dword v5, v[5:6], off
	s_waitcnt vmcnt(0)
	v_ashrrev_i32_e32 v6, 31, v5
	v_cmp_le_i64_e32 vcc, s[10:11], v[5:6]
	v_cmp_ge_i64_e64 s[4:5], s[12:13], v[5:6]
	s_and_b64 s[4:5], vcc, s[4:5]
	s_and_saveexec_b64 s[36:37], s[4:5]
	s_cbranch_execz .LBB28_9
; %bb.18:                               ;   in Loop: Header=BB28_10 Depth=1
	v_mov_b32_e32 v7, s11
	v_subrev_co_u32_e32 v5, vcc, s10, v5
	v_subb_co_u32_e32 v6, vcc, v6, v7, vcc
	v_mul_lo_u32 v8, v6, s8
	v_mul_lo_u32 v9, v5, s9
	v_mad_u64_u32 v[6:7], s[4:5], v5, s8, 0
	v_add3_u32 v7, v7, v9, v8
	v_or_b32_e32 v5, s46, v7
	v_cmp_ne_u64_e32 vcc, 0, v[4:5]
                                        ; implicit-def: $vgpr8_vgpr9
	s_and_saveexec_b64 s[4:5], vcc
	s_xor_b64 s[38:39], exec, s[4:5]
	s_cbranch_execz .LBB28_20
; %bb.19:                               ;   in Loop: Header=BB28_10 Depth=1
	s_ashr_i32 s40, s46, 31
	s_add_u32 s4, s33, s40
	s_mov_b32 s41, s40
	s_addc_u32 s5, s46, s40
	s_xor_b64 s[42:43], s[4:5], s[40:41]
	v_cvt_f32_u32_e32 v5, s42
	v_cvt_f32_u32_e32 v8, s43
	s_sub_u32 s41, 0, s42
	s_subb_u32 s44, 0, s43
	v_ashrrev_i32_e32 v9, 31, v7
	v_mac_f32_e32 v5, 0x4f800000, v8
	v_rcp_f32_e32 v5, v5
	v_mul_f32_e32 v5, 0x5f7ffffc, v5
	v_mul_f32_e32 v8, 0x2f800000, v5
	v_trunc_f32_e32 v8, v8
	v_mac_f32_e32 v5, 0xcf800000, v8
	v_cvt_u32_f32_e32 v8, v8
	v_cvt_u32_f32_e32 v5, v5
	v_readfirstlane_b32 s45, v8
	v_readfirstlane_b32 s4, v5
	s_mul_i32 s5, s41, s45
	s_mul_hi_u32 s49, s41, s4
	s_mul_i32 s48, s44, s4
	s_add_i32 s5, s49, s5
	s_add_i32 s5, s5, s48
	s_mul_i32 s50, s41, s4
	s_mul_i32 s49, s4, s5
	s_mul_hi_u32 s51, s4, s50
	s_mul_hi_u32 s48, s4, s5
	s_add_u32 s49, s51, s49
	s_addc_u32 s48, 0, s48
	s_mul_hi_u32 s52, s45, s50
	s_mul_i32 s50, s45, s50
	s_add_u32 s49, s49, s50
	s_mul_hi_u32 s51, s45, s5
	s_addc_u32 s48, s48, s52
	s_addc_u32 s49, s51, 0
	s_mul_i32 s5, s45, s5
	s_add_u32 s5, s48, s5
	s_addc_u32 s48, 0, s49
	s_add_u32 s49, s4, s5
	s_cselect_b64 s[4:5], -1, 0
	s_cmp_lg_u64 s[4:5], 0
	s_addc_u32 s45, s45, s48
	s_mul_i32 s4, s41, s45
	s_mul_hi_u32 s5, s41, s49
	s_add_i32 s4, s5, s4
	s_mul_i32 s44, s44, s49
	s_add_i32 s4, s4, s44
	s_mul_i32 s41, s41, s49
	s_mul_hi_u32 s44, s45, s41
	s_mul_i32 s48, s45, s41
	s_mul_i32 s51, s49, s4
	s_mul_hi_u32 s41, s49, s41
	s_mul_hi_u32 s50, s49, s4
	s_add_u32 s41, s41, s51
	s_addc_u32 s50, 0, s50
	s_add_u32 s41, s41, s48
	s_mul_hi_u32 s5, s45, s4
	s_addc_u32 s41, s50, s44
	s_addc_u32 s5, s5, 0
	s_mul_i32 s4, s45, s4
	s_add_u32 s4, s41, s4
	s_addc_u32 s41, 0, s5
	s_add_u32 s44, s49, s4
	s_cselect_b64 s[4:5], -1, 0
	s_cmp_lg_u64 s[4:5], 0
	v_add_co_u32_e32 v5, vcc, v6, v9
	s_addc_u32 s41, s45, s41
	v_xor_b32_e32 v10, v5, v9
	v_mad_u64_u32 v[5:6], s[4:5], v10, s41, 0
	v_mul_hi_u32 v8, v10, s44
	v_addc_co_u32_e32 v7, vcc, v7, v9, vcc
	v_xor_b32_e32 v11, v7, v9
	v_add_co_u32_e32 v16, vcc, v8, v5
	v_addc_co_u32_e32 v17, vcc, 0, v6, vcc
	v_mad_u64_u32 v[5:6], s[4:5], v11, s44, 0
	v_mad_u64_u32 v[7:8], s[4:5], v11, s41, 0
	v_add_co_u32_e32 v5, vcc, v16, v5
	v_addc_co_u32_e32 v5, vcc, v17, v6, vcc
	v_addc_co_u32_e32 v6, vcc, 0, v8, vcc
	v_add_co_u32_e32 v7, vcc, v5, v7
	v_addc_co_u32_e32 v5, vcc, 0, v6, vcc
	v_mul_lo_u32 v8, s43, v7
	v_mul_lo_u32 v16, s42, v5
	v_mad_u64_u32 v[5:6], s[4:5], s42, v7, 0
	v_add3_u32 v6, v6, v16, v8
	v_sub_u32_e32 v8, v11, v6
	v_mov_b32_e32 v16, s43
	v_sub_co_u32_e32 v5, vcc, v10, v5
	v_subb_co_u32_e64 v8, s[4:5], v8, v16, vcc
	v_subrev_co_u32_e64 v10, s[4:5], s42, v5
	v_subbrev_co_u32_e64 v8, s[4:5], 0, v8, s[4:5]
	v_cmp_le_u32_e64 s[4:5], s43, v8
	v_subb_co_u32_e32 v6, vcc, v11, v6, vcc
	v_cndmask_b32_e64 v16, 0, -1, s[4:5]
	v_cmp_le_u32_e64 s[4:5], s42, v10
	v_cmp_le_u32_e32 vcc, s43, v6
	v_cndmask_b32_e64 v10, 0, -1, s[4:5]
	v_cmp_eq_u32_e64 s[4:5], s43, v8
	v_cndmask_b32_e64 v11, 0, -1, vcc
	v_cmp_le_u32_e32 vcc, s42, v5
	v_cndmask_b32_e64 v8, v16, v10, s[4:5]
	v_cndmask_b32_e64 v5, 0, -1, vcc
	v_cmp_eq_u32_e32 vcc, s43, v6
	v_add_co_u32_e64 v10, s[4:5], 2, v7
	v_add_co_u32_e64 v16, s[4:5], 1, v7
	v_cndmask_b32_e32 v5, v11, v5, vcc
	v_cmp_ne_u32_e32 vcc, 0, v8
	v_cndmask_b32_e32 v6, v16, v10, vcc
	v_cmp_ne_u32_e32 vcc, 0, v5
	v_cndmask_b32_e32 v5, v7, v6, vcc
	v_xor_b32_e32 v6, s40, v9
	v_xor_b32_e32 v5, v5, v6
	v_sub_co_u32_e32 v8, vcc, v5, v6
                                        ; implicit-def: $vgpr6_vgpr7
.LBB28_20:                              ;   in Loop: Header=BB28_10 Depth=1
	s_andn2_saveexec_b64 s[4:5], s[38:39]
	s_cbranch_execz .LBB28_8
; %bb.21:                               ;   in Loop: Header=BB28_10 Depth=1
	v_cvt_f32_u32_e32 v5, s33
	s_sub_i32 s38, 0, s33
	v_rcp_iflag_f32_e32 v5, v5
	v_mul_f32_e32 v5, 0x4f7ffffe, v5
	v_cvt_u32_f32_e32 v5, v5
	v_mul_lo_u32 v7, s38, v5
	v_mul_hi_u32 v7, v5, v7
	v_add_u32_e32 v5, v5, v7
	v_mul_hi_u32 v5, v6, v5
	v_mul_lo_u32 v7, v5, s33
	v_add_u32_e32 v8, 1, v5
	v_sub_u32_e32 v6, v6, v7
	v_subrev_u32_e32 v7, s33, v6
	v_cmp_le_u32_e32 vcc, s33, v6
	v_cndmask_b32_e32 v6, v6, v7, vcc
	v_cndmask_b32_e32 v5, v5, v8, vcc
	v_add_u32_e32 v7, 1, v5
	v_cmp_le_u32_e32 vcc, s33, v6
	v_cndmask_b32_e32 v8, v5, v7, vcc
	s_branch .LBB28_8
.LBB28_22:
	s_or_b64 exec, exec, s[6:7]
; %bb.23:
	s_waitcnt lgkmcnt(0)
	s_barrier
	s_and_saveexec_b64 s[2:3], s[0:1]
	s_cbranch_execz .LBB28_26
; %bb.24:
	v_mad_u64_u32 v[2:3], s[0:1], s22, v0, 0
	v_and_b32_e32 v6, 0xffff, v14
	v_mov_b32_e32 v9, s17
	v_mad_u64_u32 v[3:4], s[0:1], s23, v0, v[3:4]
	v_mad_u64_u32 v[4:5], s[0:1], s22, v6, 0
	v_lshlrev_b64 v[2:3], 3, v[2:3]
	v_mad_u64_u32 v[7:8], s[0:1], s23, v6, v[5:6]
	v_add_co_u32_e32 v2, vcc, s16, v2
	v_mov_b32_e32 v5, v7
	v_lshlrev_b64 v[4:5], 3, v[4:5]
	v_addc_co_u32_e32 v3, vcc, v9, v3, vcc
	v_lshlrev_b32_e32 v7, 3, v13
	s_mov_b64 s[0:1], 0
.LBB28_25:                              ; =>This Inner Loop Header: Depth=1
	ds_read_b64 v[8:9], v12
	v_add_co_u32_e32 v0, vcc, v0, v6
	v_addc_co_u32_e32 v1, vcc, 0, v1, vcc
	s_waitcnt lgkmcnt(0)
	global_atomic_add_x2 v[2:3], v[8:9], off
	v_cmp_le_i64_e32 vcc, s[18:19], v[0:1]
	v_add_u32_e32 v12, v12, v7
	s_or_b64 s[0:1], vcc, s[0:1]
	v_add_co_u32_e32 v2, vcc, v2, v4
	v_addc_co_u32_e32 v3, vcc, v3, v5, vcc
	s_andn2_b64 exec, exec, s[0:1]
	s_cbranch_execnz .LBB28_25
.LBB28_26:
	s_endpgm
	.section	.rodata,"a",@progbits
	.p2align	6, 0x0
	.amdhsa_kernel _ZN2at4cuda17kernelHistogram1DIlilLi1ELi2ELin1ELNS0_23CUDAHistogramMemoryTypeE0EZNS0_21CUDA_tensor_histogramIliLb0EEEbNS_6TensorES4_S4_lNS_14AccumulateTypeIT0_Lb1EE4typeES8_NS0_13TensorArgTypeES9_S9_EUllE_EEvNS0_6detail10TensorInfoIT_T1_EESF_NSC_IKS6_SE_EElS8_S8_SE_T6_
		.amdhsa_group_segment_fixed_size 0
		.amdhsa_private_segment_fixed_size 0
		.amdhsa_kernarg_size 1952
		.amdhsa_user_sgpr_count 6
		.amdhsa_user_sgpr_private_segment_buffer 1
		.amdhsa_user_sgpr_dispatch_ptr 0
		.amdhsa_user_sgpr_queue_ptr 0
		.amdhsa_user_sgpr_kernarg_segment_ptr 1
		.amdhsa_user_sgpr_dispatch_id 0
		.amdhsa_user_sgpr_flat_scratch_init 0
		.amdhsa_user_sgpr_private_segment_size 0
		.amdhsa_uses_dynamic_stack 0
		.amdhsa_system_sgpr_private_segment_wavefront_offset 0
		.amdhsa_system_sgpr_workgroup_id_x 1
		.amdhsa_system_sgpr_workgroup_id_y 0
		.amdhsa_system_sgpr_workgroup_id_z 0
		.amdhsa_system_sgpr_workgroup_info 0
		.amdhsa_system_vgpr_workitem_id 0
		.amdhsa_next_free_vgpr 24
		.amdhsa_next_free_sgpr 56
		.amdhsa_reserve_vcc 1
		.amdhsa_reserve_flat_scratch 0
		.amdhsa_float_round_mode_32 0
		.amdhsa_float_round_mode_16_64 0
		.amdhsa_float_denorm_mode_32 3
		.amdhsa_float_denorm_mode_16_64 3
		.amdhsa_dx10_clamp 1
		.amdhsa_ieee_mode 1
		.amdhsa_fp16_overflow 0
		.amdhsa_exception_fp_ieee_invalid_op 0
		.amdhsa_exception_fp_denorm_src 0
		.amdhsa_exception_fp_ieee_div_zero 0
		.amdhsa_exception_fp_ieee_overflow 0
		.amdhsa_exception_fp_ieee_underflow 0
		.amdhsa_exception_fp_ieee_inexact 0
		.amdhsa_exception_int_div_zero 0
	.end_amdhsa_kernel
	.section	.text._ZN2at4cuda17kernelHistogram1DIlilLi1ELi2ELin1ELNS0_23CUDAHistogramMemoryTypeE0EZNS0_21CUDA_tensor_histogramIliLb0EEEbNS_6TensorES4_S4_lNS_14AccumulateTypeIT0_Lb1EE4typeES8_NS0_13TensorArgTypeES9_S9_EUllE_EEvNS0_6detail10TensorInfoIT_T1_EESF_NSC_IKS6_SE_EElS8_S8_SE_T6_,"axG",@progbits,_ZN2at4cuda17kernelHistogram1DIlilLi1ELi2ELin1ELNS0_23CUDAHistogramMemoryTypeE0EZNS0_21CUDA_tensor_histogramIliLb0EEEbNS_6TensorES4_S4_lNS_14AccumulateTypeIT0_Lb1EE4typeES8_NS0_13TensorArgTypeES9_S9_EUllE_EEvNS0_6detail10TensorInfoIT_T1_EESF_NSC_IKS6_SE_EElS8_S8_SE_T6_,comdat
.Lfunc_end28:
	.size	_ZN2at4cuda17kernelHistogram1DIlilLi1ELi2ELin1ELNS0_23CUDAHistogramMemoryTypeE0EZNS0_21CUDA_tensor_histogramIliLb0EEEbNS_6TensorES4_S4_lNS_14AccumulateTypeIT0_Lb1EE4typeES8_NS0_13TensorArgTypeES9_S9_EUllE_EEvNS0_6detail10TensorInfoIT_T1_EESF_NSC_IKS6_SE_EElS8_S8_SE_T6_, .Lfunc_end28-_ZN2at4cuda17kernelHistogram1DIlilLi1ELi2ELin1ELNS0_23CUDAHistogramMemoryTypeE0EZNS0_21CUDA_tensor_histogramIliLb0EEEbNS_6TensorES4_S4_lNS_14AccumulateTypeIT0_Lb1EE4typeES8_NS0_13TensorArgTypeES9_S9_EUllE_EEvNS0_6detail10TensorInfoIT_T1_EESF_NSC_IKS6_SE_EElS8_S8_SE_T6_
                                        ; -- End function
	.set _ZN2at4cuda17kernelHistogram1DIlilLi1ELi2ELin1ELNS0_23CUDAHistogramMemoryTypeE0EZNS0_21CUDA_tensor_histogramIliLb0EEEbNS_6TensorES4_S4_lNS_14AccumulateTypeIT0_Lb1EE4typeES8_NS0_13TensorArgTypeES9_S9_EUllE_EEvNS0_6detail10TensorInfoIT_T1_EESF_NSC_IKS6_SE_EElS8_S8_SE_T6_.num_vgpr, 24
	.set _ZN2at4cuda17kernelHistogram1DIlilLi1ELi2ELin1ELNS0_23CUDAHistogramMemoryTypeE0EZNS0_21CUDA_tensor_histogramIliLb0EEEbNS_6TensorES4_S4_lNS_14AccumulateTypeIT0_Lb1EE4typeES8_NS0_13TensorArgTypeES9_S9_EUllE_EEvNS0_6detail10TensorInfoIT_T1_EESF_NSC_IKS6_SE_EElS8_S8_SE_T6_.num_agpr, 0
	.set _ZN2at4cuda17kernelHistogram1DIlilLi1ELi2ELin1ELNS0_23CUDAHistogramMemoryTypeE0EZNS0_21CUDA_tensor_histogramIliLb0EEEbNS_6TensorES4_S4_lNS_14AccumulateTypeIT0_Lb1EE4typeES8_NS0_13TensorArgTypeES9_S9_EUllE_EEvNS0_6detail10TensorInfoIT_T1_EESF_NSC_IKS6_SE_EElS8_S8_SE_T6_.numbered_sgpr, 56
	.set _ZN2at4cuda17kernelHistogram1DIlilLi1ELi2ELin1ELNS0_23CUDAHistogramMemoryTypeE0EZNS0_21CUDA_tensor_histogramIliLb0EEEbNS_6TensorES4_S4_lNS_14AccumulateTypeIT0_Lb1EE4typeES8_NS0_13TensorArgTypeES9_S9_EUllE_EEvNS0_6detail10TensorInfoIT_T1_EESF_NSC_IKS6_SE_EElS8_S8_SE_T6_.num_named_barrier, 0
	.set _ZN2at4cuda17kernelHistogram1DIlilLi1ELi2ELin1ELNS0_23CUDAHistogramMemoryTypeE0EZNS0_21CUDA_tensor_histogramIliLb0EEEbNS_6TensorES4_S4_lNS_14AccumulateTypeIT0_Lb1EE4typeES8_NS0_13TensorArgTypeES9_S9_EUllE_EEvNS0_6detail10TensorInfoIT_T1_EESF_NSC_IKS6_SE_EElS8_S8_SE_T6_.private_seg_size, 0
	.set _ZN2at4cuda17kernelHistogram1DIlilLi1ELi2ELin1ELNS0_23CUDAHistogramMemoryTypeE0EZNS0_21CUDA_tensor_histogramIliLb0EEEbNS_6TensorES4_S4_lNS_14AccumulateTypeIT0_Lb1EE4typeES8_NS0_13TensorArgTypeES9_S9_EUllE_EEvNS0_6detail10TensorInfoIT_T1_EESF_NSC_IKS6_SE_EElS8_S8_SE_T6_.uses_vcc, 1
	.set _ZN2at4cuda17kernelHistogram1DIlilLi1ELi2ELin1ELNS0_23CUDAHistogramMemoryTypeE0EZNS0_21CUDA_tensor_histogramIliLb0EEEbNS_6TensorES4_S4_lNS_14AccumulateTypeIT0_Lb1EE4typeES8_NS0_13TensorArgTypeES9_S9_EUllE_EEvNS0_6detail10TensorInfoIT_T1_EESF_NSC_IKS6_SE_EElS8_S8_SE_T6_.uses_flat_scratch, 0
	.set _ZN2at4cuda17kernelHistogram1DIlilLi1ELi2ELin1ELNS0_23CUDAHistogramMemoryTypeE0EZNS0_21CUDA_tensor_histogramIliLb0EEEbNS_6TensorES4_S4_lNS_14AccumulateTypeIT0_Lb1EE4typeES8_NS0_13TensorArgTypeES9_S9_EUllE_EEvNS0_6detail10TensorInfoIT_T1_EESF_NSC_IKS6_SE_EElS8_S8_SE_T6_.has_dyn_sized_stack, 0
	.set _ZN2at4cuda17kernelHistogram1DIlilLi1ELi2ELin1ELNS0_23CUDAHistogramMemoryTypeE0EZNS0_21CUDA_tensor_histogramIliLb0EEEbNS_6TensorES4_S4_lNS_14AccumulateTypeIT0_Lb1EE4typeES8_NS0_13TensorArgTypeES9_S9_EUllE_EEvNS0_6detail10TensorInfoIT_T1_EESF_NSC_IKS6_SE_EElS8_S8_SE_T6_.has_recursion, 0
	.set _ZN2at4cuda17kernelHistogram1DIlilLi1ELi2ELin1ELNS0_23CUDAHistogramMemoryTypeE0EZNS0_21CUDA_tensor_histogramIliLb0EEEbNS_6TensorES4_S4_lNS_14AccumulateTypeIT0_Lb1EE4typeES8_NS0_13TensorArgTypeES9_S9_EUllE_EEvNS0_6detail10TensorInfoIT_T1_EESF_NSC_IKS6_SE_EElS8_S8_SE_T6_.has_indirect_call, 0
	.section	.AMDGPU.csdata,"",@progbits
; Kernel info:
; codeLenInByte = 2428
; TotalNumSgprs: 60
; NumVgprs: 24
; ScratchSize: 0
; MemoryBound: 0
; FloatMode: 240
; IeeeMode: 1
; LDSByteSize: 0 bytes/workgroup (compile time only)
; SGPRBlocks: 7
; VGPRBlocks: 5
; NumSGPRsForWavesPerEU: 60
; NumVGPRsForWavesPerEU: 24
; Occupancy: 10
; WaveLimiterHint : 1
; COMPUTE_PGM_RSRC2:SCRATCH_EN: 0
; COMPUTE_PGM_RSRC2:USER_SGPR: 6
; COMPUTE_PGM_RSRC2:TRAP_HANDLER: 0
; COMPUTE_PGM_RSRC2:TGID_X_EN: 1
; COMPUTE_PGM_RSRC2:TGID_Y_EN: 0
; COMPUTE_PGM_RSRC2:TGID_Z_EN: 0
; COMPUTE_PGM_RSRC2:TIDIG_COMP_CNT: 0
	.section	.text._ZN2at4cuda17kernelHistogram1DIlilLi1ELi2ELin1ELNS0_23CUDAHistogramMemoryTypeE1EZNS0_21CUDA_tensor_histogramIliLb0EEEbNS_6TensorES4_S4_lNS_14AccumulateTypeIT0_Lb1EE4typeES8_NS0_13TensorArgTypeES9_S9_EUllE_EEvNS0_6detail10TensorInfoIT_T1_EESF_NSC_IKS6_SE_EElS8_S8_SE_T6_,"axG",@progbits,_ZN2at4cuda17kernelHistogram1DIlilLi1ELi2ELin1ELNS0_23CUDAHistogramMemoryTypeE1EZNS0_21CUDA_tensor_histogramIliLb0EEEbNS_6TensorES4_S4_lNS_14AccumulateTypeIT0_Lb1EE4typeES8_NS0_13TensorArgTypeES9_S9_EUllE_EEvNS0_6detail10TensorInfoIT_T1_EESF_NSC_IKS6_SE_EElS8_S8_SE_T6_,comdat
	.protected	_ZN2at4cuda17kernelHistogram1DIlilLi1ELi2ELin1ELNS0_23CUDAHistogramMemoryTypeE1EZNS0_21CUDA_tensor_histogramIliLb0EEEbNS_6TensorES4_S4_lNS_14AccumulateTypeIT0_Lb1EE4typeES8_NS0_13TensorArgTypeES9_S9_EUllE_EEvNS0_6detail10TensorInfoIT_T1_EESF_NSC_IKS6_SE_EElS8_S8_SE_T6_ ; -- Begin function _ZN2at4cuda17kernelHistogram1DIlilLi1ELi2ELin1ELNS0_23CUDAHistogramMemoryTypeE1EZNS0_21CUDA_tensor_histogramIliLb0EEEbNS_6TensorES4_S4_lNS_14AccumulateTypeIT0_Lb1EE4typeES8_NS0_13TensorArgTypeES9_S9_EUllE_EEvNS0_6detail10TensorInfoIT_T1_EESF_NSC_IKS6_SE_EElS8_S8_SE_T6_
	.globl	_ZN2at4cuda17kernelHistogram1DIlilLi1ELi2ELin1ELNS0_23CUDAHistogramMemoryTypeE1EZNS0_21CUDA_tensor_histogramIliLb0EEEbNS_6TensorES4_S4_lNS_14AccumulateTypeIT0_Lb1EE4typeES8_NS0_13TensorArgTypeES9_S9_EUllE_EEvNS0_6detail10TensorInfoIT_T1_EESF_NSC_IKS6_SE_EElS8_S8_SE_T6_
	.p2align	8
	.type	_ZN2at4cuda17kernelHistogram1DIlilLi1ELi2ELin1ELNS0_23CUDAHistogramMemoryTypeE1EZNS0_21CUDA_tensor_histogramIliLb0EEEbNS_6TensorES4_S4_lNS_14AccumulateTypeIT0_Lb1EE4typeES8_NS0_13TensorArgTypeES9_S9_EUllE_EEvNS0_6detail10TensorInfoIT_T1_EESF_NSC_IKS6_SE_EElS8_S8_SE_T6_,@function
_ZN2at4cuda17kernelHistogram1DIlilLi1ELi2ELin1ELNS0_23CUDAHistogramMemoryTypeE1EZNS0_21CUDA_tensor_histogramIliLb0EEEbNS_6TensorES4_S4_lNS_14AccumulateTypeIT0_Lb1EE4typeES8_NS0_13TensorArgTypeES9_S9_EUllE_EEvNS0_6detail10TensorInfoIT_T1_EESF_NSC_IKS6_SE_EElS8_S8_SE_T6_: ; @_ZN2at4cuda17kernelHistogram1DIlilLi1ELi2ELin1ELNS0_23CUDAHistogramMemoryTypeE1EZNS0_21CUDA_tensor_histogramIliLb0EEEbNS_6TensorES4_S4_lNS_14AccumulateTypeIT0_Lb1EE4typeES8_NS0_13TensorArgTypeES9_S9_EUllE_EEvNS0_6detail10TensorInfoIT_T1_EESF_NSC_IKS6_SE_EElS8_S8_SE_T6_
; %bb.0:
	s_load_dword s2, s[4:5], 0x6ac
	s_load_dwordx8 s[8:15], s[4:5], 0x4e0
	s_add_u32 s0, s4, 0x6a0
	s_addc_u32 s1, s5, 0
	v_mov_b32_e32 v2, 0
	s_waitcnt lgkmcnt(0)
	s_and_b32 s2, s2, 0xffff
	s_mul_i32 s6, s6, s2
	v_add_u32_e32 v0, s6, v0
	v_mov_b32_e32 v1, v2
	v_cmp_gt_i64_e32 vcc, s[14:15], v[0:1]
	s_and_saveexec_b64 s[6:7], vcc
	s_cbranch_execz .LBB29_16
; %bb.1:
	s_load_dwordx2 s[6:7], s[4:5], 0x5d0
	s_load_dword s26, s[4:5], 0x4d8
	s_load_dwordx2 s[16:17], s[4:5], 0x500
	s_load_dword s3, s[0:1], 0x0
	s_add_u32 s27, s4, 0x340
	s_addc_u32 s28, s5, 0
	s_waitcnt lgkmcnt(0)
	s_cmp_gt_i32 s26, 1
	s_cselect_b64 s[0:1], -1, 0
	s_load_dwordx2 s[18:19], s[4:5], 0x0
	s_load_dwordx2 s[20:21], s[4:5], 0xd0
	;; [unrolled: 1-line block ×4, first 2 shown]
	s_sub_u32 s33, s12, s10
	s_subb_u32 s40, s13, s11
	s_mul_i32 s41, s3, s2
	s_mov_b32 s3, 0
	s_add_i32 s2, s26, -1
	s_add_i32 s42, s26, 1
	s_lshl_b64 s[2:3], s[2:3], 3
	s_add_u32 s2, s27, s2
	s_addc_u32 s3, s28, s3
	s_add_u32 s4, s2, 8
	v_cndmask_b32_e64 v3, 0, 1, s[0:1]
	s_addc_u32 s5, s3, 0
	s_mov_b64 s[26:27], 0
	v_cmp_ne_u32_e64 s[0:1], 1, v3
	s_branch .LBB29_4
.LBB29_2:                               ;   in Loop: Header=BB29_4 Depth=1
	s_or_b64 exec, exec, s[2:3]
	v_mul_lo_u32 v5, v1, s6
	v_mul_lo_u32 v7, v0, s7
	v_mad_u64_u32 v[3:4], s[2:3], v0, s6, 0
	v_add3_u32 v4, v4, v7, v5
	v_lshlrev_b64 v[3:4], 3, v[3:4]
	v_mov_b32_e32 v5, s17
	v_add_co_u32_e32 v3, vcc, s16, v3
	v_addc_co_u32_e32 v4, vcc, v5, v4, vcc
	global_load_dwordx2 v[3:4], v[3:4], off
	v_ashrrev_i32_e32 v7, 31, v6
	v_cmp_eq_u64_e32 vcc, s[8:9], v[6:7]
	v_cndmask_b32_e64 v5, 0, 1, vcc
	v_sub_co_u32_e32 v5, vcc, v6, v5
	v_subbrev_co_u32_e32 v6, vcc, 0, v7, vcc
	v_mul_lo_u32 v7, v6, s20
	v_mul_lo_u32 v8, v5, s21
	v_mad_u64_u32 v[5:6], s[2:3], v5, s20, 0
	v_add3_u32 v6, v6, v8, v7
	v_lshlrev_b64 v[5:6], 3, v[5:6]
	v_mov_b32_e32 v7, s19
	v_add_co_u32_e32 v5, vcc, s18, v5
	v_addc_co_u32_e32 v6, vcc, v7, v6, vcc
	s_waitcnt vmcnt(0)
	global_atomic_add_x2 v[5:6], v[3:4], off
.LBB29_3:                               ;   in Loop: Header=BB29_4 Depth=1
	s_or_b64 exec, exec, s[28:29]
	v_add_co_u32_e32 v0, vcc, s41, v0
	v_addc_co_u32_e32 v1, vcc, 0, v1, vcc
	v_cmp_le_i64_e32 vcc, s[14:15], v[0:1]
	s_or_b64 s[26:27], vcc, s[26:27]
	s_andn2_b64 exec, exec, s[26:27]
	s_cbranch_execz .LBB29_16
.LBB29_4:                               ; =>This Loop Header: Depth=1
                                        ;     Child Loop BB29_5 Depth 2
	v_mov_b32_e32 v4, 0
	v_mov_b32_e32 v7, v1
	;; [unrolled: 1-line block ×4, first 2 shown]
	s_and_b64 vcc, exec, s[0:1]
	s_mov_b64 s[28:29], s[4:5]
	s_mov_b32 s43, s42
	v_mov_b32_e32 v6, v0
	v_mov_b32_e32 v8, v0
	s_cbranch_vccnz .LBB29_11
.LBB29_5:                               ;   Parent Loop BB29_4 Depth=1
                                        ; =>  This Inner Loop Header: Depth=2
	s_load_dwordx2 s[30:31], s[28:29], 0x0
                                        ; implicit-def: $vgpr8_vgpr9
	s_waitcnt lgkmcnt(0)
	v_or_b32_e32 v3, s31, v7
	v_cmp_ne_u64_e32 vcc, 0, v[2:3]
	s_and_saveexec_b64 s[2:3], vcc
	s_xor_b64 s[34:35], exec, s[2:3]
	s_cbranch_execz .LBB29_7
; %bb.6:                                ;   in Loop: Header=BB29_5 Depth=2
	s_ashr_i32 s36, s31, 31
	s_add_u32 s2, s30, s36
	s_mov_b32 s37, s36
	s_addc_u32 s3, s31, s36
	s_xor_b64 s[38:39], s[2:3], s[36:37]
	v_cvt_f32_u32_e32 v3, s38
	v_cvt_f32_u32_e32 v8, s39
	s_sub_u32 s37, 0, s38
	s_subb_u32 s44, 0, s39
	v_mac_f32_e32 v3, 0x4f800000, v8
	v_rcp_f32_e32 v3, v3
	v_mul_f32_e32 v3, 0x5f7ffffc, v3
	v_mul_f32_e32 v8, 0x2f800000, v3
	v_trunc_f32_e32 v8, v8
	v_mac_f32_e32 v3, 0xcf800000, v8
	v_cvt_u32_f32_e32 v8, v8
	v_cvt_u32_f32_e32 v3, v3
	v_readfirstlane_b32 s45, v8
	v_readfirstlane_b32 s2, v3
	s_mul_i32 s3, s37, s45
	s_mul_hi_u32 s47, s37, s2
	s_mul_i32 s46, s44, s2
	s_add_i32 s3, s47, s3
	s_add_i32 s3, s3, s46
	s_mul_i32 s48, s37, s2
	s_mul_i32 s47, s2, s3
	s_mul_hi_u32 s49, s2, s48
	s_mul_hi_u32 s46, s2, s3
	s_add_u32 s47, s49, s47
	s_addc_u32 s46, 0, s46
	s_mul_hi_u32 s50, s45, s48
	s_mul_i32 s48, s45, s48
	s_add_u32 s47, s47, s48
	s_mul_hi_u32 s49, s45, s3
	s_addc_u32 s46, s46, s50
	s_addc_u32 s47, s49, 0
	s_mul_i32 s3, s45, s3
	s_add_u32 s3, s46, s3
	s_addc_u32 s46, 0, s47
	s_add_u32 s47, s2, s3
	s_cselect_b64 s[2:3], -1, 0
	s_cmp_lg_u64 s[2:3], 0
	s_addc_u32 s45, s45, s46
	s_mul_i32 s2, s37, s45
	s_mul_hi_u32 s3, s37, s47
	s_add_i32 s2, s3, s2
	s_mul_i32 s44, s44, s47
	s_add_i32 s2, s2, s44
	s_mul_i32 s37, s37, s47
	s_mul_hi_u32 s44, s45, s37
	s_mul_i32 s46, s45, s37
	s_mul_i32 s49, s47, s2
	s_mul_hi_u32 s37, s47, s37
	s_mul_hi_u32 s48, s47, s2
	s_add_u32 s37, s37, s49
	s_addc_u32 s48, 0, s48
	s_add_u32 s37, s37, s46
	s_mul_hi_u32 s3, s45, s2
	s_addc_u32 s37, s48, s44
	s_addc_u32 s3, s3, 0
	s_mul_i32 s2, s45, s2
	s_add_u32 s2, s37, s2
	s_addc_u32 s37, 0, s3
	s_add_u32 s44, s47, s2
	s_cselect_b64 s[2:3], -1, 0
	v_ashrrev_i32_e32 v3, 31, v7
	s_cmp_lg_u64 s[2:3], 0
	v_add_co_u32_e32 v8, vcc, v6, v3
	s_addc_u32 s37, s45, s37
	v_xor_b32_e32 v12, v8, v3
	v_mad_u64_u32 v[8:9], s[2:3], v12, s37, 0
	v_mul_hi_u32 v11, v12, s44
	v_addc_co_u32_e32 v10, vcc, v7, v3, vcc
	v_xor_b32_e32 v13, v10, v3
	v_add_co_u32_e32 v14, vcc, v11, v8
	v_addc_co_u32_e32 v15, vcc, 0, v9, vcc
	v_mad_u64_u32 v[8:9], s[2:3], v13, s44, 0
	v_mad_u64_u32 v[10:11], s[2:3], v13, s37, 0
	v_add_co_u32_e32 v8, vcc, v14, v8
	v_addc_co_u32_e32 v8, vcc, v15, v9, vcc
	v_addc_co_u32_e32 v9, vcc, 0, v11, vcc
	v_add_co_u32_e32 v10, vcc, v8, v10
	v_addc_co_u32_e32 v11, vcc, 0, v9, vcc
	v_mul_lo_u32 v14, s39, v10
	v_mul_lo_u32 v15, s38, v11
	v_mad_u64_u32 v[8:9], s[2:3], s38, v10, 0
	v_xor_b32_e32 v3, s36, v3
	v_add3_u32 v9, v9, v15, v14
	v_sub_u32_e32 v14, v13, v9
	v_mov_b32_e32 v15, s39
	v_sub_co_u32_e32 v8, vcc, v12, v8
	v_subb_co_u32_e64 v12, s[2:3], v14, v15, vcc
	v_subrev_co_u32_e64 v14, s[2:3], s38, v8
	v_subbrev_co_u32_e64 v12, s[2:3], 0, v12, s[2:3]
	v_cmp_le_u32_e64 s[2:3], s39, v12
	v_cndmask_b32_e64 v15, 0, -1, s[2:3]
	v_cmp_le_u32_e64 s[2:3], s38, v14
	v_cndmask_b32_e64 v14, 0, -1, s[2:3]
	v_cmp_eq_u32_e64 s[2:3], s39, v12
	v_cndmask_b32_e64 v12, v15, v14, s[2:3]
	v_add_co_u32_e64 v14, s[2:3], 2, v10
	v_subb_co_u32_e32 v9, vcc, v13, v9, vcc
	v_addc_co_u32_e64 v15, s[2:3], 0, v11, s[2:3]
	v_cmp_le_u32_e32 vcc, s39, v9
	v_add_co_u32_e64 v16, s[2:3], 1, v10
	v_cndmask_b32_e64 v13, 0, -1, vcc
	v_cmp_le_u32_e32 vcc, s38, v8
	v_addc_co_u32_e64 v17, s[2:3], 0, v11, s[2:3]
	v_cndmask_b32_e64 v8, 0, -1, vcc
	v_cmp_eq_u32_e32 vcc, s39, v9
	v_cmp_ne_u32_e64 s[2:3], 0, v12
	v_cndmask_b32_e32 v8, v13, v8, vcc
	v_cndmask_b32_e64 v12, v17, v15, s[2:3]
	v_cmp_ne_u32_e32 vcc, 0, v8
	v_cndmask_b32_e64 v9, v16, v14, s[2:3]
	v_cndmask_b32_e32 v8, v11, v12, vcc
	v_cndmask_b32_e32 v9, v10, v9, vcc
	v_xor_b32_e32 v10, v8, v3
	v_xor_b32_e32 v8, v9, v3
	v_sub_co_u32_e32 v8, vcc, v8, v3
	v_subb_co_u32_e32 v9, vcc, v10, v3, vcc
.LBB29_7:                               ;   in Loop: Header=BB29_5 Depth=2
	s_andn2_saveexec_b64 s[2:3], s[34:35]
	s_cbranch_execz .LBB29_9
; %bb.8:                                ;   in Loop: Header=BB29_5 Depth=2
	v_cvt_f32_u32_e32 v3, s30
	s_sub_i32 s34, 0, s30
	v_rcp_iflag_f32_e32 v3, v3
	v_mul_f32_e32 v3, 0x4f7ffffe, v3
	v_cvt_u32_f32_e32 v3, v3
	v_mul_lo_u32 v8, s34, v3
	v_mul_hi_u32 v8, v3, v8
	v_add_u32_e32 v3, v3, v8
	v_mul_hi_u32 v3, v6, v3
	v_mul_lo_u32 v8, v3, s30
	v_add_u32_e32 v9, 1, v3
	v_sub_u32_e32 v8, v6, v8
	v_subrev_u32_e32 v10, s30, v8
	v_cmp_le_u32_e32 vcc, s30, v8
	v_cndmask_b32_e32 v8, v8, v10, vcc
	v_cndmask_b32_e32 v3, v3, v9, vcc
	v_add_u32_e32 v9, 1, v3
	v_cmp_le_u32_e32 vcc, s30, v8
	v_cndmask_b32_e32 v8, v3, v9, vcc
	v_mov_b32_e32 v9, v2
.LBB29_9:                               ;   in Loop: Header=BB29_5 Depth=2
	s_or_b64 exec, exec, s[2:3]
	v_mul_lo_u32 v3, v9, s30
	v_mul_lo_u32 v12, v8, s31
	v_mad_u64_u32 v[10:11], s[2:3], v8, s30, 0
	s_load_dwordx2 s[2:3], s[28:29], 0xc8
	s_add_i32 s43, s43, -1
	v_add3_u32 v3, v11, v12, v3
	v_sub_co_u32_e32 v6, vcc, v6, v10
	v_subb_co_u32_e32 v3, vcc, v7, v3, vcc
	s_waitcnt lgkmcnt(0)
	v_mul_lo_u32 v3, s2, v3
	v_mul_lo_u32 v7, s3, v6
	v_mad_u64_u32 v[4:5], s[2:3], s2, v6, v[4:5]
	s_add_u32 s28, s28, -8
	s_addc_u32 s29, s29, -1
	s_cmp_gt_u32 s43, 2
	v_add3_u32 v5, v7, v5, v3
	s_cbranch_scc0 .LBB29_11
; %bb.10:                               ;   in Loop: Header=BB29_5 Depth=2
	v_mov_b32_e32 v6, v8
	v_mov_b32_e32 v7, v9
	s_branch .LBB29_5
.LBB29_11:                              ;   in Loop: Header=BB29_4 Depth=1
	s_waitcnt lgkmcnt(0)
	v_mul_lo_u32 v3, s23, v8
	v_mul_lo_u32 v9, s22, v9
	v_mad_u64_u32 v[6:7], s[2:3], s22, v8, 0
	v_add3_u32 v7, v7, v9, v3
	v_lshlrev_b64 v[6:7], 2, v[6:7]
	v_mov_b32_e32 v3, s25
	v_add_co_u32_e32 v6, vcc, s24, v6
	v_addc_co_u32_e32 v7, vcc, v3, v7, vcc
	v_lshlrev_b64 v[3:4], 2, v[4:5]
	v_add_co_u32_e32 v3, vcc, v6, v3
	v_addc_co_u32_e32 v4, vcc, v7, v4, vcc
	global_load_dword v3, v[3:4], off
	s_waitcnt vmcnt(0)
	v_ashrrev_i32_e32 v4, 31, v3
	v_cmp_le_i64_e32 vcc, s[10:11], v[3:4]
	v_cmp_ge_i64_e64 s[2:3], s[12:13], v[3:4]
	s_and_b64 s[2:3], vcc, s[2:3]
	s_and_saveexec_b64 s[28:29], s[2:3]
	s_cbranch_execz .LBB29_3
; %bb.12:                               ;   in Loop: Header=BB29_4 Depth=1
	v_mov_b32_e32 v5, s11
	v_subrev_co_u32_e32 v3, vcc, s10, v3
	v_subb_co_u32_e32 v4, vcc, v4, v5, vcc
	v_mul_lo_u32 v6, v4, s8
	v_mul_lo_u32 v7, v3, s9
	v_mad_u64_u32 v[4:5], s[2:3], v3, s8, 0
	v_add3_u32 v5, v5, v7, v6
	v_or_b32_e32 v3, s40, v5
	v_cmp_ne_u64_e32 vcc, 0, v[2:3]
                                        ; implicit-def: $vgpr6_vgpr7
	s_and_saveexec_b64 s[2:3], vcc
	s_xor_b64 s[30:31], exec, s[2:3]
	s_cbranch_execz .LBB29_14
; %bb.13:                               ;   in Loop: Header=BB29_4 Depth=1
	s_ashr_i32 s34, s40, 31
	s_add_u32 s2, s33, s34
	s_mov_b32 s35, s34
	s_addc_u32 s3, s40, s34
	s_xor_b64 s[36:37], s[2:3], s[34:35]
	v_cvt_f32_u32_e32 v3, s36
	v_cvt_f32_u32_e32 v6, s37
	s_sub_u32 s35, 0, s36
	s_subb_u32 s38, 0, s37
	v_ashrrev_i32_e32 v7, 31, v5
	v_mac_f32_e32 v3, 0x4f800000, v6
	v_rcp_f32_e32 v3, v3
	v_mul_f32_e32 v3, 0x5f7ffffc, v3
	v_mul_f32_e32 v6, 0x2f800000, v3
	v_trunc_f32_e32 v6, v6
	v_mac_f32_e32 v3, 0xcf800000, v6
	v_cvt_u32_f32_e32 v6, v6
	v_cvt_u32_f32_e32 v3, v3
	v_readfirstlane_b32 s39, v6
	v_readfirstlane_b32 s2, v3
	s_mul_i32 s3, s35, s39
	s_mul_hi_u32 s44, s35, s2
	s_mul_i32 s43, s38, s2
	s_add_i32 s3, s44, s3
	s_add_i32 s3, s3, s43
	s_mul_i32 s45, s35, s2
	s_mul_i32 s44, s2, s3
	s_mul_hi_u32 s46, s2, s45
	s_mul_hi_u32 s43, s2, s3
	s_add_u32 s44, s46, s44
	s_addc_u32 s43, 0, s43
	s_mul_hi_u32 s47, s39, s45
	s_mul_i32 s45, s39, s45
	s_add_u32 s44, s44, s45
	s_mul_hi_u32 s46, s39, s3
	s_addc_u32 s43, s43, s47
	s_addc_u32 s44, s46, 0
	s_mul_i32 s3, s39, s3
	s_add_u32 s3, s43, s3
	s_addc_u32 s43, 0, s44
	s_add_u32 s44, s2, s3
	s_cselect_b64 s[2:3], -1, 0
	s_cmp_lg_u64 s[2:3], 0
	s_addc_u32 s39, s39, s43
	s_mul_i32 s2, s35, s39
	s_mul_hi_u32 s3, s35, s44
	s_add_i32 s2, s3, s2
	s_mul_i32 s38, s38, s44
	s_add_i32 s2, s2, s38
	s_mul_i32 s35, s35, s44
	s_mul_hi_u32 s38, s39, s35
	s_mul_i32 s43, s39, s35
	s_mul_i32 s46, s44, s2
	s_mul_hi_u32 s35, s44, s35
	s_mul_hi_u32 s45, s44, s2
	s_add_u32 s35, s35, s46
	s_addc_u32 s45, 0, s45
	s_add_u32 s35, s35, s43
	s_mul_hi_u32 s3, s39, s2
	s_addc_u32 s35, s45, s38
	s_addc_u32 s3, s3, 0
	s_mul_i32 s2, s39, s2
	s_add_u32 s2, s35, s2
	s_addc_u32 s35, 0, s3
	s_add_u32 s38, s44, s2
	s_cselect_b64 s[2:3], -1, 0
	s_cmp_lg_u64 s[2:3], 0
	v_add_co_u32_e32 v3, vcc, v4, v7
	s_addc_u32 s35, s39, s35
	v_xor_b32_e32 v8, v3, v7
	v_mad_u64_u32 v[3:4], s[2:3], v8, s35, 0
	v_mul_hi_u32 v6, v8, s38
	v_addc_co_u32_e32 v5, vcc, v5, v7, vcc
	v_xor_b32_e32 v9, v5, v7
	v_add_co_u32_e32 v10, vcc, v6, v3
	v_addc_co_u32_e32 v11, vcc, 0, v4, vcc
	v_mad_u64_u32 v[3:4], s[2:3], v9, s38, 0
	v_mad_u64_u32 v[5:6], s[2:3], v9, s35, 0
	v_add_co_u32_e32 v3, vcc, v10, v3
	v_addc_co_u32_e32 v3, vcc, v11, v4, vcc
	v_addc_co_u32_e32 v4, vcc, 0, v6, vcc
	v_add_co_u32_e32 v5, vcc, v3, v5
	v_addc_co_u32_e32 v3, vcc, 0, v4, vcc
	v_mul_lo_u32 v6, s37, v5
	v_mul_lo_u32 v10, s36, v3
	v_mad_u64_u32 v[3:4], s[2:3], s36, v5, 0
	v_add3_u32 v4, v4, v10, v6
	v_sub_u32_e32 v6, v9, v4
	v_mov_b32_e32 v10, s37
	v_sub_co_u32_e32 v3, vcc, v8, v3
	v_subb_co_u32_e64 v6, s[2:3], v6, v10, vcc
	v_subrev_co_u32_e64 v8, s[2:3], s36, v3
	v_subbrev_co_u32_e64 v6, s[2:3], 0, v6, s[2:3]
	v_cmp_le_u32_e64 s[2:3], s37, v6
	v_subb_co_u32_e32 v4, vcc, v9, v4, vcc
	v_cndmask_b32_e64 v10, 0, -1, s[2:3]
	v_cmp_le_u32_e64 s[2:3], s36, v8
	v_cmp_le_u32_e32 vcc, s37, v4
	v_cndmask_b32_e64 v8, 0, -1, s[2:3]
	v_cmp_eq_u32_e64 s[2:3], s37, v6
	v_cndmask_b32_e64 v9, 0, -1, vcc
	v_cmp_le_u32_e32 vcc, s36, v3
	v_cndmask_b32_e64 v6, v10, v8, s[2:3]
	v_cndmask_b32_e64 v3, 0, -1, vcc
	v_cmp_eq_u32_e32 vcc, s37, v4
	v_add_co_u32_e64 v8, s[2:3], 2, v5
	v_add_co_u32_e64 v10, s[2:3], 1, v5
	v_cndmask_b32_e32 v3, v9, v3, vcc
	v_cmp_ne_u32_e32 vcc, 0, v6
	v_cndmask_b32_e32 v4, v10, v8, vcc
	v_cmp_ne_u32_e32 vcc, 0, v3
	v_cndmask_b32_e32 v3, v5, v4, vcc
	v_xor_b32_e32 v4, s34, v7
	v_xor_b32_e32 v3, v3, v4
	v_sub_co_u32_e32 v6, vcc, v3, v4
                                        ; implicit-def: $vgpr4_vgpr5
.LBB29_14:                              ;   in Loop: Header=BB29_4 Depth=1
	s_andn2_saveexec_b64 s[2:3], s[30:31]
	s_cbranch_execz .LBB29_2
; %bb.15:                               ;   in Loop: Header=BB29_4 Depth=1
	v_cvt_f32_u32_e32 v3, s33
	s_sub_i32 s30, 0, s33
	v_rcp_iflag_f32_e32 v3, v3
	v_mul_f32_e32 v3, 0x4f7ffffe, v3
	v_cvt_u32_f32_e32 v3, v3
	v_mul_lo_u32 v5, s30, v3
	v_mul_hi_u32 v5, v3, v5
	v_add_u32_e32 v3, v3, v5
	v_mul_hi_u32 v3, v4, v3
	v_mul_lo_u32 v5, v3, s33
	v_add_u32_e32 v6, 1, v3
	v_sub_u32_e32 v4, v4, v5
	v_subrev_u32_e32 v5, s33, v4
	v_cmp_le_u32_e32 vcc, s33, v4
	v_cndmask_b32_e32 v4, v4, v5, vcc
	v_cndmask_b32_e32 v3, v3, v6, vcc
	v_add_u32_e32 v5, 1, v3
	v_cmp_le_u32_e32 vcc, s33, v4
	v_cndmask_b32_e32 v6, v3, v5, vcc
	s_branch .LBB29_2
.LBB29_16:
	s_endpgm
	.section	.rodata,"a",@progbits
	.p2align	6, 0x0
	.amdhsa_kernel _ZN2at4cuda17kernelHistogram1DIlilLi1ELi2ELin1ELNS0_23CUDAHistogramMemoryTypeE1EZNS0_21CUDA_tensor_histogramIliLb0EEEbNS_6TensorES4_S4_lNS_14AccumulateTypeIT0_Lb1EE4typeES8_NS0_13TensorArgTypeES9_S9_EUllE_EEvNS0_6detail10TensorInfoIT_T1_EESF_NSC_IKS6_SE_EElS8_S8_SE_T6_
		.amdhsa_group_segment_fixed_size 0
		.amdhsa_private_segment_fixed_size 0
		.amdhsa_kernarg_size 1952
		.amdhsa_user_sgpr_count 6
		.amdhsa_user_sgpr_private_segment_buffer 1
		.amdhsa_user_sgpr_dispatch_ptr 0
		.amdhsa_user_sgpr_queue_ptr 0
		.amdhsa_user_sgpr_kernarg_segment_ptr 1
		.amdhsa_user_sgpr_dispatch_id 0
		.amdhsa_user_sgpr_flat_scratch_init 0
		.amdhsa_user_sgpr_private_segment_size 0
		.amdhsa_uses_dynamic_stack 0
		.amdhsa_system_sgpr_private_segment_wavefront_offset 0
		.amdhsa_system_sgpr_workgroup_id_x 1
		.amdhsa_system_sgpr_workgroup_id_y 0
		.amdhsa_system_sgpr_workgroup_id_z 0
		.amdhsa_system_sgpr_workgroup_info 0
		.amdhsa_system_vgpr_workitem_id 0
		.amdhsa_next_free_vgpr 18
		.amdhsa_next_free_sgpr 51
		.amdhsa_reserve_vcc 1
		.amdhsa_reserve_flat_scratch 0
		.amdhsa_float_round_mode_32 0
		.amdhsa_float_round_mode_16_64 0
		.amdhsa_float_denorm_mode_32 3
		.amdhsa_float_denorm_mode_16_64 3
		.amdhsa_dx10_clamp 1
		.amdhsa_ieee_mode 1
		.amdhsa_fp16_overflow 0
		.amdhsa_exception_fp_ieee_invalid_op 0
		.amdhsa_exception_fp_denorm_src 0
		.amdhsa_exception_fp_ieee_div_zero 0
		.amdhsa_exception_fp_ieee_overflow 0
		.amdhsa_exception_fp_ieee_underflow 0
		.amdhsa_exception_fp_ieee_inexact 0
		.amdhsa_exception_int_div_zero 0
	.end_amdhsa_kernel
	.section	.text._ZN2at4cuda17kernelHistogram1DIlilLi1ELi2ELin1ELNS0_23CUDAHistogramMemoryTypeE1EZNS0_21CUDA_tensor_histogramIliLb0EEEbNS_6TensorES4_S4_lNS_14AccumulateTypeIT0_Lb1EE4typeES8_NS0_13TensorArgTypeES9_S9_EUllE_EEvNS0_6detail10TensorInfoIT_T1_EESF_NSC_IKS6_SE_EElS8_S8_SE_T6_,"axG",@progbits,_ZN2at4cuda17kernelHistogram1DIlilLi1ELi2ELin1ELNS0_23CUDAHistogramMemoryTypeE1EZNS0_21CUDA_tensor_histogramIliLb0EEEbNS_6TensorES4_S4_lNS_14AccumulateTypeIT0_Lb1EE4typeES8_NS0_13TensorArgTypeES9_S9_EUllE_EEvNS0_6detail10TensorInfoIT_T1_EESF_NSC_IKS6_SE_EElS8_S8_SE_T6_,comdat
.Lfunc_end29:
	.size	_ZN2at4cuda17kernelHistogram1DIlilLi1ELi2ELin1ELNS0_23CUDAHistogramMemoryTypeE1EZNS0_21CUDA_tensor_histogramIliLb0EEEbNS_6TensorES4_S4_lNS_14AccumulateTypeIT0_Lb1EE4typeES8_NS0_13TensorArgTypeES9_S9_EUllE_EEvNS0_6detail10TensorInfoIT_T1_EESF_NSC_IKS6_SE_EElS8_S8_SE_T6_, .Lfunc_end29-_ZN2at4cuda17kernelHistogram1DIlilLi1ELi2ELin1ELNS0_23CUDAHistogramMemoryTypeE1EZNS0_21CUDA_tensor_histogramIliLb0EEEbNS_6TensorES4_S4_lNS_14AccumulateTypeIT0_Lb1EE4typeES8_NS0_13TensorArgTypeES9_S9_EUllE_EEvNS0_6detail10TensorInfoIT_T1_EESF_NSC_IKS6_SE_EElS8_S8_SE_T6_
                                        ; -- End function
	.set _ZN2at4cuda17kernelHistogram1DIlilLi1ELi2ELin1ELNS0_23CUDAHistogramMemoryTypeE1EZNS0_21CUDA_tensor_histogramIliLb0EEEbNS_6TensorES4_S4_lNS_14AccumulateTypeIT0_Lb1EE4typeES8_NS0_13TensorArgTypeES9_S9_EUllE_EEvNS0_6detail10TensorInfoIT_T1_EESF_NSC_IKS6_SE_EElS8_S8_SE_T6_.num_vgpr, 18
	.set _ZN2at4cuda17kernelHistogram1DIlilLi1ELi2ELin1ELNS0_23CUDAHistogramMemoryTypeE1EZNS0_21CUDA_tensor_histogramIliLb0EEEbNS_6TensorES4_S4_lNS_14AccumulateTypeIT0_Lb1EE4typeES8_NS0_13TensorArgTypeES9_S9_EUllE_EEvNS0_6detail10TensorInfoIT_T1_EESF_NSC_IKS6_SE_EElS8_S8_SE_T6_.num_agpr, 0
	.set _ZN2at4cuda17kernelHistogram1DIlilLi1ELi2ELin1ELNS0_23CUDAHistogramMemoryTypeE1EZNS0_21CUDA_tensor_histogramIliLb0EEEbNS_6TensorES4_S4_lNS_14AccumulateTypeIT0_Lb1EE4typeES8_NS0_13TensorArgTypeES9_S9_EUllE_EEvNS0_6detail10TensorInfoIT_T1_EESF_NSC_IKS6_SE_EElS8_S8_SE_T6_.numbered_sgpr, 51
	.set _ZN2at4cuda17kernelHistogram1DIlilLi1ELi2ELin1ELNS0_23CUDAHistogramMemoryTypeE1EZNS0_21CUDA_tensor_histogramIliLb0EEEbNS_6TensorES4_S4_lNS_14AccumulateTypeIT0_Lb1EE4typeES8_NS0_13TensorArgTypeES9_S9_EUllE_EEvNS0_6detail10TensorInfoIT_T1_EESF_NSC_IKS6_SE_EElS8_S8_SE_T6_.num_named_barrier, 0
	.set _ZN2at4cuda17kernelHistogram1DIlilLi1ELi2ELin1ELNS0_23CUDAHistogramMemoryTypeE1EZNS0_21CUDA_tensor_histogramIliLb0EEEbNS_6TensorES4_S4_lNS_14AccumulateTypeIT0_Lb1EE4typeES8_NS0_13TensorArgTypeES9_S9_EUllE_EEvNS0_6detail10TensorInfoIT_T1_EESF_NSC_IKS6_SE_EElS8_S8_SE_T6_.private_seg_size, 0
	.set _ZN2at4cuda17kernelHistogram1DIlilLi1ELi2ELin1ELNS0_23CUDAHistogramMemoryTypeE1EZNS0_21CUDA_tensor_histogramIliLb0EEEbNS_6TensorES4_S4_lNS_14AccumulateTypeIT0_Lb1EE4typeES8_NS0_13TensorArgTypeES9_S9_EUllE_EEvNS0_6detail10TensorInfoIT_T1_EESF_NSC_IKS6_SE_EElS8_S8_SE_T6_.uses_vcc, 1
	.set _ZN2at4cuda17kernelHistogram1DIlilLi1ELi2ELin1ELNS0_23CUDAHistogramMemoryTypeE1EZNS0_21CUDA_tensor_histogramIliLb0EEEbNS_6TensorES4_S4_lNS_14AccumulateTypeIT0_Lb1EE4typeES8_NS0_13TensorArgTypeES9_S9_EUllE_EEvNS0_6detail10TensorInfoIT_T1_EESF_NSC_IKS6_SE_EElS8_S8_SE_T6_.uses_flat_scratch, 0
	.set _ZN2at4cuda17kernelHistogram1DIlilLi1ELi2ELin1ELNS0_23CUDAHistogramMemoryTypeE1EZNS0_21CUDA_tensor_histogramIliLb0EEEbNS_6TensorES4_S4_lNS_14AccumulateTypeIT0_Lb1EE4typeES8_NS0_13TensorArgTypeES9_S9_EUllE_EEvNS0_6detail10TensorInfoIT_T1_EESF_NSC_IKS6_SE_EElS8_S8_SE_T6_.has_dyn_sized_stack, 0
	.set _ZN2at4cuda17kernelHistogram1DIlilLi1ELi2ELin1ELNS0_23CUDAHistogramMemoryTypeE1EZNS0_21CUDA_tensor_histogramIliLb0EEEbNS_6TensorES4_S4_lNS_14AccumulateTypeIT0_Lb1EE4typeES8_NS0_13TensorArgTypeES9_S9_EUllE_EEvNS0_6detail10TensorInfoIT_T1_EESF_NSC_IKS6_SE_EElS8_S8_SE_T6_.has_recursion, 0
	.set _ZN2at4cuda17kernelHistogram1DIlilLi1ELi2ELin1ELNS0_23CUDAHistogramMemoryTypeE1EZNS0_21CUDA_tensor_histogramIliLb0EEEbNS_6TensorES4_S4_lNS_14AccumulateTypeIT0_Lb1EE4typeES8_NS0_13TensorArgTypeES9_S9_EUllE_EEvNS0_6detail10TensorInfoIT_T1_EESF_NSC_IKS6_SE_EElS8_S8_SE_T6_.has_indirect_call, 0
	.section	.AMDGPU.csdata,"",@progbits
; Kernel info:
; codeLenInByte = 2156
; TotalNumSgprs: 55
; NumVgprs: 18
; ScratchSize: 0
; MemoryBound: 0
; FloatMode: 240
; IeeeMode: 1
; LDSByteSize: 0 bytes/workgroup (compile time only)
; SGPRBlocks: 6
; VGPRBlocks: 4
; NumSGPRsForWavesPerEU: 55
; NumVGPRsForWavesPerEU: 18
; Occupancy: 10
; WaveLimiterHint : 1
; COMPUTE_PGM_RSRC2:SCRATCH_EN: 0
; COMPUTE_PGM_RSRC2:USER_SGPR: 6
; COMPUTE_PGM_RSRC2:TRAP_HANDLER: 0
; COMPUTE_PGM_RSRC2:TGID_X_EN: 1
; COMPUTE_PGM_RSRC2:TGID_Y_EN: 0
; COMPUTE_PGM_RSRC2:TGID_Z_EN: 0
; COMPUTE_PGM_RSRC2:TIDIG_COMP_CNT: 0
	.section	.text._ZN2at4cuda17kernelHistogram1DIlilLi1ELi2ELin1ELNS0_23CUDAHistogramMemoryTypeE0EZNS0_21CUDA_tensor_histogramIliLb0EEEbNS_6TensorES4_S4_lNS_14AccumulateTypeIT0_Lb1EE4typeES8_NS0_13TensorArgTypeES9_S9_EUllE0_EEvNS0_6detail10TensorInfoIT_T1_EESF_NSC_IKS6_SE_EElS8_S8_SE_T6_,"axG",@progbits,_ZN2at4cuda17kernelHistogram1DIlilLi1ELi2ELin1ELNS0_23CUDAHistogramMemoryTypeE0EZNS0_21CUDA_tensor_histogramIliLb0EEEbNS_6TensorES4_S4_lNS_14AccumulateTypeIT0_Lb1EE4typeES8_NS0_13TensorArgTypeES9_S9_EUllE0_EEvNS0_6detail10TensorInfoIT_T1_EESF_NSC_IKS6_SE_EElS8_S8_SE_T6_,comdat
	.protected	_ZN2at4cuda17kernelHistogram1DIlilLi1ELi2ELin1ELNS0_23CUDAHistogramMemoryTypeE0EZNS0_21CUDA_tensor_histogramIliLb0EEEbNS_6TensorES4_S4_lNS_14AccumulateTypeIT0_Lb1EE4typeES8_NS0_13TensorArgTypeES9_S9_EUllE0_EEvNS0_6detail10TensorInfoIT_T1_EESF_NSC_IKS6_SE_EElS8_S8_SE_T6_ ; -- Begin function _ZN2at4cuda17kernelHistogram1DIlilLi1ELi2ELin1ELNS0_23CUDAHistogramMemoryTypeE0EZNS0_21CUDA_tensor_histogramIliLb0EEEbNS_6TensorES4_S4_lNS_14AccumulateTypeIT0_Lb1EE4typeES8_NS0_13TensorArgTypeES9_S9_EUllE0_EEvNS0_6detail10TensorInfoIT_T1_EESF_NSC_IKS6_SE_EElS8_S8_SE_T6_
	.globl	_ZN2at4cuda17kernelHistogram1DIlilLi1ELi2ELin1ELNS0_23CUDAHistogramMemoryTypeE0EZNS0_21CUDA_tensor_histogramIliLb0EEEbNS_6TensorES4_S4_lNS_14AccumulateTypeIT0_Lb1EE4typeES8_NS0_13TensorArgTypeES9_S9_EUllE0_EEvNS0_6detail10TensorInfoIT_T1_EESF_NSC_IKS6_SE_EElS8_S8_SE_T6_
	.p2align	8
	.type	_ZN2at4cuda17kernelHistogram1DIlilLi1ELi2ELin1ELNS0_23CUDAHistogramMemoryTypeE0EZNS0_21CUDA_tensor_histogramIliLb0EEEbNS_6TensorES4_S4_lNS_14AccumulateTypeIT0_Lb1EE4typeES8_NS0_13TensorArgTypeES9_S9_EUllE0_EEvNS0_6detail10TensorInfoIT_T1_EESF_NSC_IKS6_SE_EElS8_S8_SE_T6_,@function
_ZN2at4cuda17kernelHistogram1DIlilLi1ELi2ELin1ELNS0_23CUDAHistogramMemoryTypeE0EZNS0_21CUDA_tensor_histogramIliLb0EEEbNS_6TensorES4_S4_lNS_14AccumulateTypeIT0_Lb1EE4typeES8_NS0_13TensorArgTypeES9_S9_EUllE0_EEvNS0_6detail10TensorInfoIT_T1_EESF_NSC_IKS6_SE_EElS8_S8_SE_T6_: ; @_ZN2at4cuda17kernelHistogram1DIlilLi1ELi2ELin1ELNS0_23CUDAHistogramMemoryTypeE0EZNS0_21CUDA_tensor_histogramIliLb0EEEbNS_6TensorES4_S4_lNS_14AccumulateTypeIT0_Lb1EE4typeES8_NS0_13TensorArgTypeES9_S9_EUllE0_EEvNS0_6detail10TensorInfoIT_T1_EESF_NSC_IKS6_SE_EElS8_S8_SE_T6_
; %bb.0:
	s_load_dwordx4 s[16:19], s[4:5], 0x0
	v_mov_b32_e32 v1, 0
	s_add_u32 s2, s4, 0x508
	s_addc_u32 s3, s5, 0
                                        ; implicit-def: $sgpr7
                                        ; implicit-def: $sgpr10
	s_waitcnt lgkmcnt(0)
	v_cmp_gt_i64_e64 s[0:1], s[18:19], v[0:1]
	v_cmp_le_i64_e32 vcc, s[18:19], v[0:1]
	s_and_saveexec_b64 s[8:9], vcc
	s_xor_b64 s[8:9], exec, s[8:9]
	s_cbranch_execz .LBB30_2
; %bb.1:
	s_load_dword s7, s[2:3], 0xc
	s_waitcnt lgkmcnt(0)
	s_and_b32 s10, s7, 0xffff
.LBB30_2:
	s_or_saveexec_b64 s[8:9], s[8:9]
	s_load_dwordx2 s[20:21], s[4:5], 0xd0
	v_mov_b32_e32 v14, s7
	v_mov_b32_e32 v13, s10
	v_lshl_add_u32 v12, v0, 3, 0
	s_xor_b64 exec, exec, s[8:9]
	s_cbranch_execz .LBB30_6
; %bb.3:
	s_load_dword s7, s[2:3], 0xc
	v_mov_b32_e32 v2, 0
	v_mov_b32_e32 v5, v1
	v_lshl_add_u32 v6, v0, 3, 0
	s_mov_b64 s[10:11], 0
	s_waitcnt lgkmcnt(0)
	s_and_b32 s12, s7, 0xffff
	v_mov_b32_e32 v3, v2
	s_lshl_b32 s13, s12, 3
	v_mov_b32_e32 v4, v0
.LBB30_4:                               ; =>This Inner Loop Header: Depth=1
	v_add_co_u32_e32 v4, vcc, s12, v4
	v_addc_co_u32_e32 v5, vcc, 0, v5, vcc
	v_cmp_le_i64_e32 vcc, s[18:19], v[4:5]
	ds_write_b64 v6, v[2:3]
	s_or_b64 s[10:11], vcc, s[10:11]
	v_add_u32_e32 v6, s13, v6
	s_andn2_b64 exec, exec, s[10:11]
	s_cbranch_execnz .LBB30_4
; %bb.5:
	s_or_b64 exec, exec, s[10:11]
	v_mov_b32_e32 v14, s7
	v_mov_b32_e32 v13, s12
.LBB30_6:
	s_or_b64 exec, exec, s[8:9]
	s_load_dwordx8 s[8:15], s[4:5], 0x4e0
	v_mad_u64_u32 v[2:3], s[6:7], s6, v13, v[0:1]
	v_mov_b32_e32 v4, 0
	v_mov_b32_e32 v3, v4
	s_waitcnt lgkmcnt(0)
	v_cmp_gt_i64_e32 vcc, s[14:15], v[2:3]
	s_barrier
	s_and_saveexec_b64 s[6:7], vcc
	s_cbranch_execz .LBB30_22
; %bb.7:
	s_load_dword s26, s[4:5], 0x4d8
	s_load_dwordx2 s[24:25], s[4:5], 0x340
	s_add_u32 s27, s4, 0x340
	s_addc_u32 s29, s5, 0
	s_load_dword s28, s[2:3], 0x0
	s_load_dwordx2 s[22:23], s[4:5], 0x410
	s_waitcnt lgkmcnt(0)
	s_cmp_gt_i32 s26, 1
	s_cselect_b64 s[2:3], -1, 0
	s_sub_u32 s33, s12, s10
	s_subb_u32 s42, s13, s11
	s_mov_b32 s5, 0
	s_add_i32 s4, s26, -1
	s_add_i32 s43, s26, 1
	s_lshl_b64 s[4:5], s[4:5], 3
	v_mul_lo_u32 v15, s28, v13
	s_add_u32 s4, s27, s4
	s_addc_u32 s5, s29, s5
	s_add_u32 s26, s4, 8
	v_cndmask_b32_e64 v5, 0, 1, s[2:3]
	s_addc_u32 s27, s5, 0
	s_mov_b64 s[28:29], 0
	v_cmp_ne_u32_e64 s[2:3], 1, v5
	s_branch .LBB30_10
.LBB30_8:                               ;   in Loop: Header=BB30_10 Depth=1
	s_or_b64 exec, exec, s[4:5]
	v_ashrrev_i32_e32 v9, 31, v8
	v_cmp_eq_u64_e32 vcc, s[8:9], v[8:9]
	v_subbrev_co_u32_e32 v5, vcc, 0, v8, vcc
	v_lshl_add_u32 v7, v5, 3, 0
	v_mov_b32_e32 v5, 1
	v_mov_b32_e32 v6, 0
	ds_add_u64 v7, v[5:6]
.LBB30_9:                               ;   in Loop: Header=BB30_10 Depth=1
	s_or_b64 exec, exec, s[30:31]
	v_add_co_u32_e32 v2, vcc, v2, v15
	v_addc_co_u32_e32 v3, vcc, 0, v3, vcc
	v_cmp_le_i64_e32 vcc, s[14:15], v[2:3]
	s_or_b64 s[28:29], vcc, s[28:29]
	s_andn2_b64 exec, exec, s[28:29]
	s_cbranch_execz .LBB30_22
.LBB30_10:                              ; =>This Loop Header: Depth=1
                                        ;     Child Loop BB30_11 Depth 2
	v_mov_b32_e32 v6, 0
	v_mov_b32_e32 v9, v3
	;; [unrolled: 1-line block ×4, first 2 shown]
	s_and_b64 vcc, exec, s[2:3]
	s_mov_b64 s[30:31], s[26:27]
	s_mov_b32 s44, s43
	v_mov_b32_e32 v8, v2
	v_mov_b32_e32 v10, v2
	s_cbranch_vccnz .LBB30_17
.LBB30_11:                              ;   Parent Loop BB30_10 Depth=1
                                        ; =>  This Inner Loop Header: Depth=2
	s_load_dwordx2 s[34:35], s[30:31], 0x0
                                        ; implicit-def: $vgpr10_vgpr11
	s_waitcnt lgkmcnt(0)
	v_or_b32_e32 v5, s35, v9
	v_cmp_ne_u64_e32 vcc, 0, v[4:5]
	s_and_saveexec_b64 s[4:5], vcc
	s_xor_b64 s[36:37], exec, s[4:5]
	s_cbranch_execz .LBB30_13
; %bb.12:                               ;   in Loop: Header=BB30_11 Depth=2
	s_ashr_i32 s38, s35, 31
	s_add_u32 s4, s34, s38
	s_mov_b32 s39, s38
	s_addc_u32 s5, s35, s38
	s_xor_b64 s[40:41], s[4:5], s[38:39]
	v_cvt_f32_u32_e32 v5, s40
	v_cvt_f32_u32_e32 v10, s41
	s_sub_u32 s39, 0, s40
	s_subb_u32 s45, 0, s41
	v_mac_f32_e32 v5, 0x4f800000, v10
	v_rcp_f32_e32 v5, v5
	v_mul_f32_e32 v5, 0x5f7ffffc, v5
	v_mul_f32_e32 v10, 0x2f800000, v5
	v_trunc_f32_e32 v10, v10
	v_mac_f32_e32 v5, 0xcf800000, v10
	v_cvt_u32_f32_e32 v10, v10
	v_cvt_u32_f32_e32 v5, v5
	v_readfirstlane_b32 s46, v10
	v_readfirstlane_b32 s4, v5
	s_mul_i32 s5, s39, s46
	s_mul_hi_u32 s48, s39, s4
	s_mul_i32 s47, s45, s4
	s_add_i32 s5, s48, s5
	s_add_i32 s5, s5, s47
	s_mul_i32 s49, s39, s4
	s_mul_i32 s48, s4, s5
	s_mul_hi_u32 s50, s4, s49
	s_mul_hi_u32 s47, s4, s5
	s_add_u32 s48, s50, s48
	s_addc_u32 s47, 0, s47
	s_mul_hi_u32 s51, s46, s49
	s_mul_i32 s49, s46, s49
	s_add_u32 s48, s48, s49
	s_mul_hi_u32 s50, s46, s5
	s_addc_u32 s47, s47, s51
	s_addc_u32 s48, s50, 0
	s_mul_i32 s5, s46, s5
	s_add_u32 s5, s47, s5
	s_addc_u32 s47, 0, s48
	s_add_u32 s48, s4, s5
	s_cselect_b64 s[4:5], -1, 0
	s_cmp_lg_u64 s[4:5], 0
	s_addc_u32 s46, s46, s47
	s_mul_i32 s4, s39, s46
	s_mul_hi_u32 s5, s39, s48
	s_add_i32 s4, s5, s4
	s_mul_i32 s45, s45, s48
	s_add_i32 s4, s4, s45
	s_mul_i32 s39, s39, s48
	s_mul_hi_u32 s45, s46, s39
	s_mul_i32 s47, s46, s39
	s_mul_i32 s50, s48, s4
	s_mul_hi_u32 s39, s48, s39
	s_mul_hi_u32 s49, s48, s4
	s_add_u32 s39, s39, s50
	s_addc_u32 s49, 0, s49
	s_add_u32 s39, s39, s47
	s_mul_hi_u32 s5, s46, s4
	s_addc_u32 s39, s49, s45
	s_addc_u32 s5, s5, 0
	s_mul_i32 s4, s46, s4
	s_add_u32 s4, s39, s4
	s_addc_u32 s39, 0, s5
	s_add_u32 s45, s48, s4
	s_cselect_b64 s[4:5], -1, 0
	v_ashrrev_i32_e32 v5, 31, v9
	s_cmp_lg_u64 s[4:5], 0
	v_add_co_u32_e32 v10, vcc, v8, v5
	s_addc_u32 s39, s46, s39
	v_xor_b32_e32 v18, v10, v5
	v_mad_u64_u32 v[10:11], s[4:5], v18, s39, 0
	v_mul_hi_u32 v17, v18, s45
	v_addc_co_u32_e32 v16, vcc, v9, v5, vcc
	v_xor_b32_e32 v19, v16, v5
	v_add_co_u32_e32 v20, vcc, v17, v10
	v_addc_co_u32_e32 v21, vcc, 0, v11, vcc
	v_mad_u64_u32 v[10:11], s[4:5], v19, s45, 0
	v_mad_u64_u32 v[16:17], s[4:5], v19, s39, 0
	v_add_co_u32_e32 v10, vcc, v20, v10
	v_addc_co_u32_e32 v10, vcc, v21, v11, vcc
	v_addc_co_u32_e32 v11, vcc, 0, v17, vcc
	v_add_co_u32_e32 v16, vcc, v10, v16
	v_addc_co_u32_e32 v17, vcc, 0, v11, vcc
	v_mul_lo_u32 v20, s41, v16
	v_mul_lo_u32 v21, s40, v17
	v_mad_u64_u32 v[10:11], s[4:5], s40, v16, 0
	v_xor_b32_e32 v5, s38, v5
	v_add3_u32 v11, v11, v21, v20
	v_sub_u32_e32 v20, v19, v11
	v_mov_b32_e32 v21, s41
	v_sub_co_u32_e32 v10, vcc, v18, v10
	v_subb_co_u32_e64 v18, s[4:5], v20, v21, vcc
	v_subrev_co_u32_e64 v20, s[4:5], s40, v10
	v_subbrev_co_u32_e64 v18, s[4:5], 0, v18, s[4:5]
	v_cmp_le_u32_e64 s[4:5], s41, v18
	v_cndmask_b32_e64 v21, 0, -1, s[4:5]
	v_cmp_le_u32_e64 s[4:5], s40, v20
	v_cndmask_b32_e64 v20, 0, -1, s[4:5]
	v_cmp_eq_u32_e64 s[4:5], s41, v18
	v_cndmask_b32_e64 v18, v21, v20, s[4:5]
	v_add_co_u32_e64 v20, s[4:5], 2, v16
	v_subb_co_u32_e32 v11, vcc, v19, v11, vcc
	v_addc_co_u32_e64 v21, s[4:5], 0, v17, s[4:5]
	v_cmp_le_u32_e32 vcc, s41, v11
	v_add_co_u32_e64 v22, s[4:5], 1, v16
	v_cndmask_b32_e64 v19, 0, -1, vcc
	v_cmp_le_u32_e32 vcc, s40, v10
	v_addc_co_u32_e64 v23, s[4:5], 0, v17, s[4:5]
	v_cndmask_b32_e64 v10, 0, -1, vcc
	v_cmp_eq_u32_e32 vcc, s41, v11
	v_cmp_ne_u32_e64 s[4:5], 0, v18
	v_cndmask_b32_e32 v10, v19, v10, vcc
	v_cndmask_b32_e64 v18, v23, v21, s[4:5]
	v_cmp_ne_u32_e32 vcc, 0, v10
	v_cndmask_b32_e64 v11, v22, v20, s[4:5]
	v_cndmask_b32_e32 v10, v17, v18, vcc
	v_cndmask_b32_e32 v11, v16, v11, vcc
	v_xor_b32_e32 v16, v10, v5
	v_xor_b32_e32 v10, v11, v5
	v_sub_co_u32_e32 v10, vcc, v10, v5
	v_subb_co_u32_e32 v11, vcc, v16, v5, vcc
.LBB30_13:                              ;   in Loop: Header=BB30_11 Depth=2
	s_andn2_saveexec_b64 s[4:5], s[36:37]
	s_cbranch_execz .LBB30_15
; %bb.14:                               ;   in Loop: Header=BB30_11 Depth=2
	v_cvt_f32_u32_e32 v5, s34
	s_sub_i32 s36, 0, s34
	v_rcp_iflag_f32_e32 v5, v5
	v_mul_f32_e32 v5, 0x4f7ffffe, v5
	v_cvt_u32_f32_e32 v5, v5
	v_mul_lo_u32 v10, s36, v5
	v_mul_hi_u32 v10, v5, v10
	v_add_u32_e32 v5, v5, v10
	v_mul_hi_u32 v5, v8, v5
	v_mul_lo_u32 v10, v5, s34
	v_add_u32_e32 v11, 1, v5
	v_sub_u32_e32 v10, v8, v10
	v_subrev_u32_e32 v16, s34, v10
	v_cmp_le_u32_e32 vcc, s34, v10
	v_cndmask_b32_e32 v10, v10, v16, vcc
	v_cndmask_b32_e32 v5, v5, v11, vcc
	v_add_u32_e32 v11, 1, v5
	v_cmp_le_u32_e32 vcc, s34, v10
	v_cndmask_b32_e32 v10, v5, v11, vcc
	v_mov_b32_e32 v11, v4
.LBB30_15:                              ;   in Loop: Header=BB30_11 Depth=2
	s_or_b64 exec, exec, s[4:5]
	v_mul_lo_u32 v5, v11, s34
	v_mul_lo_u32 v18, v10, s35
	v_mad_u64_u32 v[16:17], s[4:5], v10, s34, 0
	s_load_dwordx2 s[4:5], s[30:31], 0xc8
	s_add_i32 s44, s44, -1
	v_add3_u32 v5, v17, v18, v5
	v_sub_co_u32_e32 v8, vcc, v8, v16
	v_subb_co_u32_e32 v5, vcc, v9, v5, vcc
	s_waitcnt lgkmcnt(0)
	v_mul_lo_u32 v5, s4, v5
	v_mul_lo_u32 v9, s5, v8
	v_mad_u64_u32 v[6:7], s[4:5], s4, v8, v[6:7]
	s_add_u32 s30, s30, -8
	s_addc_u32 s31, s31, -1
	s_cmp_gt_u32 s44, 2
	v_add3_u32 v7, v9, v7, v5
	s_cbranch_scc0 .LBB30_17
; %bb.16:                               ;   in Loop: Header=BB30_11 Depth=2
	v_mov_b32_e32 v8, v10
	v_mov_b32_e32 v9, v11
	s_branch .LBB30_11
.LBB30_17:                              ;   in Loop: Header=BB30_10 Depth=1
	v_mul_lo_u32 v5, s23, v10
	v_mul_lo_u32 v11, s22, v11
	v_mad_u64_u32 v[8:9], s[4:5], s22, v10, 0
	v_add3_u32 v9, v9, v11, v5
	v_lshlrev_b64 v[8:9], 2, v[8:9]
	v_mov_b32_e32 v5, s25
	v_add_co_u32_e32 v8, vcc, s24, v8
	v_addc_co_u32_e32 v9, vcc, v5, v9, vcc
	v_lshlrev_b64 v[5:6], 2, v[6:7]
	v_add_co_u32_e32 v5, vcc, v8, v5
	v_addc_co_u32_e32 v6, vcc, v9, v6, vcc
	global_load_dword v5, v[5:6], off
	s_waitcnt vmcnt(0)
	v_ashrrev_i32_e32 v6, 31, v5
	v_cmp_le_i64_e32 vcc, s[10:11], v[5:6]
	v_cmp_ge_i64_e64 s[4:5], s[12:13], v[5:6]
	s_and_b64 s[4:5], vcc, s[4:5]
	s_and_saveexec_b64 s[30:31], s[4:5]
	s_cbranch_execz .LBB30_9
; %bb.18:                               ;   in Loop: Header=BB30_10 Depth=1
	v_mov_b32_e32 v7, s11
	v_subrev_co_u32_e32 v5, vcc, s10, v5
	v_subb_co_u32_e32 v6, vcc, v6, v7, vcc
	v_mul_lo_u32 v8, v6, s8
	v_mul_lo_u32 v9, v5, s9
	v_mad_u64_u32 v[6:7], s[4:5], v5, s8, 0
	v_add3_u32 v7, v7, v9, v8
	v_or_b32_e32 v5, s42, v7
	v_cmp_ne_u64_e32 vcc, 0, v[4:5]
                                        ; implicit-def: $vgpr8_vgpr9
	s_and_saveexec_b64 s[4:5], vcc
	s_xor_b64 s[34:35], exec, s[4:5]
	s_cbranch_execz .LBB30_20
; %bb.19:                               ;   in Loop: Header=BB30_10 Depth=1
	s_ashr_i32 s36, s42, 31
	s_add_u32 s4, s33, s36
	s_mov_b32 s37, s36
	s_addc_u32 s5, s42, s36
	s_xor_b64 s[38:39], s[4:5], s[36:37]
	v_cvt_f32_u32_e32 v5, s38
	v_cvt_f32_u32_e32 v8, s39
	s_sub_u32 s37, 0, s38
	s_subb_u32 s40, 0, s39
	v_ashrrev_i32_e32 v9, 31, v7
	v_mac_f32_e32 v5, 0x4f800000, v8
	v_rcp_f32_e32 v5, v5
	v_mul_f32_e32 v5, 0x5f7ffffc, v5
	v_mul_f32_e32 v8, 0x2f800000, v5
	v_trunc_f32_e32 v8, v8
	v_mac_f32_e32 v5, 0xcf800000, v8
	v_cvt_u32_f32_e32 v8, v8
	v_cvt_u32_f32_e32 v5, v5
	v_readfirstlane_b32 s41, v8
	v_readfirstlane_b32 s4, v5
	s_mul_i32 s5, s37, s41
	s_mul_hi_u32 s45, s37, s4
	s_mul_i32 s44, s40, s4
	s_add_i32 s5, s45, s5
	s_add_i32 s5, s5, s44
	s_mul_i32 s46, s37, s4
	s_mul_i32 s45, s4, s5
	s_mul_hi_u32 s47, s4, s46
	s_mul_hi_u32 s44, s4, s5
	s_add_u32 s45, s47, s45
	s_addc_u32 s44, 0, s44
	s_mul_hi_u32 s48, s41, s46
	s_mul_i32 s46, s41, s46
	s_add_u32 s45, s45, s46
	s_mul_hi_u32 s47, s41, s5
	s_addc_u32 s44, s44, s48
	s_addc_u32 s45, s47, 0
	s_mul_i32 s5, s41, s5
	s_add_u32 s5, s44, s5
	s_addc_u32 s44, 0, s45
	s_add_u32 s45, s4, s5
	s_cselect_b64 s[4:5], -1, 0
	s_cmp_lg_u64 s[4:5], 0
	s_addc_u32 s41, s41, s44
	s_mul_i32 s4, s37, s41
	s_mul_hi_u32 s5, s37, s45
	s_add_i32 s4, s5, s4
	s_mul_i32 s40, s40, s45
	s_add_i32 s4, s4, s40
	s_mul_i32 s37, s37, s45
	s_mul_hi_u32 s40, s41, s37
	s_mul_i32 s44, s41, s37
	s_mul_i32 s47, s45, s4
	s_mul_hi_u32 s37, s45, s37
	s_mul_hi_u32 s46, s45, s4
	s_add_u32 s37, s37, s47
	s_addc_u32 s46, 0, s46
	s_add_u32 s37, s37, s44
	s_mul_hi_u32 s5, s41, s4
	s_addc_u32 s37, s46, s40
	s_addc_u32 s5, s5, 0
	s_mul_i32 s4, s41, s4
	s_add_u32 s4, s37, s4
	s_addc_u32 s37, 0, s5
	s_add_u32 s40, s45, s4
	s_cselect_b64 s[4:5], -1, 0
	s_cmp_lg_u64 s[4:5], 0
	v_add_co_u32_e32 v5, vcc, v6, v9
	s_addc_u32 s37, s41, s37
	v_xor_b32_e32 v10, v5, v9
	v_mad_u64_u32 v[5:6], s[4:5], v10, s37, 0
	v_mul_hi_u32 v8, v10, s40
	v_addc_co_u32_e32 v7, vcc, v7, v9, vcc
	v_xor_b32_e32 v11, v7, v9
	v_add_co_u32_e32 v16, vcc, v8, v5
	v_addc_co_u32_e32 v17, vcc, 0, v6, vcc
	v_mad_u64_u32 v[5:6], s[4:5], v11, s40, 0
	v_mad_u64_u32 v[7:8], s[4:5], v11, s37, 0
	v_add_co_u32_e32 v5, vcc, v16, v5
	v_addc_co_u32_e32 v5, vcc, v17, v6, vcc
	v_addc_co_u32_e32 v6, vcc, 0, v8, vcc
	v_add_co_u32_e32 v7, vcc, v5, v7
	v_addc_co_u32_e32 v5, vcc, 0, v6, vcc
	v_mul_lo_u32 v8, s39, v7
	v_mul_lo_u32 v16, s38, v5
	v_mad_u64_u32 v[5:6], s[4:5], s38, v7, 0
	v_add3_u32 v6, v6, v16, v8
	v_sub_u32_e32 v8, v11, v6
	v_mov_b32_e32 v16, s39
	v_sub_co_u32_e32 v5, vcc, v10, v5
	v_subb_co_u32_e64 v8, s[4:5], v8, v16, vcc
	v_subrev_co_u32_e64 v10, s[4:5], s38, v5
	v_subbrev_co_u32_e64 v8, s[4:5], 0, v8, s[4:5]
	v_cmp_le_u32_e64 s[4:5], s39, v8
	v_subb_co_u32_e32 v6, vcc, v11, v6, vcc
	v_cndmask_b32_e64 v16, 0, -1, s[4:5]
	v_cmp_le_u32_e64 s[4:5], s38, v10
	v_cmp_le_u32_e32 vcc, s39, v6
	v_cndmask_b32_e64 v10, 0, -1, s[4:5]
	v_cmp_eq_u32_e64 s[4:5], s39, v8
	v_cndmask_b32_e64 v11, 0, -1, vcc
	v_cmp_le_u32_e32 vcc, s38, v5
	v_cndmask_b32_e64 v8, v16, v10, s[4:5]
	v_cndmask_b32_e64 v5, 0, -1, vcc
	v_cmp_eq_u32_e32 vcc, s39, v6
	v_add_co_u32_e64 v10, s[4:5], 2, v7
	v_add_co_u32_e64 v16, s[4:5], 1, v7
	v_cndmask_b32_e32 v5, v11, v5, vcc
	v_cmp_ne_u32_e32 vcc, 0, v8
	v_cndmask_b32_e32 v6, v16, v10, vcc
	v_cmp_ne_u32_e32 vcc, 0, v5
	v_cndmask_b32_e32 v5, v7, v6, vcc
	v_xor_b32_e32 v6, s36, v9
	v_xor_b32_e32 v5, v5, v6
	v_sub_co_u32_e32 v8, vcc, v5, v6
                                        ; implicit-def: $vgpr6_vgpr7
.LBB30_20:                              ;   in Loop: Header=BB30_10 Depth=1
	s_andn2_saveexec_b64 s[4:5], s[34:35]
	s_cbranch_execz .LBB30_8
; %bb.21:                               ;   in Loop: Header=BB30_10 Depth=1
	v_cvt_f32_u32_e32 v5, s33
	s_sub_i32 s34, 0, s33
	v_rcp_iflag_f32_e32 v5, v5
	v_mul_f32_e32 v5, 0x4f7ffffe, v5
	v_cvt_u32_f32_e32 v5, v5
	v_mul_lo_u32 v7, s34, v5
	v_mul_hi_u32 v7, v5, v7
	v_add_u32_e32 v5, v5, v7
	v_mul_hi_u32 v5, v6, v5
	v_mul_lo_u32 v7, v5, s33
	v_add_u32_e32 v8, 1, v5
	v_sub_u32_e32 v6, v6, v7
	v_subrev_u32_e32 v7, s33, v6
	v_cmp_le_u32_e32 vcc, s33, v6
	v_cndmask_b32_e32 v6, v6, v7, vcc
	v_cndmask_b32_e32 v5, v5, v8, vcc
	v_add_u32_e32 v7, 1, v5
	v_cmp_le_u32_e32 vcc, s33, v6
	v_cndmask_b32_e32 v8, v5, v7, vcc
	s_branch .LBB30_8
.LBB30_22:
	s_or_b64 exec, exec, s[6:7]
; %bb.23:
	s_waitcnt lgkmcnt(0)
	s_barrier
	s_and_saveexec_b64 s[2:3], s[0:1]
	s_cbranch_execz .LBB30_26
; %bb.24:
	v_mad_u64_u32 v[2:3], s[0:1], s20, v0, 0
	v_and_b32_e32 v6, 0xffff, v14
	v_mov_b32_e32 v9, s17
	v_mad_u64_u32 v[3:4], s[0:1], s21, v0, v[3:4]
	v_mad_u64_u32 v[4:5], s[0:1], s20, v6, 0
	v_lshlrev_b64 v[2:3], 3, v[2:3]
	v_mad_u64_u32 v[7:8], s[0:1], s21, v6, v[5:6]
	v_add_co_u32_e32 v2, vcc, s16, v2
	v_mov_b32_e32 v5, v7
	v_lshlrev_b64 v[4:5], 3, v[4:5]
	v_addc_co_u32_e32 v3, vcc, v9, v3, vcc
	v_lshlrev_b32_e32 v7, 3, v13
	s_mov_b64 s[0:1], 0
.LBB30_25:                              ; =>This Inner Loop Header: Depth=1
	ds_read_b64 v[8:9], v12
	v_add_co_u32_e32 v0, vcc, v0, v6
	v_addc_co_u32_e32 v1, vcc, 0, v1, vcc
	s_waitcnt lgkmcnt(0)
	global_atomic_add_x2 v[2:3], v[8:9], off
	v_cmp_le_i64_e32 vcc, s[18:19], v[0:1]
	v_add_u32_e32 v12, v12, v7
	s_or_b64 s[0:1], vcc, s[0:1]
	v_add_co_u32_e32 v2, vcc, v2, v4
	v_addc_co_u32_e32 v3, vcc, v3, v5, vcc
	s_andn2_b64 exec, exec, s[0:1]
	s_cbranch_execnz .LBB30_25
.LBB30_26:
	s_endpgm
	.section	.rodata,"a",@progbits
	.p2align	6, 0x0
	.amdhsa_kernel _ZN2at4cuda17kernelHistogram1DIlilLi1ELi2ELin1ELNS0_23CUDAHistogramMemoryTypeE0EZNS0_21CUDA_tensor_histogramIliLb0EEEbNS_6TensorES4_S4_lNS_14AccumulateTypeIT0_Lb1EE4typeES8_NS0_13TensorArgTypeES9_S9_EUllE0_EEvNS0_6detail10TensorInfoIT_T1_EESF_NSC_IKS6_SE_EElS8_S8_SE_T6_
		.amdhsa_group_segment_fixed_size 0
		.amdhsa_private_segment_fixed_size 0
		.amdhsa_kernarg_size 1544
		.amdhsa_user_sgpr_count 6
		.amdhsa_user_sgpr_private_segment_buffer 1
		.amdhsa_user_sgpr_dispatch_ptr 0
		.amdhsa_user_sgpr_queue_ptr 0
		.amdhsa_user_sgpr_kernarg_segment_ptr 1
		.amdhsa_user_sgpr_dispatch_id 0
		.amdhsa_user_sgpr_flat_scratch_init 0
		.amdhsa_user_sgpr_private_segment_size 0
		.amdhsa_uses_dynamic_stack 0
		.amdhsa_system_sgpr_private_segment_wavefront_offset 0
		.amdhsa_system_sgpr_workgroup_id_x 1
		.amdhsa_system_sgpr_workgroup_id_y 0
		.amdhsa_system_sgpr_workgroup_id_z 0
		.amdhsa_system_sgpr_workgroup_info 0
		.amdhsa_system_vgpr_workitem_id 0
		.amdhsa_next_free_vgpr 24
		.amdhsa_next_free_sgpr 52
		.amdhsa_reserve_vcc 1
		.amdhsa_reserve_flat_scratch 0
		.amdhsa_float_round_mode_32 0
		.amdhsa_float_round_mode_16_64 0
		.amdhsa_float_denorm_mode_32 3
		.amdhsa_float_denorm_mode_16_64 3
		.amdhsa_dx10_clamp 1
		.amdhsa_ieee_mode 1
		.amdhsa_fp16_overflow 0
		.amdhsa_exception_fp_ieee_invalid_op 0
		.amdhsa_exception_fp_denorm_src 0
		.amdhsa_exception_fp_ieee_div_zero 0
		.amdhsa_exception_fp_ieee_overflow 0
		.amdhsa_exception_fp_ieee_underflow 0
		.amdhsa_exception_fp_ieee_inexact 0
		.amdhsa_exception_int_div_zero 0
	.end_amdhsa_kernel
	.section	.text._ZN2at4cuda17kernelHistogram1DIlilLi1ELi2ELin1ELNS0_23CUDAHistogramMemoryTypeE0EZNS0_21CUDA_tensor_histogramIliLb0EEEbNS_6TensorES4_S4_lNS_14AccumulateTypeIT0_Lb1EE4typeES8_NS0_13TensorArgTypeES9_S9_EUllE0_EEvNS0_6detail10TensorInfoIT_T1_EESF_NSC_IKS6_SE_EElS8_S8_SE_T6_,"axG",@progbits,_ZN2at4cuda17kernelHistogram1DIlilLi1ELi2ELin1ELNS0_23CUDAHistogramMemoryTypeE0EZNS0_21CUDA_tensor_histogramIliLb0EEEbNS_6TensorES4_S4_lNS_14AccumulateTypeIT0_Lb1EE4typeES8_NS0_13TensorArgTypeES9_S9_EUllE0_EEvNS0_6detail10TensorInfoIT_T1_EESF_NSC_IKS6_SE_EElS8_S8_SE_T6_,comdat
.Lfunc_end30:
	.size	_ZN2at4cuda17kernelHistogram1DIlilLi1ELi2ELin1ELNS0_23CUDAHistogramMemoryTypeE0EZNS0_21CUDA_tensor_histogramIliLb0EEEbNS_6TensorES4_S4_lNS_14AccumulateTypeIT0_Lb1EE4typeES8_NS0_13TensorArgTypeES9_S9_EUllE0_EEvNS0_6detail10TensorInfoIT_T1_EESF_NSC_IKS6_SE_EElS8_S8_SE_T6_, .Lfunc_end30-_ZN2at4cuda17kernelHistogram1DIlilLi1ELi2ELin1ELNS0_23CUDAHistogramMemoryTypeE0EZNS0_21CUDA_tensor_histogramIliLb0EEEbNS_6TensorES4_S4_lNS_14AccumulateTypeIT0_Lb1EE4typeES8_NS0_13TensorArgTypeES9_S9_EUllE0_EEvNS0_6detail10TensorInfoIT_T1_EESF_NSC_IKS6_SE_EElS8_S8_SE_T6_
                                        ; -- End function
	.set _ZN2at4cuda17kernelHistogram1DIlilLi1ELi2ELin1ELNS0_23CUDAHistogramMemoryTypeE0EZNS0_21CUDA_tensor_histogramIliLb0EEEbNS_6TensorES4_S4_lNS_14AccumulateTypeIT0_Lb1EE4typeES8_NS0_13TensorArgTypeES9_S9_EUllE0_EEvNS0_6detail10TensorInfoIT_T1_EESF_NSC_IKS6_SE_EElS8_S8_SE_T6_.num_vgpr, 24
	.set _ZN2at4cuda17kernelHistogram1DIlilLi1ELi2ELin1ELNS0_23CUDAHistogramMemoryTypeE0EZNS0_21CUDA_tensor_histogramIliLb0EEEbNS_6TensorES4_S4_lNS_14AccumulateTypeIT0_Lb1EE4typeES8_NS0_13TensorArgTypeES9_S9_EUllE0_EEvNS0_6detail10TensorInfoIT_T1_EESF_NSC_IKS6_SE_EElS8_S8_SE_T6_.num_agpr, 0
	.set _ZN2at4cuda17kernelHistogram1DIlilLi1ELi2ELin1ELNS0_23CUDAHistogramMemoryTypeE0EZNS0_21CUDA_tensor_histogramIliLb0EEEbNS_6TensorES4_S4_lNS_14AccumulateTypeIT0_Lb1EE4typeES8_NS0_13TensorArgTypeES9_S9_EUllE0_EEvNS0_6detail10TensorInfoIT_T1_EESF_NSC_IKS6_SE_EElS8_S8_SE_T6_.numbered_sgpr, 52
	.set _ZN2at4cuda17kernelHistogram1DIlilLi1ELi2ELin1ELNS0_23CUDAHistogramMemoryTypeE0EZNS0_21CUDA_tensor_histogramIliLb0EEEbNS_6TensorES4_S4_lNS_14AccumulateTypeIT0_Lb1EE4typeES8_NS0_13TensorArgTypeES9_S9_EUllE0_EEvNS0_6detail10TensorInfoIT_T1_EESF_NSC_IKS6_SE_EElS8_S8_SE_T6_.num_named_barrier, 0
	.set _ZN2at4cuda17kernelHistogram1DIlilLi1ELi2ELin1ELNS0_23CUDAHistogramMemoryTypeE0EZNS0_21CUDA_tensor_histogramIliLb0EEEbNS_6TensorES4_S4_lNS_14AccumulateTypeIT0_Lb1EE4typeES8_NS0_13TensorArgTypeES9_S9_EUllE0_EEvNS0_6detail10TensorInfoIT_T1_EESF_NSC_IKS6_SE_EElS8_S8_SE_T6_.private_seg_size, 0
	.set _ZN2at4cuda17kernelHistogram1DIlilLi1ELi2ELin1ELNS0_23CUDAHistogramMemoryTypeE0EZNS0_21CUDA_tensor_histogramIliLb0EEEbNS_6TensorES4_S4_lNS_14AccumulateTypeIT0_Lb1EE4typeES8_NS0_13TensorArgTypeES9_S9_EUllE0_EEvNS0_6detail10TensorInfoIT_T1_EESF_NSC_IKS6_SE_EElS8_S8_SE_T6_.uses_vcc, 1
	.set _ZN2at4cuda17kernelHistogram1DIlilLi1ELi2ELin1ELNS0_23CUDAHistogramMemoryTypeE0EZNS0_21CUDA_tensor_histogramIliLb0EEEbNS_6TensorES4_S4_lNS_14AccumulateTypeIT0_Lb1EE4typeES8_NS0_13TensorArgTypeES9_S9_EUllE0_EEvNS0_6detail10TensorInfoIT_T1_EESF_NSC_IKS6_SE_EElS8_S8_SE_T6_.uses_flat_scratch, 0
	.set _ZN2at4cuda17kernelHistogram1DIlilLi1ELi2ELin1ELNS0_23CUDAHistogramMemoryTypeE0EZNS0_21CUDA_tensor_histogramIliLb0EEEbNS_6TensorES4_S4_lNS_14AccumulateTypeIT0_Lb1EE4typeES8_NS0_13TensorArgTypeES9_S9_EUllE0_EEvNS0_6detail10TensorInfoIT_T1_EESF_NSC_IKS6_SE_EElS8_S8_SE_T6_.has_dyn_sized_stack, 0
	.set _ZN2at4cuda17kernelHistogram1DIlilLi1ELi2ELin1ELNS0_23CUDAHistogramMemoryTypeE0EZNS0_21CUDA_tensor_histogramIliLb0EEEbNS_6TensorES4_S4_lNS_14AccumulateTypeIT0_Lb1EE4typeES8_NS0_13TensorArgTypeES9_S9_EUllE0_EEvNS0_6detail10TensorInfoIT_T1_EESF_NSC_IKS6_SE_EElS8_S8_SE_T6_.has_recursion, 0
	.set _ZN2at4cuda17kernelHistogram1DIlilLi1ELi2ELin1ELNS0_23CUDAHistogramMemoryTypeE0EZNS0_21CUDA_tensor_histogramIliLb0EEEbNS_6TensorES4_S4_lNS_14AccumulateTypeIT0_Lb1EE4typeES8_NS0_13TensorArgTypeES9_S9_EUllE0_EEvNS0_6detail10TensorInfoIT_T1_EESF_NSC_IKS6_SE_EElS8_S8_SE_T6_.has_indirect_call, 0
	.section	.AMDGPU.csdata,"",@progbits
; Kernel info:
; codeLenInByte = 2356
; TotalNumSgprs: 56
; NumVgprs: 24
; ScratchSize: 0
; MemoryBound: 0
; FloatMode: 240
; IeeeMode: 1
; LDSByteSize: 0 bytes/workgroup (compile time only)
; SGPRBlocks: 6
; VGPRBlocks: 5
; NumSGPRsForWavesPerEU: 56
; NumVGPRsForWavesPerEU: 24
; Occupancy: 10
; WaveLimiterHint : 1
; COMPUTE_PGM_RSRC2:SCRATCH_EN: 0
; COMPUTE_PGM_RSRC2:USER_SGPR: 6
; COMPUTE_PGM_RSRC2:TRAP_HANDLER: 0
; COMPUTE_PGM_RSRC2:TGID_X_EN: 1
; COMPUTE_PGM_RSRC2:TGID_Y_EN: 0
; COMPUTE_PGM_RSRC2:TGID_Z_EN: 0
; COMPUTE_PGM_RSRC2:TIDIG_COMP_CNT: 0
	.section	.text._ZN2at4cuda17kernelHistogram1DIlilLi1ELi2ELin1ELNS0_23CUDAHistogramMemoryTypeE1EZNS0_21CUDA_tensor_histogramIliLb0EEEbNS_6TensorES4_S4_lNS_14AccumulateTypeIT0_Lb1EE4typeES8_NS0_13TensorArgTypeES9_S9_EUllE0_EEvNS0_6detail10TensorInfoIT_T1_EESF_NSC_IKS6_SE_EElS8_S8_SE_T6_,"axG",@progbits,_ZN2at4cuda17kernelHistogram1DIlilLi1ELi2ELin1ELNS0_23CUDAHistogramMemoryTypeE1EZNS0_21CUDA_tensor_histogramIliLb0EEEbNS_6TensorES4_S4_lNS_14AccumulateTypeIT0_Lb1EE4typeES8_NS0_13TensorArgTypeES9_S9_EUllE0_EEvNS0_6detail10TensorInfoIT_T1_EESF_NSC_IKS6_SE_EElS8_S8_SE_T6_,comdat
	.protected	_ZN2at4cuda17kernelHistogram1DIlilLi1ELi2ELin1ELNS0_23CUDAHistogramMemoryTypeE1EZNS0_21CUDA_tensor_histogramIliLb0EEEbNS_6TensorES4_S4_lNS_14AccumulateTypeIT0_Lb1EE4typeES8_NS0_13TensorArgTypeES9_S9_EUllE0_EEvNS0_6detail10TensorInfoIT_T1_EESF_NSC_IKS6_SE_EElS8_S8_SE_T6_ ; -- Begin function _ZN2at4cuda17kernelHistogram1DIlilLi1ELi2ELin1ELNS0_23CUDAHistogramMemoryTypeE1EZNS0_21CUDA_tensor_histogramIliLb0EEEbNS_6TensorES4_S4_lNS_14AccumulateTypeIT0_Lb1EE4typeES8_NS0_13TensorArgTypeES9_S9_EUllE0_EEvNS0_6detail10TensorInfoIT_T1_EESF_NSC_IKS6_SE_EElS8_S8_SE_T6_
	.globl	_ZN2at4cuda17kernelHistogram1DIlilLi1ELi2ELin1ELNS0_23CUDAHistogramMemoryTypeE1EZNS0_21CUDA_tensor_histogramIliLb0EEEbNS_6TensorES4_S4_lNS_14AccumulateTypeIT0_Lb1EE4typeES8_NS0_13TensorArgTypeES9_S9_EUllE0_EEvNS0_6detail10TensorInfoIT_T1_EESF_NSC_IKS6_SE_EElS8_S8_SE_T6_
	.p2align	8
	.type	_ZN2at4cuda17kernelHistogram1DIlilLi1ELi2ELin1ELNS0_23CUDAHistogramMemoryTypeE1EZNS0_21CUDA_tensor_histogramIliLb0EEEbNS_6TensorES4_S4_lNS_14AccumulateTypeIT0_Lb1EE4typeES8_NS0_13TensorArgTypeES9_S9_EUllE0_EEvNS0_6detail10TensorInfoIT_T1_EESF_NSC_IKS6_SE_EElS8_S8_SE_T6_,@function
_ZN2at4cuda17kernelHistogram1DIlilLi1ELi2ELin1ELNS0_23CUDAHistogramMemoryTypeE1EZNS0_21CUDA_tensor_histogramIliLb0EEEbNS_6TensorES4_S4_lNS_14AccumulateTypeIT0_Lb1EE4typeES8_NS0_13TensorArgTypeES9_S9_EUllE0_EEvNS0_6detail10TensorInfoIT_T1_EESF_NSC_IKS6_SE_EElS8_S8_SE_T6_: ; @_ZN2at4cuda17kernelHistogram1DIlilLi1ELi2ELin1ELNS0_23CUDAHistogramMemoryTypeE1EZNS0_21CUDA_tensor_histogramIliLb0EEEbNS_6TensorES4_S4_lNS_14AccumulateTypeIT0_Lb1EE4typeES8_NS0_13TensorArgTypeES9_S9_EUllE0_EEvNS0_6detail10TensorInfoIT_T1_EESF_NSC_IKS6_SE_EElS8_S8_SE_T6_
; %bb.0:
	s_load_dword s2, s[4:5], 0x514
	s_load_dwordx8 s[8:15], s[4:5], 0x4e0
	s_add_u32 s0, s4, 0x508
	s_addc_u32 s1, s5, 0
	v_mov_b32_e32 v2, 0
	s_waitcnt lgkmcnt(0)
	s_and_b32 s2, s2, 0xffff
	s_mul_i32 s6, s6, s2
	v_add_u32_e32 v0, s6, v0
	v_mov_b32_e32 v1, v2
	v_cmp_gt_i64_e32 vcc, s[14:15], v[0:1]
	s_and_saveexec_b64 s[6:7], vcc
	s_cbranch_execz .LBB31_16
; %bb.1:
	s_load_dword s22, s[4:5], 0x4d8
	s_load_dword s3, s[0:1], 0x0
	s_add_u32 s23, s4, 0x340
	s_addc_u32 s24, s5, 0
	s_load_dwordx2 s[6:7], s[4:5], 0x0
	s_load_dwordx2 s[16:17], s[4:5], 0xd0
	;; [unrolled: 1-line block ×4, first 2 shown]
	s_waitcnt lgkmcnt(0)
	s_cmp_gt_i32 s22, 1
	s_cselect_b64 s[0:1], -1, 0
	s_sub_u32 s33, s12, s10
	s_subb_u32 s36, s13, s11
	s_mul_i32 s37, s3, s2
	s_mov_b32 s3, 0
	s_add_i32 s2, s22, -1
	s_add_i32 s38, s22, 1
	s_lshl_b64 s[2:3], s[2:3], 3
	s_add_u32 s2, s23, s2
	s_addc_u32 s3, s24, s3
	s_add_u32 s4, s2, 8
	v_cndmask_b32_e64 v3, 0, 1, s[0:1]
	v_mov_b32_e32 v4, 1
	s_addc_u32 s5, s3, 0
	s_mov_b64 s[22:23], 0
	v_mov_b32_e32 v5, 0
	v_cmp_ne_u32_e64 s[0:1], 1, v3
	s_branch .LBB31_4
.LBB31_2:                               ;   in Loop: Header=BB31_4 Depth=1
	s_or_b64 exec, exec, s[2:3]
	v_ashrrev_i32_e32 v9, 31, v8
	v_cmp_eq_u64_e32 vcc, s[8:9], v[8:9]
	v_cndmask_b32_e64 v3, 0, 1, vcc
	v_sub_co_u32_e32 v3, vcc, v8, v3
	v_subbrev_co_u32_e32 v6, vcc, 0, v9, vcc
	v_mul_lo_u32 v8, v6, s16
	v_mul_lo_u32 v9, v3, s17
	v_mad_u64_u32 v[6:7], s[2:3], v3, s16, 0
	v_mov_b32_e32 v3, s7
	v_add3_u32 v7, v7, v9, v8
	v_lshlrev_b64 v[6:7], 3, v[6:7]
	v_add_co_u32_e32 v6, vcc, s6, v6
	v_addc_co_u32_e32 v7, vcc, v3, v7, vcc
	global_atomic_add_x2 v[6:7], v[4:5], off
.LBB31_3:                               ;   in Loop: Header=BB31_4 Depth=1
	s_or_b64 exec, exec, s[24:25]
	v_add_co_u32_e32 v0, vcc, s37, v0
	v_addc_co_u32_e32 v1, vcc, 0, v1, vcc
	v_cmp_le_i64_e32 vcc, s[14:15], v[0:1]
	s_or_b64 s[22:23], vcc, s[22:23]
	s_andn2_b64 exec, exec, s[22:23]
	s_cbranch_execz .LBB31_16
.LBB31_4:                               ; =>This Loop Header: Depth=1
                                        ;     Child Loop BB31_5 Depth 2
	v_mov_b32_e32 v6, 0
	v_mov_b32_e32 v9, v1
	;; [unrolled: 1-line block ×4, first 2 shown]
	s_and_b64 vcc, exec, s[0:1]
	s_mov_b64 s[24:25], s[4:5]
	s_mov_b32 s39, s38
	v_mov_b32_e32 v8, v0
	v_mov_b32_e32 v10, v0
	s_cbranch_vccnz .LBB31_11
.LBB31_5:                               ;   Parent Loop BB31_4 Depth=1
                                        ; =>  This Inner Loop Header: Depth=2
	s_load_dwordx2 s[26:27], s[24:25], 0x0
                                        ; implicit-def: $vgpr10_vgpr11
	s_waitcnt lgkmcnt(0)
	v_or_b32_e32 v3, s27, v9
	v_cmp_ne_u64_e32 vcc, 0, v[2:3]
	s_and_saveexec_b64 s[2:3], vcc
	s_xor_b64 s[28:29], exec, s[2:3]
	s_cbranch_execz .LBB31_7
; %bb.6:                                ;   in Loop: Header=BB31_5 Depth=2
	s_ashr_i32 s30, s27, 31
	s_add_u32 s2, s26, s30
	s_mov_b32 s31, s30
	s_addc_u32 s3, s27, s30
	s_xor_b64 s[34:35], s[2:3], s[30:31]
	v_cvt_f32_u32_e32 v3, s34
	v_cvt_f32_u32_e32 v10, s35
	s_sub_u32 s31, 0, s34
	s_subb_u32 s40, 0, s35
	v_mac_f32_e32 v3, 0x4f800000, v10
	v_rcp_f32_e32 v3, v3
	v_mul_f32_e32 v3, 0x5f7ffffc, v3
	v_mul_f32_e32 v10, 0x2f800000, v3
	v_trunc_f32_e32 v10, v10
	v_mac_f32_e32 v3, 0xcf800000, v10
	v_cvt_u32_f32_e32 v10, v10
	v_cvt_u32_f32_e32 v3, v3
	v_readfirstlane_b32 s41, v10
	v_readfirstlane_b32 s2, v3
	s_mul_i32 s3, s31, s41
	s_mul_hi_u32 s43, s31, s2
	s_mul_i32 s42, s40, s2
	s_add_i32 s3, s43, s3
	s_add_i32 s3, s3, s42
	s_mul_i32 s44, s31, s2
	s_mul_i32 s43, s2, s3
	s_mul_hi_u32 s45, s2, s44
	s_mul_hi_u32 s42, s2, s3
	s_add_u32 s43, s45, s43
	s_addc_u32 s42, 0, s42
	s_mul_hi_u32 s46, s41, s44
	s_mul_i32 s44, s41, s44
	s_add_u32 s43, s43, s44
	s_mul_hi_u32 s45, s41, s3
	s_addc_u32 s42, s42, s46
	s_addc_u32 s43, s45, 0
	s_mul_i32 s3, s41, s3
	s_add_u32 s3, s42, s3
	s_addc_u32 s42, 0, s43
	s_add_u32 s43, s2, s3
	s_cselect_b64 s[2:3], -1, 0
	s_cmp_lg_u64 s[2:3], 0
	s_addc_u32 s41, s41, s42
	s_mul_i32 s2, s31, s41
	s_mul_hi_u32 s3, s31, s43
	s_add_i32 s2, s3, s2
	s_mul_i32 s40, s40, s43
	s_add_i32 s2, s2, s40
	s_mul_i32 s31, s31, s43
	s_mul_hi_u32 s40, s41, s31
	s_mul_i32 s42, s41, s31
	s_mul_i32 s45, s43, s2
	s_mul_hi_u32 s31, s43, s31
	s_mul_hi_u32 s44, s43, s2
	s_add_u32 s31, s31, s45
	s_addc_u32 s44, 0, s44
	s_add_u32 s31, s31, s42
	s_mul_hi_u32 s3, s41, s2
	s_addc_u32 s31, s44, s40
	s_addc_u32 s3, s3, 0
	s_mul_i32 s2, s41, s2
	s_add_u32 s2, s31, s2
	s_addc_u32 s31, 0, s3
	s_add_u32 s40, s43, s2
	s_cselect_b64 s[2:3], -1, 0
	v_ashrrev_i32_e32 v3, 31, v9
	s_cmp_lg_u64 s[2:3], 0
	v_add_co_u32_e32 v10, vcc, v8, v3
	s_addc_u32 s31, s41, s31
	v_xor_b32_e32 v14, v10, v3
	v_mad_u64_u32 v[10:11], s[2:3], v14, s31, 0
	v_mul_hi_u32 v13, v14, s40
	v_addc_co_u32_e32 v12, vcc, v9, v3, vcc
	v_xor_b32_e32 v15, v12, v3
	v_add_co_u32_e32 v16, vcc, v13, v10
	v_addc_co_u32_e32 v17, vcc, 0, v11, vcc
	v_mad_u64_u32 v[10:11], s[2:3], v15, s40, 0
	v_mad_u64_u32 v[12:13], s[2:3], v15, s31, 0
	v_add_co_u32_e32 v10, vcc, v16, v10
	v_addc_co_u32_e32 v10, vcc, v17, v11, vcc
	v_addc_co_u32_e32 v11, vcc, 0, v13, vcc
	v_add_co_u32_e32 v12, vcc, v10, v12
	v_addc_co_u32_e32 v13, vcc, 0, v11, vcc
	v_mul_lo_u32 v16, s35, v12
	v_mul_lo_u32 v17, s34, v13
	v_mad_u64_u32 v[10:11], s[2:3], s34, v12, 0
	v_xor_b32_e32 v3, s30, v3
	v_add3_u32 v11, v11, v17, v16
	v_sub_u32_e32 v16, v15, v11
	v_mov_b32_e32 v17, s35
	v_sub_co_u32_e32 v10, vcc, v14, v10
	v_subb_co_u32_e64 v14, s[2:3], v16, v17, vcc
	v_subrev_co_u32_e64 v16, s[2:3], s34, v10
	v_subbrev_co_u32_e64 v14, s[2:3], 0, v14, s[2:3]
	v_cmp_le_u32_e64 s[2:3], s35, v14
	v_cndmask_b32_e64 v17, 0, -1, s[2:3]
	v_cmp_le_u32_e64 s[2:3], s34, v16
	v_cndmask_b32_e64 v16, 0, -1, s[2:3]
	v_cmp_eq_u32_e64 s[2:3], s35, v14
	v_cndmask_b32_e64 v14, v17, v16, s[2:3]
	v_add_co_u32_e64 v16, s[2:3], 2, v12
	v_subb_co_u32_e32 v11, vcc, v15, v11, vcc
	v_addc_co_u32_e64 v17, s[2:3], 0, v13, s[2:3]
	v_cmp_le_u32_e32 vcc, s35, v11
	v_add_co_u32_e64 v18, s[2:3], 1, v12
	v_cndmask_b32_e64 v15, 0, -1, vcc
	v_cmp_le_u32_e32 vcc, s34, v10
	v_addc_co_u32_e64 v19, s[2:3], 0, v13, s[2:3]
	v_cndmask_b32_e64 v10, 0, -1, vcc
	v_cmp_eq_u32_e32 vcc, s35, v11
	v_cmp_ne_u32_e64 s[2:3], 0, v14
	v_cndmask_b32_e32 v10, v15, v10, vcc
	v_cndmask_b32_e64 v14, v19, v17, s[2:3]
	v_cmp_ne_u32_e32 vcc, 0, v10
	v_cndmask_b32_e64 v11, v18, v16, s[2:3]
	v_cndmask_b32_e32 v10, v13, v14, vcc
	v_cndmask_b32_e32 v11, v12, v11, vcc
	v_xor_b32_e32 v12, v10, v3
	v_xor_b32_e32 v10, v11, v3
	v_sub_co_u32_e32 v10, vcc, v10, v3
	v_subb_co_u32_e32 v11, vcc, v12, v3, vcc
.LBB31_7:                               ;   in Loop: Header=BB31_5 Depth=2
	s_andn2_saveexec_b64 s[2:3], s[28:29]
	s_cbranch_execz .LBB31_9
; %bb.8:                                ;   in Loop: Header=BB31_5 Depth=2
	v_cvt_f32_u32_e32 v3, s26
	s_sub_i32 s28, 0, s26
	v_rcp_iflag_f32_e32 v3, v3
	v_mul_f32_e32 v3, 0x4f7ffffe, v3
	v_cvt_u32_f32_e32 v3, v3
	v_mul_lo_u32 v10, s28, v3
	v_mul_hi_u32 v10, v3, v10
	v_add_u32_e32 v3, v3, v10
	v_mul_hi_u32 v3, v8, v3
	v_mul_lo_u32 v10, v3, s26
	v_add_u32_e32 v11, 1, v3
	v_sub_u32_e32 v10, v8, v10
	v_subrev_u32_e32 v12, s26, v10
	v_cmp_le_u32_e32 vcc, s26, v10
	v_cndmask_b32_e32 v10, v10, v12, vcc
	v_cndmask_b32_e32 v3, v3, v11, vcc
	v_add_u32_e32 v11, 1, v3
	v_cmp_le_u32_e32 vcc, s26, v10
	v_cndmask_b32_e32 v10, v3, v11, vcc
	v_mov_b32_e32 v11, v2
.LBB31_9:                               ;   in Loop: Header=BB31_5 Depth=2
	s_or_b64 exec, exec, s[2:3]
	v_mul_lo_u32 v3, v11, s26
	v_mul_lo_u32 v14, v10, s27
	v_mad_u64_u32 v[12:13], s[2:3], v10, s26, 0
	s_load_dwordx2 s[2:3], s[24:25], 0xc8
	s_add_i32 s39, s39, -1
	v_add3_u32 v3, v13, v14, v3
	v_sub_co_u32_e32 v8, vcc, v8, v12
	v_subb_co_u32_e32 v3, vcc, v9, v3, vcc
	s_waitcnt lgkmcnt(0)
	v_mul_lo_u32 v3, s2, v3
	v_mul_lo_u32 v9, s3, v8
	v_mad_u64_u32 v[6:7], s[2:3], s2, v8, v[6:7]
	s_add_u32 s24, s24, -8
	s_addc_u32 s25, s25, -1
	s_cmp_gt_u32 s39, 2
	v_add3_u32 v7, v9, v7, v3
	s_cbranch_scc0 .LBB31_11
; %bb.10:                               ;   in Loop: Header=BB31_5 Depth=2
	v_mov_b32_e32 v8, v10
	v_mov_b32_e32 v9, v11
	s_branch .LBB31_5
.LBB31_11:                              ;   in Loop: Header=BB31_4 Depth=1
	v_mul_lo_u32 v3, s19, v10
	v_mul_lo_u32 v11, s18, v11
	v_mad_u64_u32 v[8:9], s[2:3], s18, v10, 0
	v_lshlrev_b64 v[6:7], 2, v[6:7]
	v_add3_u32 v9, v9, v11, v3
	v_lshlrev_b64 v[8:9], 2, v[8:9]
	v_mov_b32_e32 v3, s21
	v_add_co_u32_e32 v8, vcc, s20, v8
	v_addc_co_u32_e32 v3, vcc, v3, v9, vcc
	v_add_co_u32_e32 v6, vcc, v8, v6
	v_addc_co_u32_e32 v7, vcc, v3, v7, vcc
	global_load_dword v6, v[6:7], off
	s_waitcnt vmcnt(0)
	v_ashrrev_i32_e32 v7, 31, v6
	v_cmp_le_i64_e32 vcc, s[10:11], v[6:7]
	v_cmp_ge_i64_e64 s[2:3], s[12:13], v[6:7]
	s_and_b64 s[2:3], vcc, s[2:3]
	s_and_saveexec_b64 s[24:25], s[2:3]
	s_cbranch_execz .LBB31_3
; %bb.12:                               ;   in Loop: Header=BB31_4 Depth=1
	v_mov_b32_e32 v3, s11
	v_subrev_co_u32_e32 v6, vcc, s10, v6
	v_subb_co_u32_e32 v3, vcc, v7, v3, vcc
	v_mul_lo_u32 v3, v3, s8
	v_mul_lo_u32 v8, v6, s9
	v_mad_u64_u32 v[6:7], s[2:3], v6, s8, 0
	v_add3_u32 v7, v7, v8, v3
	v_or_b32_e32 v3, s36, v7
	v_cmp_ne_u64_e32 vcc, 0, v[2:3]
                                        ; implicit-def: $vgpr8_vgpr9
	s_and_saveexec_b64 s[2:3], vcc
	s_xor_b64 s[26:27], exec, s[2:3]
	s_cbranch_execz .LBB31_14
; %bb.13:                               ;   in Loop: Header=BB31_4 Depth=1
	s_ashr_i32 s28, s36, 31
	s_add_u32 s2, s33, s28
	s_mov_b32 s29, s28
	s_addc_u32 s3, s36, s28
	s_xor_b64 s[30:31], s[2:3], s[28:29]
	v_cvt_f32_u32_e32 v3, s30
	v_cvt_f32_u32_e32 v8, s31
	s_sub_u32 s29, 0, s30
	s_subb_u32 s34, 0, s31
	v_mac_f32_e32 v3, 0x4f800000, v8
	v_rcp_f32_e32 v3, v3
	v_mul_f32_e32 v3, 0x5f7ffffc, v3
	v_mul_f32_e32 v8, 0x2f800000, v3
	v_trunc_f32_e32 v8, v8
	v_mac_f32_e32 v3, 0xcf800000, v8
	v_cvt_u32_f32_e32 v8, v8
	v_cvt_u32_f32_e32 v3, v3
	v_readfirstlane_b32 s35, v8
	v_readfirstlane_b32 s2, v3
	s_mul_i32 s3, s29, s35
	s_mul_hi_u32 s40, s29, s2
	s_mul_i32 s39, s34, s2
	s_add_i32 s3, s40, s3
	s_add_i32 s3, s3, s39
	s_mul_i32 s41, s29, s2
	s_mul_i32 s40, s2, s3
	s_mul_hi_u32 s42, s2, s41
	s_mul_hi_u32 s39, s2, s3
	s_add_u32 s40, s42, s40
	s_addc_u32 s39, 0, s39
	s_mul_hi_u32 s43, s35, s41
	s_mul_i32 s41, s35, s41
	s_add_u32 s40, s40, s41
	s_mul_hi_u32 s42, s35, s3
	s_addc_u32 s39, s39, s43
	s_addc_u32 s40, s42, 0
	s_mul_i32 s3, s35, s3
	s_add_u32 s3, s39, s3
	s_addc_u32 s39, 0, s40
	s_add_u32 s40, s2, s3
	s_cselect_b64 s[2:3], -1, 0
	s_cmp_lg_u64 s[2:3], 0
	s_addc_u32 s35, s35, s39
	s_mul_i32 s2, s29, s35
	s_mul_hi_u32 s3, s29, s40
	s_add_i32 s2, s3, s2
	s_mul_i32 s34, s34, s40
	s_add_i32 s2, s2, s34
	s_mul_i32 s29, s29, s40
	s_mul_hi_u32 s34, s35, s29
	s_mul_i32 s39, s35, s29
	s_mul_i32 s42, s40, s2
	s_mul_hi_u32 s29, s40, s29
	s_mul_hi_u32 s41, s40, s2
	s_add_u32 s29, s29, s42
	s_addc_u32 s41, 0, s41
	s_add_u32 s29, s29, s39
	s_mul_hi_u32 s3, s35, s2
	s_addc_u32 s29, s41, s34
	s_addc_u32 s3, s3, 0
	s_mul_i32 s2, s35, s2
	s_add_u32 s2, s29, s2
	s_addc_u32 s29, 0, s3
	s_add_u32 s34, s40, s2
	s_cselect_b64 s[2:3], -1, 0
	v_ashrrev_i32_e32 v3, 31, v7
	s_cmp_lg_u64 s[2:3], 0
	v_add_co_u32_e32 v6, vcc, v6, v3
	s_addc_u32 s29, s35, s29
	v_xor_b32_e32 v10, v6, v3
	v_addc_co_u32_e32 v8, vcc, v7, v3, vcc
	v_mad_u64_u32 v[6:7], s[2:3], v10, s29, 0
	v_mul_hi_u32 v9, v10, s34
	v_xor_b32_e32 v11, v8, v3
	v_xor_b32_e32 v3, s28, v3
	v_add_co_u32_e32 v12, vcc, v9, v6
	v_addc_co_u32_e32 v13, vcc, 0, v7, vcc
	v_mad_u64_u32 v[6:7], s[2:3], v11, s34, 0
	v_mad_u64_u32 v[8:9], s[2:3], v11, s29, 0
	v_add_co_u32_e32 v6, vcc, v12, v6
	v_addc_co_u32_e32 v6, vcc, v13, v7, vcc
	v_addc_co_u32_e32 v7, vcc, 0, v9, vcc
	v_add_co_u32_e32 v8, vcc, v6, v8
	v_addc_co_u32_e32 v6, vcc, 0, v7, vcc
	v_mul_lo_u32 v9, s31, v8
	v_mul_lo_u32 v12, s30, v6
	v_mad_u64_u32 v[6:7], s[2:3], s30, v8, 0
	v_add3_u32 v7, v7, v12, v9
	v_sub_u32_e32 v9, v11, v7
	v_mov_b32_e32 v12, s31
	v_sub_co_u32_e32 v6, vcc, v10, v6
	v_subb_co_u32_e64 v9, s[2:3], v9, v12, vcc
	v_subrev_co_u32_e64 v10, s[2:3], s30, v6
	v_subbrev_co_u32_e64 v9, s[2:3], 0, v9, s[2:3]
	v_cmp_le_u32_e64 s[2:3], s31, v9
	v_subb_co_u32_e32 v7, vcc, v11, v7, vcc
	v_cndmask_b32_e64 v12, 0, -1, s[2:3]
	v_cmp_le_u32_e64 s[2:3], s30, v10
	v_cmp_le_u32_e32 vcc, s31, v7
	v_cndmask_b32_e64 v10, 0, -1, s[2:3]
	v_cmp_eq_u32_e64 s[2:3], s31, v9
	v_cndmask_b32_e64 v11, 0, -1, vcc
	v_cmp_le_u32_e32 vcc, s30, v6
	v_cndmask_b32_e64 v9, v12, v10, s[2:3]
	v_cndmask_b32_e64 v6, 0, -1, vcc
	v_cmp_eq_u32_e32 vcc, s31, v7
	v_add_co_u32_e64 v10, s[2:3], 2, v8
	v_add_co_u32_e64 v12, s[2:3], 1, v8
	v_cndmask_b32_e32 v6, v11, v6, vcc
	v_cmp_ne_u32_e32 vcc, 0, v9
	v_cndmask_b32_e32 v7, v12, v10, vcc
	v_cmp_ne_u32_e32 vcc, 0, v6
	v_cndmask_b32_e32 v6, v8, v7, vcc
	v_xor_b32_e32 v6, v6, v3
	v_sub_co_u32_e32 v8, vcc, v6, v3
                                        ; implicit-def: $vgpr6_vgpr7
.LBB31_14:                              ;   in Loop: Header=BB31_4 Depth=1
	s_andn2_saveexec_b64 s[2:3], s[26:27]
	s_cbranch_execz .LBB31_2
; %bb.15:                               ;   in Loop: Header=BB31_4 Depth=1
	v_cvt_f32_u32_e32 v3, s33
	s_sub_i32 s26, 0, s33
	v_rcp_iflag_f32_e32 v3, v3
	v_mul_f32_e32 v3, 0x4f7ffffe, v3
	v_cvt_u32_f32_e32 v3, v3
	v_mul_lo_u32 v7, s26, v3
	v_mul_hi_u32 v7, v3, v7
	v_add_u32_e32 v3, v3, v7
	v_mul_hi_u32 v3, v6, v3
	v_mul_lo_u32 v7, v3, s33
	v_add_u32_e32 v8, 1, v3
	v_sub_u32_e32 v6, v6, v7
	v_subrev_u32_e32 v7, s33, v6
	v_cmp_le_u32_e32 vcc, s33, v6
	v_cndmask_b32_e32 v6, v6, v7, vcc
	v_cndmask_b32_e32 v3, v3, v8, vcc
	v_add_u32_e32 v7, 1, v3
	v_cmp_le_u32_e32 vcc, s33, v6
	v_cndmask_b32_e32 v8, v3, v7, vcc
	s_branch .LBB31_2
.LBB31_16:
	s_endpgm
	.section	.rodata,"a",@progbits
	.p2align	6, 0x0
	.amdhsa_kernel _ZN2at4cuda17kernelHistogram1DIlilLi1ELi2ELin1ELNS0_23CUDAHistogramMemoryTypeE1EZNS0_21CUDA_tensor_histogramIliLb0EEEbNS_6TensorES4_S4_lNS_14AccumulateTypeIT0_Lb1EE4typeES8_NS0_13TensorArgTypeES9_S9_EUllE0_EEvNS0_6detail10TensorInfoIT_T1_EESF_NSC_IKS6_SE_EElS8_S8_SE_T6_
		.amdhsa_group_segment_fixed_size 0
		.amdhsa_private_segment_fixed_size 0
		.amdhsa_kernarg_size 1544
		.amdhsa_user_sgpr_count 6
		.amdhsa_user_sgpr_private_segment_buffer 1
		.amdhsa_user_sgpr_dispatch_ptr 0
		.amdhsa_user_sgpr_queue_ptr 0
		.amdhsa_user_sgpr_kernarg_segment_ptr 1
		.amdhsa_user_sgpr_dispatch_id 0
		.amdhsa_user_sgpr_flat_scratch_init 0
		.amdhsa_user_sgpr_private_segment_size 0
		.amdhsa_uses_dynamic_stack 0
		.amdhsa_system_sgpr_private_segment_wavefront_offset 0
		.amdhsa_system_sgpr_workgroup_id_x 1
		.amdhsa_system_sgpr_workgroup_id_y 0
		.amdhsa_system_sgpr_workgroup_id_z 0
		.amdhsa_system_sgpr_workgroup_info 0
		.amdhsa_system_vgpr_workitem_id 0
		.amdhsa_next_free_vgpr 20
		.amdhsa_next_free_sgpr 47
		.amdhsa_reserve_vcc 1
		.amdhsa_reserve_flat_scratch 0
		.amdhsa_float_round_mode_32 0
		.amdhsa_float_round_mode_16_64 0
		.amdhsa_float_denorm_mode_32 3
		.amdhsa_float_denorm_mode_16_64 3
		.amdhsa_dx10_clamp 1
		.amdhsa_ieee_mode 1
		.amdhsa_fp16_overflow 0
		.amdhsa_exception_fp_ieee_invalid_op 0
		.amdhsa_exception_fp_denorm_src 0
		.amdhsa_exception_fp_ieee_div_zero 0
		.amdhsa_exception_fp_ieee_overflow 0
		.amdhsa_exception_fp_ieee_underflow 0
		.amdhsa_exception_fp_ieee_inexact 0
		.amdhsa_exception_int_div_zero 0
	.end_amdhsa_kernel
	.section	.text._ZN2at4cuda17kernelHistogram1DIlilLi1ELi2ELin1ELNS0_23CUDAHistogramMemoryTypeE1EZNS0_21CUDA_tensor_histogramIliLb0EEEbNS_6TensorES4_S4_lNS_14AccumulateTypeIT0_Lb1EE4typeES8_NS0_13TensorArgTypeES9_S9_EUllE0_EEvNS0_6detail10TensorInfoIT_T1_EESF_NSC_IKS6_SE_EElS8_S8_SE_T6_,"axG",@progbits,_ZN2at4cuda17kernelHistogram1DIlilLi1ELi2ELin1ELNS0_23CUDAHistogramMemoryTypeE1EZNS0_21CUDA_tensor_histogramIliLb0EEEbNS_6TensorES4_S4_lNS_14AccumulateTypeIT0_Lb1EE4typeES8_NS0_13TensorArgTypeES9_S9_EUllE0_EEvNS0_6detail10TensorInfoIT_T1_EESF_NSC_IKS6_SE_EElS8_S8_SE_T6_,comdat
.Lfunc_end31:
	.size	_ZN2at4cuda17kernelHistogram1DIlilLi1ELi2ELin1ELNS0_23CUDAHistogramMemoryTypeE1EZNS0_21CUDA_tensor_histogramIliLb0EEEbNS_6TensorES4_S4_lNS_14AccumulateTypeIT0_Lb1EE4typeES8_NS0_13TensorArgTypeES9_S9_EUllE0_EEvNS0_6detail10TensorInfoIT_T1_EESF_NSC_IKS6_SE_EElS8_S8_SE_T6_, .Lfunc_end31-_ZN2at4cuda17kernelHistogram1DIlilLi1ELi2ELin1ELNS0_23CUDAHistogramMemoryTypeE1EZNS0_21CUDA_tensor_histogramIliLb0EEEbNS_6TensorES4_S4_lNS_14AccumulateTypeIT0_Lb1EE4typeES8_NS0_13TensorArgTypeES9_S9_EUllE0_EEvNS0_6detail10TensorInfoIT_T1_EESF_NSC_IKS6_SE_EElS8_S8_SE_T6_
                                        ; -- End function
	.set _ZN2at4cuda17kernelHistogram1DIlilLi1ELi2ELin1ELNS0_23CUDAHistogramMemoryTypeE1EZNS0_21CUDA_tensor_histogramIliLb0EEEbNS_6TensorES4_S4_lNS_14AccumulateTypeIT0_Lb1EE4typeES8_NS0_13TensorArgTypeES9_S9_EUllE0_EEvNS0_6detail10TensorInfoIT_T1_EESF_NSC_IKS6_SE_EElS8_S8_SE_T6_.num_vgpr, 20
	.set _ZN2at4cuda17kernelHistogram1DIlilLi1ELi2ELin1ELNS0_23CUDAHistogramMemoryTypeE1EZNS0_21CUDA_tensor_histogramIliLb0EEEbNS_6TensorES4_S4_lNS_14AccumulateTypeIT0_Lb1EE4typeES8_NS0_13TensorArgTypeES9_S9_EUllE0_EEvNS0_6detail10TensorInfoIT_T1_EESF_NSC_IKS6_SE_EElS8_S8_SE_T6_.num_agpr, 0
	.set _ZN2at4cuda17kernelHistogram1DIlilLi1ELi2ELin1ELNS0_23CUDAHistogramMemoryTypeE1EZNS0_21CUDA_tensor_histogramIliLb0EEEbNS_6TensorES4_S4_lNS_14AccumulateTypeIT0_Lb1EE4typeES8_NS0_13TensorArgTypeES9_S9_EUllE0_EEvNS0_6detail10TensorInfoIT_T1_EESF_NSC_IKS6_SE_EElS8_S8_SE_T6_.numbered_sgpr, 47
	.set _ZN2at4cuda17kernelHistogram1DIlilLi1ELi2ELin1ELNS0_23CUDAHistogramMemoryTypeE1EZNS0_21CUDA_tensor_histogramIliLb0EEEbNS_6TensorES4_S4_lNS_14AccumulateTypeIT0_Lb1EE4typeES8_NS0_13TensorArgTypeES9_S9_EUllE0_EEvNS0_6detail10TensorInfoIT_T1_EESF_NSC_IKS6_SE_EElS8_S8_SE_T6_.num_named_barrier, 0
	.set _ZN2at4cuda17kernelHistogram1DIlilLi1ELi2ELin1ELNS0_23CUDAHistogramMemoryTypeE1EZNS0_21CUDA_tensor_histogramIliLb0EEEbNS_6TensorES4_S4_lNS_14AccumulateTypeIT0_Lb1EE4typeES8_NS0_13TensorArgTypeES9_S9_EUllE0_EEvNS0_6detail10TensorInfoIT_T1_EESF_NSC_IKS6_SE_EElS8_S8_SE_T6_.private_seg_size, 0
	.set _ZN2at4cuda17kernelHistogram1DIlilLi1ELi2ELin1ELNS0_23CUDAHistogramMemoryTypeE1EZNS0_21CUDA_tensor_histogramIliLb0EEEbNS_6TensorES4_S4_lNS_14AccumulateTypeIT0_Lb1EE4typeES8_NS0_13TensorArgTypeES9_S9_EUllE0_EEvNS0_6detail10TensorInfoIT_T1_EESF_NSC_IKS6_SE_EElS8_S8_SE_T6_.uses_vcc, 1
	.set _ZN2at4cuda17kernelHistogram1DIlilLi1ELi2ELin1ELNS0_23CUDAHistogramMemoryTypeE1EZNS0_21CUDA_tensor_histogramIliLb0EEEbNS_6TensorES4_S4_lNS_14AccumulateTypeIT0_Lb1EE4typeES8_NS0_13TensorArgTypeES9_S9_EUllE0_EEvNS0_6detail10TensorInfoIT_T1_EESF_NSC_IKS6_SE_EElS8_S8_SE_T6_.uses_flat_scratch, 0
	.set _ZN2at4cuda17kernelHistogram1DIlilLi1ELi2ELin1ELNS0_23CUDAHistogramMemoryTypeE1EZNS0_21CUDA_tensor_histogramIliLb0EEEbNS_6TensorES4_S4_lNS_14AccumulateTypeIT0_Lb1EE4typeES8_NS0_13TensorArgTypeES9_S9_EUllE0_EEvNS0_6detail10TensorInfoIT_T1_EESF_NSC_IKS6_SE_EElS8_S8_SE_T6_.has_dyn_sized_stack, 0
	.set _ZN2at4cuda17kernelHistogram1DIlilLi1ELi2ELin1ELNS0_23CUDAHistogramMemoryTypeE1EZNS0_21CUDA_tensor_histogramIliLb0EEEbNS_6TensorES4_S4_lNS_14AccumulateTypeIT0_Lb1EE4typeES8_NS0_13TensorArgTypeES9_S9_EUllE0_EEvNS0_6detail10TensorInfoIT_T1_EESF_NSC_IKS6_SE_EElS8_S8_SE_T6_.has_recursion, 0
	.set _ZN2at4cuda17kernelHistogram1DIlilLi1ELi2ELin1ELNS0_23CUDAHistogramMemoryTypeE1EZNS0_21CUDA_tensor_histogramIliLb0EEEbNS_6TensorES4_S4_lNS_14AccumulateTypeIT0_Lb1EE4typeES8_NS0_13TensorArgTypeES9_S9_EUllE0_EEvNS0_6detail10TensorInfoIT_T1_EESF_NSC_IKS6_SE_EElS8_S8_SE_T6_.has_indirect_call, 0
	.section	.AMDGPU.csdata,"",@progbits
; Kernel info:
; codeLenInByte = 2080
; TotalNumSgprs: 51
; NumVgprs: 20
; ScratchSize: 0
; MemoryBound: 0
; FloatMode: 240
; IeeeMode: 1
; LDSByteSize: 0 bytes/workgroup (compile time only)
; SGPRBlocks: 6
; VGPRBlocks: 4
; NumSGPRsForWavesPerEU: 51
; NumVGPRsForWavesPerEU: 20
; Occupancy: 10
; WaveLimiterHint : 1
; COMPUTE_PGM_RSRC2:SCRATCH_EN: 0
; COMPUTE_PGM_RSRC2:USER_SGPR: 6
; COMPUTE_PGM_RSRC2:TRAP_HANDLER: 0
; COMPUTE_PGM_RSRC2:TGID_X_EN: 1
; COMPUTE_PGM_RSRC2:TGID_Y_EN: 0
; COMPUTE_PGM_RSRC2:TGID_Z_EN: 0
; COMPUTE_PGM_RSRC2:TIDIG_COMP_CNT: 0
	.section	.text._ZN2at4cuda17kernelHistogram1DIdilLi1ELi2ELin1ELNS0_23CUDAHistogramMemoryTypeE0EZNS0_21CUDA_tensor_histogramIdiLb1EEEbNS_6TensorES4_S4_lNS_14AccumulateTypeIT0_Lb1EE4typeES8_NS0_13TensorArgTypeES9_S9_EUllE_EEvNS0_6detail10TensorInfoIT_T1_EESF_NSC_IKS6_SE_EElS8_S8_SE_T6_,"axG",@progbits,_ZN2at4cuda17kernelHistogram1DIdilLi1ELi2ELin1ELNS0_23CUDAHistogramMemoryTypeE0EZNS0_21CUDA_tensor_histogramIdiLb1EEEbNS_6TensorES4_S4_lNS_14AccumulateTypeIT0_Lb1EE4typeES8_NS0_13TensorArgTypeES9_S9_EUllE_EEvNS0_6detail10TensorInfoIT_T1_EESF_NSC_IKS6_SE_EElS8_S8_SE_T6_,comdat
	.protected	_ZN2at4cuda17kernelHistogram1DIdilLi1ELi2ELin1ELNS0_23CUDAHistogramMemoryTypeE0EZNS0_21CUDA_tensor_histogramIdiLb1EEEbNS_6TensorES4_S4_lNS_14AccumulateTypeIT0_Lb1EE4typeES8_NS0_13TensorArgTypeES9_S9_EUllE_EEvNS0_6detail10TensorInfoIT_T1_EESF_NSC_IKS6_SE_EElS8_S8_SE_T6_ ; -- Begin function _ZN2at4cuda17kernelHistogram1DIdilLi1ELi2ELin1ELNS0_23CUDAHistogramMemoryTypeE0EZNS0_21CUDA_tensor_histogramIdiLb1EEEbNS_6TensorES4_S4_lNS_14AccumulateTypeIT0_Lb1EE4typeES8_NS0_13TensorArgTypeES9_S9_EUllE_EEvNS0_6detail10TensorInfoIT_T1_EESF_NSC_IKS6_SE_EElS8_S8_SE_T6_
	.globl	_ZN2at4cuda17kernelHistogram1DIdilLi1ELi2ELin1ELNS0_23CUDAHistogramMemoryTypeE0EZNS0_21CUDA_tensor_histogramIdiLb1EEEbNS_6TensorES4_S4_lNS_14AccumulateTypeIT0_Lb1EE4typeES8_NS0_13TensorArgTypeES9_S9_EUllE_EEvNS0_6detail10TensorInfoIT_T1_EESF_NSC_IKS6_SE_EElS8_S8_SE_T6_
	.p2align	8
	.type	_ZN2at4cuda17kernelHistogram1DIdilLi1ELi2ELin1ELNS0_23CUDAHistogramMemoryTypeE0EZNS0_21CUDA_tensor_histogramIdiLb1EEEbNS_6TensorES4_S4_lNS_14AccumulateTypeIT0_Lb1EE4typeES8_NS0_13TensorArgTypeES9_S9_EUllE_EEvNS0_6detail10TensorInfoIT_T1_EESF_NSC_IKS6_SE_EElS8_S8_SE_T6_,@function
_ZN2at4cuda17kernelHistogram1DIdilLi1ELi2ELin1ELNS0_23CUDAHistogramMemoryTypeE0EZNS0_21CUDA_tensor_histogramIdiLb1EEEbNS_6TensorES4_S4_lNS_14AccumulateTypeIT0_Lb1EE4typeES8_NS0_13TensorArgTypeES9_S9_EUllE_EEvNS0_6detail10TensorInfoIT_T1_EESF_NSC_IKS6_SE_EElS8_S8_SE_T6_: ; @_ZN2at4cuda17kernelHistogram1DIdilLi1ELi2ELin1ELNS0_23CUDAHistogramMemoryTypeE0EZNS0_21CUDA_tensor_histogramIdiLb1EEEbNS_6TensorES4_S4_lNS_14AccumulateTypeIT0_Lb1EE4typeES8_NS0_13TensorArgTypeES9_S9_EUllE_EEvNS0_6detail10TensorInfoIT_T1_EESF_NSC_IKS6_SE_EElS8_S8_SE_T6_
; %bb.0:
	s_load_dwordx4 s[16:19], s[4:5], 0x0
	s_load_dwordx2 s[22:23], s[4:5], 0x500
	s_load_dwordx8 s[8:15], s[4:5], 0x4e0
	v_mov_b32_e32 v1, 0
	s_add_u32 s2, s4, 0x6a0
	s_waitcnt lgkmcnt(0)
	v_cmp_gt_i64_e64 s[0:1], s[18:19], v[0:1]
	v_cmp_le_i64_e32 vcc, s[18:19], v[0:1]
	s_addc_u32 s3, s5, 0
                                        ; implicit-def: $sgpr28
                                        ; implicit-def: $sgpr7
	s_and_saveexec_b64 s[20:21], vcc
	s_xor_b64 s[20:21], exec, s[20:21]
	s_cbranch_execz .LBB32_2
; %bb.1:
	s_load_dword s28, s[2:3], 0xc
	s_waitcnt lgkmcnt(0)
	s_and_b32 s7, s28, 0xffff
.LBB32_2:
	s_or_saveexec_b64 s[26:27], s[20:21]
	s_load_dwordx2 s[20:21], s[4:5], 0xd0
	s_load_dwordx2 s[24:25], s[4:5], 0x5d0
	v_mov_b32_e32 v12, s28
	v_mov_b32_e32 v5, s7
	s_xor_b64 exec, exec, s[26:27]
	s_cbranch_execz .LBB32_6
; %bb.3:
	s_load_dword s7, s[2:3], 0xc
	v_mov_b32_e32 v2, 0
	v_mov_b32_e32 v5, v1
	v_lshl_add_u32 v6, v0, 3, 0
	s_mov_b64 s[28:29], 0
	s_waitcnt lgkmcnt(0)
	s_and_b32 s30, s7, 0xffff
	v_mov_b32_e32 v3, v2
	s_lshl_b32 s31, s30, 3
	v_mov_b32_e32 v4, v0
.LBB32_4:                               ; =>This Inner Loop Header: Depth=1
	v_add_co_u32_e32 v4, vcc, s30, v4
	v_addc_co_u32_e32 v5, vcc, 0, v5, vcc
	v_cmp_le_i64_e32 vcc, s[18:19], v[4:5]
	ds_write_b64 v6, v[2:3]
	s_or_b64 s[28:29], vcc, s[28:29]
	v_add_u32_e32 v6, s31, v6
	s_andn2_b64 exec, exec, s[28:29]
	s_cbranch_execnz .LBB32_4
; %bb.5:
	s_or_b64 exec, exec, s[28:29]
	v_mov_b32_e32 v12, s7
	v_mov_b32_e32 v5, s30
.LBB32_6:
	s_or_b64 exec, exec, s[26:27]
	v_mad_u64_u32 v[2:3], s[6:7], s6, v5, v[0:1]
	v_mov_b32_e32 v4, 0
	v_mov_b32_e32 v3, v4
	v_cmp_gt_i64_e32 vcc, s[14:15], v[2:3]
	s_waitcnt lgkmcnt(0)
	s_barrier
	s_and_saveexec_b64 s[6:7], vcc
	s_cbranch_execz .LBB32_23
; %bb.7:
	s_load_dword s30, s[4:5], 0x4d8
	s_load_dwordx2 s[28:29], s[4:5], 0x340
	s_add_u32 s31, s4, 0x340
	s_addc_u32 s35, s5, 0
	s_load_dword s34, s[2:3], 0x0
	s_load_dwordx2 s[26:27], s[4:5], 0x410
	s_waitcnt lgkmcnt(0)
	s_cmp_gt_i32 s30, 1
	s_cselect_b64 s[2:3], -1, 0
	s_sub_u32 s33, s12, s10
	s_subb_u32 s46, s13, s11
	s_mov_b32 s5, 0
	s_add_i32 s4, s30, -1
	s_add_i32 s47, s30, 1
	s_lshl_b64 s[4:5], s[4:5], 3
	v_mul_lo_u32 v13, s34, v5
	s_add_u32 s4, s31, s4
	s_addc_u32 s5, s35, s5
	s_add_u32 s30, s4, 8
	v_cndmask_b32_e64 v5, 0, 1, s[2:3]
	s_addc_u32 s31, s5, 0
	s_mov_b64 s[34:35], 0
	v_cmp_ne_u32_e64 s[2:3], 1, v5
	s_branch .LBB32_9
.LBB32_8:                               ;   in Loop: Header=BB32_9 Depth=1
	s_or_b64 exec, exec, s[36:37]
	v_add_co_u32_e32 v2, vcc, v2, v13
	v_addc_co_u32_e32 v3, vcc, 0, v3, vcc
	v_cmp_le_i64_e32 vcc, s[14:15], v[2:3]
	s_or_b64 s[34:35], vcc, s[34:35]
	s_andn2_b64 exec, exec, s[34:35]
	s_cbranch_execz .LBB32_23
.LBB32_9:                               ; =>This Loop Header: Depth=1
                                        ;     Child Loop BB32_10 Depth 2
                                        ;     Child Loop BB32_22 Depth 2
	v_mov_b32_e32 v6, 0
	v_mov_b32_e32 v9, v3
	;; [unrolled: 1-line block ×4, first 2 shown]
	s_and_b64 vcc, exec, s[2:3]
	s_mov_b64 s[36:37], s[30:31]
	s_mov_b32 s48, s47
	v_mov_b32_e32 v8, v2
	v_mov_b32_e32 v10, v2
	s_cbranch_vccnz .LBB32_16
.LBB32_10:                              ;   Parent Loop BB32_9 Depth=1
                                        ; =>  This Inner Loop Header: Depth=2
	s_load_dwordx2 s[38:39], s[36:37], 0x0
                                        ; implicit-def: $vgpr10_vgpr11
	s_waitcnt lgkmcnt(0)
	v_or_b32_e32 v5, s39, v9
	v_cmp_ne_u64_e32 vcc, 0, v[4:5]
	s_and_saveexec_b64 s[4:5], vcc
	s_xor_b64 s[40:41], exec, s[4:5]
	s_cbranch_execz .LBB32_12
; %bb.11:                               ;   in Loop: Header=BB32_10 Depth=2
	s_ashr_i32 s42, s39, 31
	s_add_u32 s4, s38, s42
	s_mov_b32 s43, s42
	s_addc_u32 s5, s39, s42
	s_xor_b64 s[44:45], s[4:5], s[42:43]
	v_cvt_f32_u32_e32 v5, s44
	v_cvt_f32_u32_e32 v10, s45
	s_sub_u32 s43, 0, s44
	s_subb_u32 s49, 0, s45
	v_mac_f32_e32 v5, 0x4f800000, v10
	v_rcp_f32_e32 v5, v5
	v_mul_f32_e32 v5, 0x5f7ffffc, v5
	v_mul_f32_e32 v10, 0x2f800000, v5
	v_trunc_f32_e32 v10, v10
	v_mac_f32_e32 v5, 0xcf800000, v10
	v_cvt_u32_f32_e32 v10, v10
	v_cvt_u32_f32_e32 v5, v5
	v_readfirstlane_b32 s50, v10
	v_readfirstlane_b32 s4, v5
	s_mul_i32 s5, s43, s50
	s_mul_hi_u32 s52, s43, s4
	s_mul_i32 s51, s49, s4
	s_add_i32 s5, s52, s5
	s_add_i32 s5, s5, s51
	s_mul_i32 s53, s43, s4
	s_mul_i32 s52, s4, s5
	s_mul_hi_u32 s54, s4, s53
	s_mul_hi_u32 s51, s4, s5
	s_add_u32 s52, s54, s52
	s_addc_u32 s51, 0, s51
	s_mul_hi_u32 s55, s50, s53
	s_mul_i32 s53, s50, s53
	s_add_u32 s52, s52, s53
	s_mul_hi_u32 s54, s50, s5
	s_addc_u32 s51, s51, s55
	s_addc_u32 s52, s54, 0
	s_mul_i32 s5, s50, s5
	s_add_u32 s5, s51, s5
	s_addc_u32 s51, 0, s52
	s_add_u32 s52, s4, s5
	s_cselect_b64 s[4:5], -1, 0
	s_cmp_lg_u64 s[4:5], 0
	s_addc_u32 s50, s50, s51
	s_mul_i32 s4, s43, s50
	s_mul_hi_u32 s5, s43, s52
	s_add_i32 s4, s5, s4
	s_mul_i32 s49, s49, s52
	s_add_i32 s4, s4, s49
	s_mul_i32 s43, s43, s52
	s_mul_hi_u32 s49, s50, s43
	s_mul_i32 s51, s50, s43
	s_mul_i32 s54, s52, s4
	s_mul_hi_u32 s43, s52, s43
	s_mul_hi_u32 s53, s52, s4
	s_add_u32 s43, s43, s54
	s_addc_u32 s53, 0, s53
	s_add_u32 s43, s43, s51
	s_mul_hi_u32 s5, s50, s4
	s_addc_u32 s43, s53, s49
	s_addc_u32 s5, s5, 0
	s_mul_i32 s4, s50, s4
	s_add_u32 s4, s43, s4
	s_addc_u32 s43, 0, s5
	s_add_u32 s49, s52, s4
	s_cselect_b64 s[4:5], -1, 0
	v_ashrrev_i32_e32 v5, 31, v9
	s_cmp_lg_u64 s[4:5], 0
	v_add_co_u32_e32 v10, vcc, v8, v5
	s_addc_u32 s43, s50, s43
	v_xor_b32_e32 v16, v10, v5
	v_mad_u64_u32 v[10:11], s[4:5], v16, s43, 0
	v_mul_hi_u32 v15, v16, s49
	v_addc_co_u32_e32 v14, vcc, v9, v5, vcc
	v_xor_b32_e32 v17, v14, v5
	v_add_co_u32_e32 v18, vcc, v15, v10
	v_addc_co_u32_e32 v19, vcc, 0, v11, vcc
	v_mad_u64_u32 v[10:11], s[4:5], v17, s49, 0
	v_mad_u64_u32 v[14:15], s[4:5], v17, s43, 0
	v_add_co_u32_e32 v10, vcc, v18, v10
	v_addc_co_u32_e32 v10, vcc, v19, v11, vcc
	v_addc_co_u32_e32 v11, vcc, 0, v15, vcc
	v_add_co_u32_e32 v14, vcc, v10, v14
	v_addc_co_u32_e32 v15, vcc, 0, v11, vcc
	v_mul_lo_u32 v18, s45, v14
	v_mul_lo_u32 v19, s44, v15
	v_mad_u64_u32 v[10:11], s[4:5], s44, v14, 0
	v_xor_b32_e32 v5, s42, v5
	v_add3_u32 v11, v11, v19, v18
	v_sub_u32_e32 v18, v17, v11
	v_mov_b32_e32 v19, s45
	v_sub_co_u32_e32 v10, vcc, v16, v10
	v_subb_co_u32_e64 v16, s[4:5], v18, v19, vcc
	v_subrev_co_u32_e64 v18, s[4:5], s44, v10
	v_subbrev_co_u32_e64 v16, s[4:5], 0, v16, s[4:5]
	v_cmp_le_u32_e64 s[4:5], s45, v16
	v_cndmask_b32_e64 v19, 0, -1, s[4:5]
	v_cmp_le_u32_e64 s[4:5], s44, v18
	v_cndmask_b32_e64 v18, 0, -1, s[4:5]
	v_cmp_eq_u32_e64 s[4:5], s45, v16
	v_cndmask_b32_e64 v16, v19, v18, s[4:5]
	v_add_co_u32_e64 v18, s[4:5], 2, v14
	v_subb_co_u32_e32 v11, vcc, v17, v11, vcc
	v_addc_co_u32_e64 v19, s[4:5], 0, v15, s[4:5]
	v_cmp_le_u32_e32 vcc, s45, v11
	v_add_co_u32_e64 v20, s[4:5], 1, v14
	v_cndmask_b32_e64 v17, 0, -1, vcc
	v_cmp_le_u32_e32 vcc, s44, v10
	v_addc_co_u32_e64 v21, s[4:5], 0, v15, s[4:5]
	v_cndmask_b32_e64 v10, 0, -1, vcc
	v_cmp_eq_u32_e32 vcc, s45, v11
	v_cmp_ne_u32_e64 s[4:5], 0, v16
	v_cndmask_b32_e32 v10, v17, v10, vcc
	v_cndmask_b32_e64 v16, v21, v19, s[4:5]
	v_cmp_ne_u32_e32 vcc, 0, v10
	v_cndmask_b32_e64 v11, v20, v18, s[4:5]
	v_cndmask_b32_e32 v10, v15, v16, vcc
	v_cndmask_b32_e32 v11, v14, v11, vcc
	v_xor_b32_e32 v14, v10, v5
	v_xor_b32_e32 v10, v11, v5
	v_sub_co_u32_e32 v10, vcc, v10, v5
	v_subb_co_u32_e32 v11, vcc, v14, v5, vcc
.LBB32_12:                              ;   in Loop: Header=BB32_10 Depth=2
	s_andn2_saveexec_b64 s[4:5], s[40:41]
	s_cbranch_execz .LBB32_14
; %bb.13:                               ;   in Loop: Header=BB32_10 Depth=2
	v_cvt_f32_u32_e32 v5, s38
	s_sub_i32 s40, 0, s38
	v_rcp_iflag_f32_e32 v5, v5
	v_mul_f32_e32 v5, 0x4f7ffffe, v5
	v_cvt_u32_f32_e32 v5, v5
	v_mul_lo_u32 v10, s40, v5
	v_mul_hi_u32 v10, v5, v10
	v_add_u32_e32 v5, v5, v10
	v_mul_hi_u32 v5, v8, v5
	v_mul_lo_u32 v10, v5, s38
	v_add_u32_e32 v11, 1, v5
	v_sub_u32_e32 v10, v8, v10
	v_subrev_u32_e32 v14, s38, v10
	v_cmp_le_u32_e32 vcc, s38, v10
	v_cndmask_b32_e32 v10, v10, v14, vcc
	v_cndmask_b32_e32 v5, v5, v11, vcc
	v_add_u32_e32 v11, 1, v5
	v_cmp_le_u32_e32 vcc, s38, v10
	v_cndmask_b32_e32 v10, v5, v11, vcc
	v_mov_b32_e32 v11, v4
.LBB32_14:                              ;   in Loop: Header=BB32_10 Depth=2
	s_or_b64 exec, exec, s[4:5]
	v_mul_lo_u32 v5, v11, s38
	v_mul_lo_u32 v16, v10, s39
	v_mad_u64_u32 v[14:15], s[4:5], v10, s38, 0
	s_load_dwordx2 s[4:5], s[36:37], 0xc8
	s_add_i32 s48, s48, -1
	v_add3_u32 v5, v15, v16, v5
	v_sub_co_u32_e32 v8, vcc, v8, v14
	v_subb_co_u32_e32 v5, vcc, v9, v5, vcc
	s_waitcnt lgkmcnt(0)
	v_mul_lo_u32 v5, s4, v5
	v_mul_lo_u32 v9, s5, v8
	v_mad_u64_u32 v[6:7], s[4:5], s4, v8, v[6:7]
	s_add_u32 s36, s36, -8
	s_addc_u32 s37, s37, -1
	s_cmp_gt_u32 s48, 2
	v_add3_u32 v7, v9, v7, v5
	s_cbranch_scc0 .LBB32_16
; %bb.15:                               ;   in Loop: Header=BB32_10 Depth=2
	v_mov_b32_e32 v8, v10
	v_mov_b32_e32 v9, v11
	s_branch .LBB32_10
.LBB32_16:                              ;   in Loop: Header=BB32_9 Depth=1
	v_mul_lo_u32 v5, s27, v10
	v_mul_lo_u32 v11, s26, v11
	v_mad_u64_u32 v[8:9], s[4:5], s26, v10, 0
	v_add3_u32 v9, v9, v11, v5
	v_lshlrev_b64 v[8:9], 2, v[8:9]
	v_mov_b32_e32 v5, s29
	v_add_co_u32_e32 v8, vcc, s28, v8
	v_addc_co_u32_e32 v9, vcc, v5, v9, vcc
	v_lshlrev_b64 v[5:6], 2, v[6:7]
	v_add_co_u32_e32 v5, vcc, v8, v5
	v_addc_co_u32_e32 v6, vcc, v9, v6, vcc
	global_load_dword v5, v[5:6], off
	s_waitcnt vmcnt(0)
	v_ashrrev_i32_e32 v6, 31, v5
	v_cmp_le_i64_e32 vcc, s[10:11], v[5:6]
	v_cmp_ge_i64_e64 s[4:5], s[12:13], v[5:6]
	s_and_b64 s[4:5], vcc, s[4:5]
	s_and_saveexec_b64 s[36:37], s[4:5]
	s_cbranch_execz .LBB32_8
; %bb.17:                               ;   in Loop: Header=BB32_9 Depth=1
	v_mov_b32_e32 v7, s11
	v_subrev_co_u32_e32 v5, vcc, s10, v5
	v_subb_co_u32_e32 v6, vcc, v6, v7, vcc
	v_mul_lo_u32 v8, v6, s8
	v_mul_lo_u32 v9, v5, s9
	v_mad_u64_u32 v[6:7], s[4:5], v5, s8, 0
	v_add3_u32 v7, v7, v9, v8
	v_or_b32_e32 v5, s46, v7
	v_cmp_ne_u64_e32 vcc, 0, v[4:5]
                                        ; implicit-def: $vgpr8_vgpr9
	s_and_saveexec_b64 s[4:5], vcc
	s_xor_b64 s[38:39], exec, s[4:5]
	s_cbranch_execz .LBB32_19
; %bb.18:                               ;   in Loop: Header=BB32_9 Depth=1
	s_ashr_i32 s40, s46, 31
	s_add_u32 s4, s33, s40
	s_mov_b32 s41, s40
	s_addc_u32 s5, s46, s40
	s_xor_b64 s[42:43], s[4:5], s[40:41]
	v_cvt_f32_u32_e32 v5, s42
	v_cvt_f32_u32_e32 v8, s43
	s_sub_u32 s41, 0, s42
	s_subb_u32 s44, 0, s43
	v_ashrrev_i32_e32 v9, 31, v7
	v_mac_f32_e32 v5, 0x4f800000, v8
	v_rcp_f32_e32 v5, v5
	v_mul_f32_e32 v5, 0x5f7ffffc, v5
	v_mul_f32_e32 v8, 0x2f800000, v5
	v_trunc_f32_e32 v8, v8
	v_mac_f32_e32 v5, 0xcf800000, v8
	v_cvt_u32_f32_e32 v8, v8
	v_cvt_u32_f32_e32 v5, v5
	v_readfirstlane_b32 s45, v8
	v_readfirstlane_b32 s4, v5
	s_mul_i32 s5, s41, s45
	s_mul_hi_u32 s49, s41, s4
	s_mul_i32 s48, s44, s4
	s_add_i32 s5, s49, s5
	s_add_i32 s5, s5, s48
	s_mul_i32 s50, s41, s4
	s_mul_i32 s49, s4, s5
	s_mul_hi_u32 s51, s4, s50
	s_mul_hi_u32 s48, s4, s5
	s_add_u32 s49, s51, s49
	s_addc_u32 s48, 0, s48
	s_mul_hi_u32 s52, s45, s50
	s_mul_i32 s50, s45, s50
	s_add_u32 s49, s49, s50
	s_mul_hi_u32 s51, s45, s5
	s_addc_u32 s48, s48, s52
	s_addc_u32 s49, s51, 0
	s_mul_i32 s5, s45, s5
	s_add_u32 s5, s48, s5
	s_addc_u32 s48, 0, s49
	s_add_u32 s49, s4, s5
	s_cselect_b64 s[4:5], -1, 0
	s_cmp_lg_u64 s[4:5], 0
	s_addc_u32 s45, s45, s48
	s_mul_i32 s4, s41, s45
	s_mul_hi_u32 s5, s41, s49
	s_add_i32 s4, s5, s4
	s_mul_i32 s44, s44, s49
	s_add_i32 s4, s4, s44
	s_mul_i32 s41, s41, s49
	s_mul_hi_u32 s44, s45, s41
	s_mul_i32 s48, s45, s41
	s_mul_i32 s51, s49, s4
	s_mul_hi_u32 s41, s49, s41
	s_mul_hi_u32 s50, s49, s4
	s_add_u32 s41, s41, s51
	s_addc_u32 s50, 0, s50
	s_add_u32 s41, s41, s48
	s_mul_hi_u32 s5, s45, s4
	s_addc_u32 s41, s50, s44
	s_addc_u32 s5, s5, 0
	s_mul_i32 s4, s45, s4
	s_add_u32 s4, s41, s4
	s_addc_u32 s41, 0, s5
	s_add_u32 s44, s49, s4
	s_cselect_b64 s[4:5], -1, 0
	s_cmp_lg_u64 s[4:5], 0
	v_add_co_u32_e32 v5, vcc, v6, v9
	s_addc_u32 s41, s45, s41
	v_xor_b32_e32 v10, v5, v9
	v_mad_u64_u32 v[5:6], s[4:5], v10, s41, 0
	v_mul_hi_u32 v8, v10, s44
	v_addc_co_u32_e32 v7, vcc, v7, v9, vcc
	v_xor_b32_e32 v11, v7, v9
	v_add_co_u32_e32 v14, vcc, v8, v5
	v_addc_co_u32_e32 v15, vcc, 0, v6, vcc
	v_mad_u64_u32 v[5:6], s[4:5], v11, s44, 0
	v_mad_u64_u32 v[7:8], s[4:5], v11, s41, 0
	v_add_co_u32_e32 v5, vcc, v14, v5
	v_addc_co_u32_e32 v5, vcc, v15, v6, vcc
	v_addc_co_u32_e32 v6, vcc, 0, v8, vcc
	v_add_co_u32_e32 v7, vcc, v5, v7
	v_addc_co_u32_e32 v5, vcc, 0, v6, vcc
	v_mul_lo_u32 v8, s43, v7
	v_mul_lo_u32 v14, s42, v5
	v_mad_u64_u32 v[5:6], s[4:5], s42, v7, 0
	v_add3_u32 v6, v6, v14, v8
	v_sub_u32_e32 v8, v11, v6
	v_mov_b32_e32 v14, s43
	v_sub_co_u32_e32 v5, vcc, v10, v5
	v_subb_co_u32_e64 v8, s[4:5], v8, v14, vcc
	v_subrev_co_u32_e64 v10, s[4:5], s42, v5
	v_subbrev_co_u32_e64 v8, s[4:5], 0, v8, s[4:5]
	v_cmp_le_u32_e64 s[4:5], s43, v8
	v_subb_co_u32_e32 v6, vcc, v11, v6, vcc
	v_cndmask_b32_e64 v14, 0, -1, s[4:5]
	v_cmp_le_u32_e64 s[4:5], s42, v10
	v_cmp_le_u32_e32 vcc, s43, v6
	v_cndmask_b32_e64 v10, 0, -1, s[4:5]
	v_cmp_eq_u32_e64 s[4:5], s43, v8
	v_cndmask_b32_e64 v11, 0, -1, vcc
	v_cmp_le_u32_e32 vcc, s42, v5
	v_cndmask_b32_e64 v8, v14, v10, s[4:5]
	v_cndmask_b32_e64 v5, 0, -1, vcc
	v_cmp_eq_u32_e32 vcc, s43, v6
	v_add_co_u32_e64 v10, s[4:5], 2, v7
	v_add_co_u32_e64 v14, s[4:5], 1, v7
	v_cndmask_b32_e32 v5, v11, v5, vcc
	v_cmp_ne_u32_e32 vcc, 0, v8
	v_cndmask_b32_e32 v6, v14, v10, vcc
	v_cmp_ne_u32_e32 vcc, 0, v5
	v_cndmask_b32_e32 v5, v7, v6, vcc
	v_xor_b32_e32 v6, s40, v9
	v_xor_b32_e32 v5, v5, v6
	v_sub_co_u32_e32 v8, vcc, v5, v6
                                        ; implicit-def: $vgpr6_vgpr7
.LBB32_19:                              ;   in Loop: Header=BB32_9 Depth=1
	s_andn2_saveexec_b64 s[4:5], s[38:39]
	s_cbranch_execz .LBB32_21
; %bb.20:                               ;   in Loop: Header=BB32_9 Depth=1
	v_cvt_f32_u32_e32 v5, s33
	s_sub_i32 s38, 0, s33
	v_rcp_iflag_f32_e32 v5, v5
	v_mul_f32_e32 v5, 0x4f7ffffe, v5
	v_cvt_u32_f32_e32 v5, v5
	v_mul_lo_u32 v7, s38, v5
	v_mul_hi_u32 v7, v5, v7
	v_add_u32_e32 v5, v5, v7
	v_mul_hi_u32 v5, v6, v5
	v_mul_lo_u32 v7, v5, s33
	v_add_u32_e32 v8, 1, v5
	v_sub_u32_e32 v6, v6, v7
	v_subrev_u32_e32 v7, s33, v6
	v_cmp_le_u32_e32 vcc, s33, v6
	v_cndmask_b32_e32 v6, v6, v7, vcc
	v_cndmask_b32_e32 v5, v5, v8, vcc
	v_add_u32_e32 v7, 1, v5
	v_cmp_le_u32_e32 vcc, s33, v6
	v_cndmask_b32_e32 v8, v5, v7, vcc
.LBB32_21:                              ;   in Loop: Header=BB32_9 Depth=1
	s_or_b64 exec, exec, s[4:5]
	v_mul_lo_u32 v7, v3, s24
	v_mul_lo_u32 v9, v2, s25
	v_mad_u64_u32 v[5:6], s[4:5], v2, s24, 0
	s_mov_b64 s[4:5], 0
	v_add3_u32 v6, v6, v9, v7
	v_lshlrev_b64 v[5:6], 3, v[5:6]
	v_mov_b32_e32 v7, s23
	v_add_co_u32_e32 v5, vcc, s22, v5
	v_addc_co_u32_e32 v6, vcc, v7, v6, vcc
	global_load_dwordx2 v[5:6], v[5:6], off
	v_ashrrev_i32_e32 v9, 31, v8
	v_cmp_eq_u64_e32 vcc, s[8:9], v[8:9]
	v_subbrev_co_u32_e32 v7, vcc, 0, v8, vcc
	v_lshl_add_u32 v9, v7, 3, 0
	ds_read_b64 v[7:8], v9
.LBB32_22:                              ;   Parent Loop BB32_9 Depth=1
                                        ; =>  This Inner Loop Header: Depth=2
	s_waitcnt vmcnt(0) lgkmcnt(0)
	v_add_f64 v[10:11], v[7:8], v[5:6]
	ds_cmpst_rtn_b64 v[10:11], v9, v[7:8], v[10:11]
	s_waitcnt lgkmcnt(0)
	v_cmp_eq_u64_e32 vcc, v[10:11], v[7:8]
	v_mov_b32_e32 v7, v10
	s_or_b64 s[4:5], vcc, s[4:5]
	v_mov_b32_e32 v8, v11
	s_andn2_b64 exec, exec, s[4:5]
	s_cbranch_execnz .LBB32_22
	s_branch .LBB32_8
.LBB32_23:
	s_or_b64 exec, exec, s[6:7]
; %bb.24:
	s_barrier
	s_and_saveexec_b64 s[2:3], s[0:1]
	s_cbranch_execz .LBB32_29
; %bb.25:
	v_and_b32_e32 v10, 0xffff, v12
	s_mov_b64 s[0:1], 0
	v_mov_b32_e32 v11, s17
.LBB32_26:                              ; =>This Loop Header: Depth=1
                                        ;     Child Loop BB32_27 Depth 2
	v_mul_lo_u32 v4, v1, s20
	v_mul_lo_u32 v5, v0, s21
	v_mad_u64_u32 v[2:3], s[2:3], v0, s20, 0
	s_mov_b64 s[2:3], 0
	v_add3_u32 v3, v3, v5, v4
	v_lshlrev_b64 v[2:3], 3, v[2:3]
	v_add_co_u32_e32 v6, vcc, s16, v2
	v_addc_co_u32_e32 v7, vcc, v11, v3, vcc
	global_load_dwordx2 v[4:5], v[6:7], off
	v_lshl_add_u32 v2, v0, 3, 0
	ds_read_b64 v[8:9], v2
.LBB32_27:                              ;   Parent Loop BB32_26 Depth=1
                                        ; =>  This Inner Loop Header: Depth=2
	s_waitcnt vmcnt(0) lgkmcnt(0)
	v_add_f64 v[2:3], v[4:5], v[8:9]
	global_atomic_cmpswap_x2 v[2:3], v[6:7], v[2:5], off glc
	s_waitcnt vmcnt(0)
	v_cmp_eq_u64_e32 vcc, v[2:3], v[4:5]
	v_mov_b32_e32 v5, v3
	s_or_b64 s[2:3], vcc, s[2:3]
	v_mov_b32_e32 v4, v2
	s_andn2_b64 exec, exec, s[2:3]
	s_cbranch_execnz .LBB32_27
; %bb.28:                               ;   in Loop: Header=BB32_26 Depth=1
	s_or_b64 exec, exec, s[2:3]
	v_add_co_u32_e32 v0, vcc, v0, v10
	v_addc_co_u32_e32 v1, vcc, 0, v1, vcc
	v_cmp_le_i64_e32 vcc, s[18:19], v[0:1]
	s_or_b64 s[0:1], vcc, s[0:1]
	s_andn2_b64 exec, exec, s[0:1]
	s_cbranch_execnz .LBB32_26
.LBB32_29:
	s_endpgm
	.section	.rodata,"a",@progbits
	.p2align	6, 0x0
	.amdhsa_kernel _ZN2at4cuda17kernelHistogram1DIdilLi1ELi2ELin1ELNS0_23CUDAHistogramMemoryTypeE0EZNS0_21CUDA_tensor_histogramIdiLb1EEEbNS_6TensorES4_S4_lNS_14AccumulateTypeIT0_Lb1EE4typeES8_NS0_13TensorArgTypeES9_S9_EUllE_EEvNS0_6detail10TensorInfoIT_T1_EESF_NSC_IKS6_SE_EElS8_S8_SE_T6_
		.amdhsa_group_segment_fixed_size 0
		.amdhsa_private_segment_fixed_size 0
		.amdhsa_kernarg_size 1952
		.amdhsa_user_sgpr_count 6
		.amdhsa_user_sgpr_private_segment_buffer 1
		.amdhsa_user_sgpr_dispatch_ptr 0
		.amdhsa_user_sgpr_queue_ptr 0
		.amdhsa_user_sgpr_kernarg_segment_ptr 1
		.amdhsa_user_sgpr_dispatch_id 0
		.amdhsa_user_sgpr_flat_scratch_init 0
		.amdhsa_user_sgpr_private_segment_size 0
		.amdhsa_uses_dynamic_stack 0
		.amdhsa_system_sgpr_private_segment_wavefront_offset 0
		.amdhsa_system_sgpr_workgroup_id_x 1
		.amdhsa_system_sgpr_workgroup_id_y 0
		.amdhsa_system_sgpr_workgroup_id_z 0
		.amdhsa_system_sgpr_workgroup_info 0
		.amdhsa_system_vgpr_workitem_id 0
		.amdhsa_next_free_vgpr 22
		.amdhsa_next_free_sgpr 56
		.amdhsa_reserve_vcc 1
		.amdhsa_reserve_flat_scratch 0
		.amdhsa_float_round_mode_32 0
		.amdhsa_float_round_mode_16_64 0
		.amdhsa_float_denorm_mode_32 3
		.amdhsa_float_denorm_mode_16_64 3
		.amdhsa_dx10_clamp 1
		.amdhsa_ieee_mode 1
		.amdhsa_fp16_overflow 0
		.amdhsa_exception_fp_ieee_invalid_op 0
		.amdhsa_exception_fp_denorm_src 0
		.amdhsa_exception_fp_ieee_div_zero 0
		.amdhsa_exception_fp_ieee_overflow 0
		.amdhsa_exception_fp_ieee_underflow 0
		.amdhsa_exception_fp_ieee_inexact 0
		.amdhsa_exception_int_div_zero 0
	.end_amdhsa_kernel
	.section	.text._ZN2at4cuda17kernelHistogram1DIdilLi1ELi2ELin1ELNS0_23CUDAHistogramMemoryTypeE0EZNS0_21CUDA_tensor_histogramIdiLb1EEEbNS_6TensorES4_S4_lNS_14AccumulateTypeIT0_Lb1EE4typeES8_NS0_13TensorArgTypeES9_S9_EUllE_EEvNS0_6detail10TensorInfoIT_T1_EESF_NSC_IKS6_SE_EElS8_S8_SE_T6_,"axG",@progbits,_ZN2at4cuda17kernelHistogram1DIdilLi1ELi2ELin1ELNS0_23CUDAHistogramMemoryTypeE0EZNS0_21CUDA_tensor_histogramIdiLb1EEEbNS_6TensorES4_S4_lNS_14AccumulateTypeIT0_Lb1EE4typeES8_NS0_13TensorArgTypeES9_S9_EUllE_EEvNS0_6detail10TensorInfoIT_T1_EESF_NSC_IKS6_SE_EElS8_S8_SE_T6_,comdat
.Lfunc_end32:
	.size	_ZN2at4cuda17kernelHistogram1DIdilLi1ELi2ELin1ELNS0_23CUDAHistogramMemoryTypeE0EZNS0_21CUDA_tensor_histogramIdiLb1EEEbNS_6TensorES4_S4_lNS_14AccumulateTypeIT0_Lb1EE4typeES8_NS0_13TensorArgTypeES9_S9_EUllE_EEvNS0_6detail10TensorInfoIT_T1_EESF_NSC_IKS6_SE_EElS8_S8_SE_T6_, .Lfunc_end32-_ZN2at4cuda17kernelHistogram1DIdilLi1ELi2ELin1ELNS0_23CUDAHistogramMemoryTypeE0EZNS0_21CUDA_tensor_histogramIdiLb1EEEbNS_6TensorES4_S4_lNS_14AccumulateTypeIT0_Lb1EE4typeES8_NS0_13TensorArgTypeES9_S9_EUllE_EEvNS0_6detail10TensorInfoIT_T1_EESF_NSC_IKS6_SE_EElS8_S8_SE_T6_
                                        ; -- End function
	.set _ZN2at4cuda17kernelHistogram1DIdilLi1ELi2ELin1ELNS0_23CUDAHistogramMemoryTypeE0EZNS0_21CUDA_tensor_histogramIdiLb1EEEbNS_6TensorES4_S4_lNS_14AccumulateTypeIT0_Lb1EE4typeES8_NS0_13TensorArgTypeES9_S9_EUllE_EEvNS0_6detail10TensorInfoIT_T1_EESF_NSC_IKS6_SE_EElS8_S8_SE_T6_.num_vgpr, 22
	.set _ZN2at4cuda17kernelHistogram1DIdilLi1ELi2ELin1ELNS0_23CUDAHistogramMemoryTypeE0EZNS0_21CUDA_tensor_histogramIdiLb1EEEbNS_6TensorES4_S4_lNS_14AccumulateTypeIT0_Lb1EE4typeES8_NS0_13TensorArgTypeES9_S9_EUllE_EEvNS0_6detail10TensorInfoIT_T1_EESF_NSC_IKS6_SE_EElS8_S8_SE_T6_.num_agpr, 0
	.set _ZN2at4cuda17kernelHistogram1DIdilLi1ELi2ELin1ELNS0_23CUDAHistogramMemoryTypeE0EZNS0_21CUDA_tensor_histogramIdiLb1EEEbNS_6TensorES4_S4_lNS_14AccumulateTypeIT0_Lb1EE4typeES8_NS0_13TensorArgTypeES9_S9_EUllE_EEvNS0_6detail10TensorInfoIT_T1_EESF_NSC_IKS6_SE_EElS8_S8_SE_T6_.numbered_sgpr, 56
	.set _ZN2at4cuda17kernelHistogram1DIdilLi1ELi2ELin1ELNS0_23CUDAHistogramMemoryTypeE0EZNS0_21CUDA_tensor_histogramIdiLb1EEEbNS_6TensorES4_S4_lNS_14AccumulateTypeIT0_Lb1EE4typeES8_NS0_13TensorArgTypeES9_S9_EUllE_EEvNS0_6detail10TensorInfoIT_T1_EESF_NSC_IKS6_SE_EElS8_S8_SE_T6_.num_named_barrier, 0
	.set _ZN2at4cuda17kernelHistogram1DIdilLi1ELi2ELin1ELNS0_23CUDAHistogramMemoryTypeE0EZNS0_21CUDA_tensor_histogramIdiLb1EEEbNS_6TensorES4_S4_lNS_14AccumulateTypeIT0_Lb1EE4typeES8_NS0_13TensorArgTypeES9_S9_EUllE_EEvNS0_6detail10TensorInfoIT_T1_EESF_NSC_IKS6_SE_EElS8_S8_SE_T6_.private_seg_size, 0
	.set _ZN2at4cuda17kernelHistogram1DIdilLi1ELi2ELin1ELNS0_23CUDAHistogramMemoryTypeE0EZNS0_21CUDA_tensor_histogramIdiLb1EEEbNS_6TensorES4_S4_lNS_14AccumulateTypeIT0_Lb1EE4typeES8_NS0_13TensorArgTypeES9_S9_EUllE_EEvNS0_6detail10TensorInfoIT_T1_EESF_NSC_IKS6_SE_EElS8_S8_SE_T6_.uses_vcc, 1
	.set _ZN2at4cuda17kernelHistogram1DIdilLi1ELi2ELin1ELNS0_23CUDAHistogramMemoryTypeE0EZNS0_21CUDA_tensor_histogramIdiLb1EEEbNS_6TensorES4_S4_lNS_14AccumulateTypeIT0_Lb1EE4typeES8_NS0_13TensorArgTypeES9_S9_EUllE_EEvNS0_6detail10TensorInfoIT_T1_EESF_NSC_IKS6_SE_EElS8_S8_SE_T6_.uses_flat_scratch, 0
	.set _ZN2at4cuda17kernelHistogram1DIdilLi1ELi2ELin1ELNS0_23CUDAHistogramMemoryTypeE0EZNS0_21CUDA_tensor_histogramIdiLb1EEEbNS_6TensorES4_S4_lNS_14AccumulateTypeIT0_Lb1EE4typeES8_NS0_13TensorArgTypeES9_S9_EUllE_EEvNS0_6detail10TensorInfoIT_T1_EESF_NSC_IKS6_SE_EElS8_S8_SE_T6_.has_dyn_sized_stack, 0
	.set _ZN2at4cuda17kernelHistogram1DIdilLi1ELi2ELin1ELNS0_23CUDAHistogramMemoryTypeE0EZNS0_21CUDA_tensor_histogramIdiLb1EEEbNS_6TensorES4_S4_lNS_14AccumulateTypeIT0_Lb1EE4typeES8_NS0_13TensorArgTypeES9_S9_EUllE_EEvNS0_6detail10TensorInfoIT_T1_EESF_NSC_IKS6_SE_EElS8_S8_SE_T6_.has_recursion, 0
	.set _ZN2at4cuda17kernelHistogram1DIdilLi1ELi2ELin1ELNS0_23CUDAHistogramMemoryTypeE0EZNS0_21CUDA_tensor_histogramIdiLb1EEEbNS_6TensorES4_S4_lNS_14AccumulateTypeIT0_Lb1EE4typeES8_NS0_13TensorArgTypeES9_S9_EUllE_EEvNS0_6detail10TensorInfoIT_T1_EESF_NSC_IKS6_SE_EElS8_S8_SE_T6_.has_indirect_call, 0
	.section	.AMDGPU.csdata,"",@progbits
; Kernel info:
; codeLenInByte = 2496
; TotalNumSgprs: 60
; NumVgprs: 22
; ScratchSize: 0
; MemoryBound: 0
; FloatMode: 240
; IeeeMode: 1
; LDSByteSize: 0 bytes/workgroup (compile time only)
; SGPRBlocks: 7
; VGPRBlocks: 5
; NumSGPRsForWavesPerEU: 60
; NumVGPRsForWavesPerEU: 22
; Occupancy: 10
; WaveLimiterHint : 1
; COMPUTE_PGM_RSRC2:SCRATCH_EN: 0
; COMPUTE_PGM_RSRC2:USER_SGPR: 6
; COMPUTE_PGM_RSRC2:TRAP_HANDLER: 0
; COMPUTE_PGM_RSRC2:TGID_X_EN: 1
; COMPUTE_PGM_RSRC2:TGID_Y_EN: 0
; COMPUTE_PGM_RSRC2:TGID_Z_EN: 0
; COMPUTE_PGM_RSRC2:TIDIG_COMP_CNT: 0
	.section	.text._ZN2at4cuda17kernelHistogram1DIdilLi1ELi2ELin1ELNS0_23CUDAHistogramMemoryTypeE1EZNS0_21CUDA_tensor_histogramIdiLb1EEEbNS_6TensorES4_S4_lNS_14AccumulateTypeIT0_Lb1EE4typeES8_NS0_13TensorArgTypeES9_S9_EUllE_EEvNS0_6detail10TensorInfoIT_T1_EESF_NSC_IKS6_SE_EElS8_S8_SE_T6_,"axG",@progbits,_ZN2at4cuda17kernelHistogram1DIdilLi1ELi2ELin1ELNS0_23CUDAHistogramMemoryTypeE1EZNS0_21CUDA_tensor_histogramIdiLb1EEEbNS_6TensorES4_S4_lNS_14AccumulateTypeIT0_Lb1EE4typeES8_NS0_13TensorArgTypeES9_S9_EUllE_EEvNS0_6detail10TensorInfoIT_T1_EESF_NSC_IKS6_SE_EElS8_S8_SE_T6_,comdat
	.protected	_ZN2at4cuda17kernelHistogram1DIdilLi1ELi2ELin1ELNS0_23CUDAHistogramMemoryTypeE1EZNS0_21CUDA_tensor_histogramIdiLb1EEEbNS_6TensorES4_S4_lNS_14AccumulateTypeIT0_Lb1EE4typeES8_NS0_13TensorArgTypeES9_S9_EUllE_EEvNS0_6detail10TensorInfoIT_T1_EESF_NSC_IKS6_SE_EElS8_S8_SE_T6_ ; -- Begin function _ZN2at4cuda17kernelHistogram1DIdilLi1ELi2ELin1ELNS0_23CUDAHistogramMemoryTypeE1EZNS0_21CUDA_tensor_histogramIdiLb1EEEbNS_6TensorES4_S4_lNS_14AccumulateTypeIT0_Lb1EE4typeES8_NS0_13TensorArgTypeES9_S9_EUllE_EEvNS0_6detail10TensorInfoIT_T1_EESF_NSC_IKS6_SE_EElS8_S8_SE_T6_
	.globl	_ZN2at4cuda17kernelHistogram1DIdilLi1ELi2ELin1ELNS0_23CUDAHistogramMemoryTypeE1EZNS0_21CUDA_tensor_histogramIdiLb1EEEbNS_6TensorES4_S4_lNS_14AccumulateTypeIT0_Lb1EE4typeES8_NS0_13TensorArgTypeES9_S9_EUllE_EEvNS0_6detail10TensorInfoIT_T1_EESF_NSC_IKS6_SE_EElS8_S8_SE_T6_
	.p2align	8
	.type	_ZN2at4cuda17kernelHistogram1DIdilLi1ELi2ELin1ELNS0_23CUDAHistogramMemoryTypeE1EZNS0_21CUDA_tensor_histogramIdiLb1EEEbNS_6TensorES4_S4_lNS_14AccumulateTypeIT0_Lb1EE4typeES8_NS0_13TensorArgTypeES9_S9_EUllE_EEvNS0_6detail10TensorInfoIT_T1_EESF_NSC_IKS6_SE_EElS8_S8_SE_T6_,@function
_ZN2at4cuda17kernelHistogram1DIdilLi1ELi2ELin1ELNS0_23CUDAHistogramMemoryTypeE1EZNS0_21CUDA_tensor_histogramIdiLb1EEEbNS_6TensorES4_S4_lNS_14AccumulateTypeIT0_Lb1EE4typeES8_NS0_13TensorArgTypeES9_S9_EUllE_EEvNS0_6detail10TensorInfoIT_T1_EESF_NSC_IKS6_SE_EElS8_S8_SE_T6_: ; @_ZN2at4cuda17kernelHistogram1DIdilLi1ELi2ELin1ELNS0_23CUDAHistogramMemoryTypeE1EZNS0_21CUDA_tensor_histogramIdiLb1EEEbNS_6TensorES4_S4_lNS_14AccumulateTypeIT0_Lb1EE4typeES8_NS0_13TensorArgTypeES9_S9_EUllE_EEvNS0_6detail10TensorInfoIT_T1_EESF_NSC_IKS6_SE_EElS8_S8_SE_T6_
; %bb.0:
	s_load_dword s2, s[4:5], 0x6ac
	s_load_dwordx8 s[8:15], s[4:5], 0x4e0
	s_add_u32 s0, s4, 0x6a0
	s_addc_u32 s1, s5, 0
	v_mov_b32_e32 v6, 0
	s_waitcnt lgkmcnt(0)
	s_and_b32 s2, s2, 0xffff
	s_mul_i32 s6, s6, s2
	v_add_u32_e32 v4, s6, v0
	v_mov_b32_e32 v5, v6
	v_cmp_gt_i64_e32 vcc, s[14:15], v[4:5]
	s_and_saveexec_b64 s[6:7], vcc
	s_cbranch_execz .LBB33_17
; %bb.1:
	s_load_dwordx2 s[6:7], s[4:5], 0x5d0
	s_load_dword s26, s[4:5], 0x4d8
	s_load_dwordx2 s[16:17], s[4:5], 0x500
	s_load_dword s3, s[0:1], 0x0
	s_add_u32 s27, s4, 0x340
	s_addc_u32 s28, s5, 0
	s_waitcnt lgkmcnt(0)
	s_cmp_gt_i32 s26, 1
	s_cselect_b64 s[0:1], -1, 0
	s_load_dwordx2 s[18:19], s[4:5], 0x0
	s_load_dwordx2 s[20:21], s[4:5], 0xd0
	;; [unrolled: 1-line block ×4, first 2 shown]
	s_sub_u32 s33, s12, s10
	s_subb_u32 s40, s13, s11
	s_mul_i32 s41, s3, s2
	s_mov_b32 s3, 0
	s_add_i32 s2, s26, -1
	s_add_i32 s42, s26, 1
	s_lshl_b64 s[2:3], s[2:3], 3
	s_add_u32 s2, s27, s2
	s_addc_u32 s3, s28, s3
	s_add_u32 s4, s2, 8
	v_cndmask_b32_e64 v0, 0, 1, s[0:1]
	s_addc_u32 s5, s3, 0
	s_mov_b64 s[26:27], 0
	v_cmp_ne_u32_e64 s[0:1], 1, v0
	s_branch .LBB33_3
.LBB33_2:                               ;   in Loop: Header=BB33_3 Depth=1
	s_or_b64 exec, exec, s[28:29]
	v_add_co_u32_e32 v4, vcc, s41, v4
	v_addc_co_u32_e32 v5, vcc, 0, v5, vcc
	v_cmp_le_i64_e32 vcc, s[14:15], v[4:5]
	s_or_b64 s[26:27], vcc, s[26:27]
	s_andn2_b64 exec, exec, s[26:27]
	s_cbranch_execz .LBB33_17
.LBB33_3:                               ; =>This Loop Header: Depth=1
                                        ;     Child Loop BB33_4 Depth 2
                                        ;     Child Loop BB33_16 Depth 2
	v_mov_b32_e32 v0, 0
	v_mov_b32_e32 v2, v4
	;; [unrolled: 1-line block ×4, first 2 shown]
	s_and_b64 vcc, exec, s[0:1]
	s_mov_b64 s[28:29], s[4:5]
	s_mov_b32 s43, s42
	v_mov_b32_e32 v3, v5
	v_mov_b32_e32 v7, v4
	s_cbranch_vccnz .LBB33_10
.LBB33_4:                               ;   Parent Loop BB33_3 Depth=1
                                        ; =>  This Inner Loop Header: Depth=2
	s_load_dwordx2 s[30:31], s[28:29], 0x0
	s_waitcnt lgkmcnt(0)
	v_or_b32_e32 v7, s31, v3
	v_cmp_ne_u64_e32 vcc, 0, v[6:7]
                                        ; implicit-def: $vgpr7_vgpr8
	s_and_saveexec_b64 s[2:3], vcc
	s_xor_b64 s[34:35], exec, s[2:3]
	s_cbranch_execz .LBB33_6
; %bb.5:                                ;   in Loop: Header=BB33_4 Depth=2
	s_ashr_i32 s36, s31, 31
	s_add_u32 s2, s30, s36
	s_mov_b32 s37, s36
	s_addc_u32 s3, s31, s36
	s_xor_b64 s[38:39], s[2:3], s[36:37]
	v_cvt_f32_u32_e32 v7, s38
	v_cvt_f32_u32_e32 v8, s39
	s_sub_u32 s37, 0, s38
	s_subb_u32 s44, 0, s39
	v_ashrrev_i32_e32 v11, 31, v3
	v_mac_f32_e32 v7, 0x4f800000, v8
	v_rcp_f32_e32 v7, v7
	v_mul_f32_e32 v7, 0x5f7ffffc, v7
	v_mul_f32_e32 v8, 0x2f800000, v7
	v_trunc_f32_e32 v8, v8
	v_mac_f32_e32 v7, 0xcf800000, v8
	v_cvt_u32_f32_e32 v8, v8
	v_cvt_u32_f32_e32 v7, v7
	v_readfirstlane_b32 s45, v8
	v_readfirstlane_b32 s2, v7
	s_mul_i32 s3, s37, s45
	s_mul_hi_u32 s47, s37, s2
	s_mul_i32 s46, s44, s2
	s_add_i32 s3, s47, s3
	s_add_i32 s3, s3, s46
	s_mul_i32 s48, s37, s2
	s_mul_i32 s47, s2, s3
	s_mul_hi_u32 s49, s2, s48
	s_mul_hi_u32 s46, s2, s3
	s_add_u32 s47, s49, s47
	s_addc_u32 s46, 0, s46
	s_mul_hi_u32 s50, s45, s48
	s_mul_i32 s48, s45, s48
	s_add_u32 s47, s47, s48
	s_mul_hi_u32 s49, s45, s3
	s_addc_u32 s46, s46, s50
	s_addc_u32 s47, s49, 0
	s_mul_i32 s3, s45, s3
	s_add_u32 s3, s46, s3
	s_addc_u32 s46, 0, s47
	s_add_u32 s47, s2, s3
	s_cselect_b64 s[2:3], -1, 0
	s_cmp_lg_u64 s[2:3], 0
	s_addc_u32 s45, s45, s46
	s_mul_i32 s2, s37, s45
	s_mul_hi_u32 s3, s37, s47
	s_add_i32 s2, s3, s2
	s_mul_i32 s44, s44, s47
	s_add_i32 s2, s2, s44
	s_mul_i32 s37, s37, s47
	s_mul_hi_u32 s44, s45, s37
	s_mul_i32 s46, s45, s37
	s_mul_i32 s49, s47, s2
	s_mul_hi_u32 s37, s47, s37
	s_mul_hi_u32 s48, s47, s2
	s_add_u32 s37, s37, s49
	s_addc_u32 s48, 0, s48
	s_add_u32 s37, s37, s46
	s_mul_hi_u32 s3, s45, s2
	s_addc_u32 s37, s48, s44
	s_addc_u32 s3, s3, 0
	s_mul_i32 s2, s45, s2
	s_add_u32 s2, s37, s2
	s_addc_u32 s37, 0, s3
	s_add_u32 s44, s47, s2
	s_cselect_b64 s[2:3], -1, 0
	s_cmp_lg_u64 s[2:3], 0
	v_add_co_u32_e32 v7, vcc, v2, v11
	s_addc_u32 s37, s45, s37
	v_xor_b32_e32 v12, v7, v11
	v_mad_u64_u32 v[7:8], s[2:3], v12, s37, 0
	v_mul_hi_u32 v10, v12, s44
	v_addc_co_u32_e32 v9, vcc, v3, v11, vcc
	v_xor_b32_e32 v13, v9, v11
	v_add_co_u32_e32 v14, vcc, v10, v7
	v_addc_co_u32_e32 v15, vcc, 0, v8, vcc
	v_mad_u64_u32 v[7:8], s[2:3], v13, s44, 0
	v_mad_u64_u32 v[9:10], s[2:3], v13, s37, 0
	v_add_co_u32_e32 v7, vcc, v14, v7
	v_addc_co_u32_e32 v7, vcc, v15, v8, vcc
	v_addc_co_u32_e32 v8, vcc, 0, v10, vcc
	v_add_co_u32_e32 v9, vcc, v7, v9
	v_addc_co_u32_e32 v10, vcc, 0, v8, vcc
	v_mul_lo_u32 v14, s39, v9
	v_mul_lo_u32 v15, s38, v10
	v_mad_u64_u32 v[7:8], s[2:3], s38, v9, 0
	v_add3_u32 v8, v8, v15, v14
	v_sub_u32_e32 v14, v13, v8
	v_mov_b32_e32 v15, s39
	v_sub_co_u32_e32 v7, vcc, v12, v7
	v_subb_co_u32_e64 v12, s[2:3], v14, v15, vcc
	v_subrev_co_u32_e64 v14, s[2:3], s38, v7
	v_subbrev_co_u32_e64 v12, s[2:3], 0, v12, s[2:3]
	v_cmp_le_u32_e64 s[2:3], s39, v12
	v_cndmask_b32_e64 v15, 0, -1, s[2:3]
	v_cmp_le_u32_e64 s[2:3], s38, v14
	v_cndmask_b32_e64 v14, 0, -1, s[2:3]
	v_cmp_eq_u32_e64 s[2:3], s39, v12
	v_cndmask_b32_e64 v12, v15, v14, s[2:3]
	v_add_co_u32_e64 v14, s[2:3], 2, v9
	v_subb_co_u32_e32 v8, vcc, v13, v8, vcc
	v_addc_co_u32_e64 v15, s[2:3], 0, v10, s[2:3]
	v_cmp_le_u32_e32 vcc, s39, v8
	v_add_co_u32_e64 v16, s[2:3], 1, v9
	v_cndmask_b32_e64 v13, 0, -1, vcc
	v_cmp_le_u32_e32 vcc, s38, v7
	v_addc_co_u32_e64 v17, s[2:3], 0, v10, s[2:3]
	v_cndmask_b32_e64 v7, 0, -1, vcc
	v_cmp_eq_u32_e32 vcc, s39, v8
	v_cmp_ne_u32_e64 s[2:3], 0, v12
	v_cndmask_b32_e32 v7, v13, v7, vcc
	v_cndmask_b32_e64 v12, v17, v15, s[2:3]
	v_cmp_ne_u32_e32 vcc, 0, v7
	v_cndmask_b32_e64 v8, v16, v14, s[2:3]
	v_cndmask_b32_e32 v7, v10, v12, vcc
	v_cndmask_b32_e32 v8, v9, v8, vcc
	v_xor_b32_e32 v9, s36, v11
	v_xor_b32_e32 v10, v7, v9
	;; [unrolled: 1-line block ×3, first 2 shown]
	v_sub_co_u32_e32 v7, vcc, v7, v9
	v_subb_co_u32_e32 v8, vcc, v10, v9, vcc
.LBB33_6:                               ;   in Loop: Header=BB33_4 Depth=2
	s_andn2_saveexec_b64 s[2:3], s[34:35]
	s_cbranch_execz .LBB33_8
; %bb.7:                                ;   in Loop: Header=BB33_4 Depth=2
	v_cvt_f32_u32_e32 v7, s30
	s_sub_i32 s34, 0, s30
	v_rcp_iflag_f32_e32 v7, v7
	v_mul_f32_e32 v7, 0x4f7ffffe, v7
	v_cvt_u32_f32_e32 v7, v7
	v_mul_lo_u32 v8, s34, v7
	v_mul_hi_u32 v8, v7, v8
	v_add_u32_e32 v7, v7, v8
	v_mul_hi_u32 v7, v2, v7
	v_mul_lo_u32 v8, v7, s30
	v_add_u32_e32 v9, 1, v7
	v_sub_u32_e32 v8, v2, v8
	v_subrev_u32_e32 v10, s30, v8
	v_cmp_le_u32_e32 vcc, s30, v8
	v_cndmask_b32_e32 v8, v8, v10, vcc
	v_cndmask_b32_e32 v7, v7, v9, vcc
	v_add_u32_e32 v9, 1, v7
	v_cmp_le_u32_e32 vcc, s30, v8
	v_cndmask_b32_e32 v7, v7, v9, vcc
	v_mov_b32_e32 v8, v6
.LBB33_8:                               ;   in Loop: Header=BB33_4 Depth=2
	s_or_b64 exec, exec, s[2:3]
	v_mul_lo_u32 v11, v8, s30
	v_mul_lo_u32 v12, v7, s31
	v_mad_u64_u32 v[9:10], s[2:3], v7, s30, 0
	s_load_dwordx2 s[2:3], s[28:29], 0xc8
	s_add_i32 s43, s43, -1
	v_add3_u32 v10, v10, v12, v11
	v_sub_co_u32_e32 v2, vcc, v2, v9
	v_subb_co_u32_e32 v3, vcc, v3, v10, vcc
	s_waitcnt lgkmcnt(0)
	v_mul_lo_u32 v3, s2, v3
	v_mul_lo_u32 v9, s3, v2
	v_mad_u64_u32 v[0:1], s[2:3], s2, v2, v[0:1]
	s_add_u32 s28, s28, -8
	s_addc_u32 s29, s29, -1
	s_cmp_gt_u32 s43, 2
	v_add3_u32 v1, v9, v1, v3
	s_cbranch_scc0 .LBB33_10
; %bb.9:                                ;   in Loop: Header=BB33_4 Depth=2
	v_mov_b32_e32 v2, v7
	v_mov_b32_e32 v3, v8
	s_branch .LBB33_4
.LBB33_10:                              ;   in Loop: Header=BB33_3 Depth=1
	s_waitcnt lgkmcnt(0)
	v_mul_lo_u32 v9, s23, v7
	v_mul_lo_u32 v8, s22, v8
	v_mad_u64_u32 v[2:3], s[2:3], s22, v7, 0
	v_mov_b32_e32 v7, s25
	v_lshlrev_b64 v[0:1], 2, v[0:1]
	v_add3_u32 v3, v3, v8, v9
	v_lshlrev_b64 v[2:3], 2, v[2:3]
	v_add_co_u32_e32 v2, vcc, s24, v2
	v_addc_co_u32_e32 v3, vcc, v7, v3, vcc
	v_add_co_u32_e32 v0, vcc, v2, v0
	v_addc_co_u32_e32 v1, vcc, v3, v1, vcc
	global_load_dword v0, v[0:1], off
	s_waitcnt vmcnt(0)
	v_ashrrev_i32_e32 v1, 31, v0
	v_cmp_le_i64_e32 vcc, s[10:11], v[0:1]
	v_cmp_ge_i64_e64 s[2:3], s[12:13], v[0:1]
	s_and_b64 s[2:3], vcc, s[2:3]
	s_and_saveexec_b64 s[28:29], s[2:3]
	s_cbranch_execz .LBB33_2
; %bb.11:                               ;   in Loop: Header=BB33_3 Depth=1
	v_mov_b32_e32 v2, s11
	v_subrev_co_u32_e32 v0, vcc, s10, v0
	v_subb_co_u32_e32 v1, vcc, v1, v2, vcc
	v_mul_lo_u32 v2, v1, s8
	v_mul_lo_u32 v3, v0, s9
	v_mad_u64_u32 v[0:1], s[2:3], v0, s8, 0
	v_add3_u32 v1, v1, v3, v2
	v_or_b32_e32 v7, s40, v1
	v_cmp_ne_u64_e32 vcc, 0, v[6:7]
                                        ; implicit-def: $vgpr2_vgpr3
	s_and_saveexec_b64 s[2:3], vcc
	s_xor_b64 s[30:31], exec, s[2:3]
	s_cbranch_execz .LBB33_13
; %bb.12:                               ;   in Loop: Header=BB33_3 Depth=1
	s_ashr_i32 s34, s40, 31
	s_add_u32 s2, s33, s34
	s_mov_b32 s35, s34
	s_addc_u32 s3, s40, s34
	s_xor_b64 s[36:37], s[2:3], s[34:35]
	v_cvt_f32_u32_e32 v2, s36
	v_cvt_f32_u32_e32 v3, s37
	s_sub_u32 s35, 0, s36
	s_subb_u32 s38, 0, s37
	v_ashrrev_i32_e32 v7, 31, v1
	v_mac_f32_e32 v2, 0x4f800000, v3
	v_rcp_f32_e32 v2, v2
	v_add_co_u32_e32 v0, vcc, v0, v7
	v_xor_b32_e32 v8, v0, v7
	v_mul_f32_e32 v2, 0x5f7ffffc, v2
	v_mul_f32_e32 v3, 0x2f800000, v2
	v_trunc_f32_e32 v3, v3
	v_mac_f32_e32 v2, 0xcf800000, v3
	v_cvt_u32_f32_e32 v3, v3
	v_cvt_u32_f32_e32 v2, v2
	v_readfirstlane_b32 s39, v3
	v_readfirstlane_b32 s2, v2
	s_mul_i32 s3, s35, s39
	s_mul_hi_u32 s44, s35, s2
	s_mul_i32 s43, s38, s2
	s_add_i32 s3, s44, s3
	s_add_i32 s3, s3, s43
	s_mul_i32 s45, s35, s2
	s_mul_i32 s44, s2, s3
	s_mul_hi_u32 s46, s2, s45
	s_mul_hi_u32 s43, s2, s3
	s_add_u32 s44, s46, s44
	s_addc_u32 s43, 0, s43
	s_mul_hi_u32 s47, s39, s45
	s_mul_i32 s45, s39, s45
	s_add_u32 s44, s44, s45
	s_mul_hi_u32 s46, s39, s3
	s_addc_u32 s43, s43, s47
	s_addc_u32 s44, s46, 0
	s_mul_i32 s3, s39, s3
	s_add_u32 s3, s43, s3
	s_addc_u32 s43, 0, s44
	s_add_u32 s44, s2, s3
	s_cselect_b64 s[2:3], -1, 0
	s_cmp_lg_u64 s[2:3], 0
	s_addc_u32 s39, s39, s43
	s_mul_i32 s2, s35, s39
	s_mul_hi_u32 s3, s35, s44
	s_add_i32 s2, s3, s2
	s_mul_i32 s38, s38, s44
	s_add_i32 s2, s2, s38
	s_mul_i32 s35, s35, s44
	s_mul_hi_u32 s38, s39, s35
	s_mul_i32 s43, s39, s35
	s_mul_i32 s46, s44, s2
	s_mul_hi_u32 s35, s44, s35
	s_mul_hi_u32 s45, s44, s2
	s_add_u32 s35, s35, s46
	s_addc_u32 s45, 0, s45
	s_add_u32 s35, s35, s43
	s_mul_hi_u32 s3, s39, s2
	s_addc_u32 s35, s45, s38
	s_addc_u32 s3, s3, 0
	s_mul_i32 s2, s39, s2
	s_add_u32 s2, s35, s2
	s_addc_u32 s35, 0, s3
	s_add_u32 s38, s44, s2
	s_cselect_b64 s[2:3], -1, 0
	s_cmp_lg_u64 s[2:3], 0
	s_addc_u32 s35, s39, s35
	v_addc_co_u32_e32 v2, vcc, v1, v7, vcc
	v_mad_u64_u32 v[0:1], s[2:3], v8, s35, 0
	v_mul_hi_u32 v3, v8, s38
	v_xor_b32_e32 v9, v2, v7
	v_add_co_u32_e32 v10, vcc, v3, v0
	v_addc_co_u32_e32 v11, vcc, 0, v1, vcc
	v_mad_u64_u32 v[0:1], s[2:3], v9, s38, 0
	v_mad_u64_u32 v[2:3], s[2:3], v9, s35, 0
	v_add_co_u32_e32 v0, vcc, v10, v0
	v_addc_co_u32_e32 v0, vcc, v11, v1, vcc
	v_addc_co_u32_e32 v1, vcc, 0, v3, vcc
	v_add_co_u32_e32 v2, vcc, v0, v2
	v_addc_co_u32_e32 v0, vcc, 0, v1, vcc
	v_mul_lo_u32 v3, s37, v2
	v_mul_lo_u32 v10, s36, v0
	v_mad_u64_u32 v[0:1], s[2:3], s36, v2, 0
	v_add3_u32 v1, v1, v10, v3
	v_sub_u32_e32 v3, v9, v1
	v_mov_b32_e32 v10, s37
	v_sub_co_u32_e32 v0, vcc, v8, v0
	v_subb_co_u32_e64 v3, s[2:3], v3, v10, vcc
	v_subrev_co_u32_e64 v8, s[2:3], s36, v0
	v_subbrev_co_u32_e64 v3, s[2:3], 0, v3, s[2:3]
	v_cmp_le_u32_e64 s[2:3], s37, v3
	v_subb_co_u32_e32 v1, vcc, v9, v1, vcc
	v_cndmask_b32_e64 v10, 0, -1, s[2:3]
	v_cmp_le_u32_e64 s[2:3], s36, v8
	v_cmp_le_u32_e32 vcc, s37, v1
	v_cndmask_b32_e64 v8, 0, -1, s[2:3]
	v_cmp_eq_u32_e64 s[2:3], s37, v3
	v_cndmask_b32_e64 v9, 0, -1, vcc
	v_cmp_le_u32_e32 vcc, s36, v0
	v_cndmask_b32_e64 v3, v10, v8, s[2:3]
	v_cndmask_b32_e64 v0, 0, -1, vcc
	v_cmp_eq_u32_e32 vcc, s37, v1
	v_add_co_u32_e64 v8, s[2:3], 2, v2
	v_add_co_u32_e64 v10, s[2:3], 1, v2
	v_cndmask_b32_e32 v0, v9, v0, vcc
	v_cmp_ne_u32_e32 vcc, 0, v3
	v_cndmask_b32_e32 v1, v10, v8, vcc
	v_cmp_ne_u32_e32 vcc, 0, v0
	v_cndmask_b32_e32 v0, v2, v1, vcc
	v_xor_b32_e32 v1, s34, v7
	v_xor_b32_e32 v0, v0, v1
	v_sub_co_u32_e32 v2, vcc, v0, v1
                                        ; implicit-def: $vgpr0_vgpr1
.LBB33_13:                              ;   in Loop: Header=BB33_3 Depth=1
	s_andn2_saveexec_b64 s[2:3], s[30:31]
	s_cbranch_execz .LBB33_15
; %bb.14:                               ;   in Loop: Header=BB33_3 Depth=1
	v_cvt_f32_u32_e32 v1, s33
	s_sub_i32 s30, 0, s33
	v_rcp_iflag_f32_e32 v1, v1
	v_mul_f32_e32 v1, 0x4f7ffffe, v1
	v_cvt_u32_f32_e32 v1, v1
	v_mul_lo_u32 v2, s30, v1
	v_mul_hi_u32 v2, v1, v2
	v_add_u32_e32 v1, v1, v2
	v_mul_hi_u32 v1, v0, v1
	v_mul_lo_u32 v2, v1, s33
	v_add_u32_e32 v3, 1, v1
	v_sub_u32_e32 v0, v0, v2
	v_subrev_u32_e32 v2, s33, v0
	v_cmp_le_u32_e32 vcc, s33, v0
	v_cndmask_b32_e32 v0, v0, v2, vcc
	v_cndmask_b32_e32 v1, v1, v3, vcc
	v_add_u32_e32 v2, 1, v1
	v_cmp_le_u32_e32 vcc, s33, v0
	v_cndmask_b32_e32 v2, v1, v2, vcc
.LBB33_15:                              ;   in Loop: Header=BB33_3 Depth=1
	s_or_b64 exec, exec, s[2:3]
	v_ashrrev_i32_e32 v3, 31, v2
	v_cmp_eq_u64_e32 vcc, s[8:9], v[2:3]
	v_mul_lo_u32 v9, v5, s6
	v_cndmask_b32_e64 v0, 0, 1, vcc
	v_sub_co_u32_e32 v0, vcc, v2, v0
	v_subbrev_co_u32_e32 v1, vcc, 0, v3, vcc
	v_mul_lo_u32 v2, v1, s20
	v_mul_lo_u32 v3, v0, s21
	v_mad_u64_u32 v[0:1], s[2:3], v0, s20, 0
	v_mul_lo_u32 v10, v4, s7
	v_mov_b32_e32 v8, s19
	v_add3_u32 v1, v1, v3, v2
	v_mad_u64_u32 v[2:3], s[2:3], v4, s6, 0
	v_lshlrev_b64 v[0:1], 3, v[0:1]
	s_mov_b64 s[2:3], 0
	v_add_co_u32_e32 v7, vcc, s18, v0
	v_add3_u32 v3, v3, v10, v9
	v_addc_co_u32_e32 v8, vcc, v8, v1, vcc
	v_lshlrev_b64 v[0:1], 3, v[2:3]
	v_mov_b32_e32 v2, s17
	v_add_co_u32_e32 v0, vcc, s16, v0
	v_addc_co_u32_e32 v1, vcc, v2, v1, vcc
	global_load_dwordx2 v[9:10], v[0:1], off
	global_load_dwordx2 v[2:3], v[7:8], off
.LBB33_16:                              ;   Parent Loop BB33_3 Depth=1
                                        ; =>  This Inner Loop Header: Depth=2
	s_waitcnt vmcnt(0)
	v_add_f64 v[0:1], v[2:3], v[9:10]
	global_atomic_cmpswap_x2 v[0:1], v[7:8], v[0:3], off glc
	s_waitcnt vmcnt(0)
	v_cmp_eq_u64_e32 vcc, v[0:1], v[2:3]
	v_mov_b32_e32 v3, v1
	s_or_b64 s[2:3], vcc, s[2:3]
	v_mov_b32_e32 v2, v0
	s_andn2_b64 exec, exec, s[2:3]
	s_cbranch_execnz .LBB33_16
	s_branch .LBB33_2
.LBB33_17:
	s_endpgm
	.section	.rodata,"a",@progbits
	.p2align	6, 0x0
	.amdhsa_kernel _ZN2at4cuda17kernelHistogram1DIdilLi1ELi2ELin1ELNS0_23CUDAHistogramMemoryTypeE1EZNS0_21CUDA_tensor_histogramIdiLb1EEEbNS_6TensorES4_S4_lNS_14AccumulateTypeIT0_Lb1EE4typeES8_NS0_13TensorArgTypeES9_S9_EUllE_EEvNS0_6detail10TensorInfoIT_T1_EESF_NSC_IKS6_SE_EElS8_S8_SE_T6_
		.amdhsa_group_segment_fixed_size 0
		.amdhsa_private_segment_fixed_size 0
		.amdhsa_kernarg_size 1952
		.amdhsa_user_sgpr_count 6
		.amdhsa_user_sgpr_private_segment_buffer 1
		.amdhsa_user_sgpr_dispatch_ptr 0
		.amdhsa_user_sgpr_queue_ptr 0
		.amdhsa_user_sgpr_kernarg_segment_ptr 1
		.amdhsa_user_sgpr_dispatch_id 0
		.amdhsa_user_sgpr_flat_scratch_init 0
		.amdhsa_user_sgpr_private_segment_size 0
		.amdhsa_uses_dynamic_stack 0
		.amdhsa_system_sgpr_private_segment_wavefront_offset 0
		.amdhsa_system_sgpr_workgroup_id_x 1
		.amdhsa_system_sgpr_workgroup_id_y 0
		.amdhsa_system_sgpr_workgroup_id_z 0
		.amdhsa_system_sgpr_workgroup_info 0
		.amdhsa_system_vgpr_workitem_id 0
		.amdhsa_next_free_vgpr 18
		.amdhsa_next_free_sgpr 51
		.amdhsa_reserve_vcc 1
		.amdhsa_reserve_flat_scratch 0
		.amdhsa_float_round_mode_32 0
		.amdhsa_float_round_mode_16_64 0
		.amdhsa_float_denorm_mode_32 3
		.amdhsa_float_denorm_mode_16_64 3
		.amdhsa_dx10_clamp 1
		.amdhsa_ieee_mode 1
		.amdhsa_fp16_overflow 0
		.amdhsa_exception_fp_ieee_invalid_op 0
		.amdhsa_exception_fp_denorm_src 0
		.amdhsa_exception_fp_ieee_div_zero 0
		.amdhsa_exception_fp_ieee_overflow 0
		.amdhsa_exception_fp_ieee_underflow 0
		.amdhsa_exception_fp_ieee_inexact 0
		.amdhsa_exception_int_div_zero 0
	.end_amdhsa_kernel
	.section	.text._ZN2at4cuda17kernelHistogram1DIdilLi1ELi2ELin1ELNS0_23CUDAHistogramMemoryTypeE1EZNS0_21CUDA_tensor_histogramIdiLb1EEEbNS_6TensorES4_S4_lNS_14AccumulateTypeIT0_Lb1EE4typeES8_NS0_13TensorArgTypeES9_S9_EUllE_EEvNS0_6detail10TensorInfoIT_T1_EESF_NSC_IKS6_SE_EElS8_S8_SE_T6_,"axG",@progbits,_ZN2at4cuda17kernelHistogram1DIdilLi1ELi2ELin1ELNS0_23CUDAHistogramMemoryTypeE1EZNS0_21CUDA_tensor_histogramIdiLb1EEEbNS_6TensorES4_S4_lNS_14AccumulateTypeIT0_Lb1EE4typeES8_NS0_13TensorArgTypeES9_S9_EUllE_EEvNS0_6detail10TensorInfoIT_T1_EESF_NSC_IKS6_SE_EElS8_S8_SE_T6_,comdat
.Lfunc_end33:
	.size	_ZN2at4cuda17kernelHistogram1DIdilLi1ELi2ELin1ELNS0_23CUDAHistogramMemoryTypeE1EZNS0_21CUDA_tensor_histogramIdiLb1EEEbNS_6TensorES4_S4_lNS_14AccumulateTypeIT0_Lb1EE4typeES8_NS0_13TensorArgTypeES9_S9_EUllE_EEvNS0_6detail10TensorInfoIT_T1_EESF_NSC_IKS6_SE_EElS8_S8_SE_T6_, .Lfunc_end33-_ZN2at4cuda17kernelHistogram1DIdilLi1ELi2ELin1ELNS0_23CUDAHistogramMemoryTypeE1EZNS0_21CUDA_tensor_histogramIdiLb1EEEbNS_6TensorES4_S4_lNS_14AccumulateTypeIT0_Lb1EE4typeES8_NS0_13TensorArgTypeES9_S9_EUllE_EEvNS0_6detail10TensorInfoIT_T1_EESF_NSC_IKS6_SE_EElS8_S8_SE_T6_
                                        ; -- End function
	.set _ZN2at4cuda17kernelHistogram1DIdilLi1ELi2ELin1ELNS0_23CUDAHistogramMemoryTypeE1EZNS0_21CUDA_tensor_histogramIdiLb1EEEbNS_6TensorES4_S4_lNS_14AccumulateTypeIT0_Lb1EE4typeES8_NS0_13TensorArgTypeES9_S9_EUllE_EEvNS0_6detail10TensorInfoIT_T1_EESF_NSC_IKS6_SE_EElS8_S8_SE_T6_.num_vgpr, 18
	.set _ZN2at4cuda17kernelHistogram1DIdilLi1ELi2ELin1ELNS0_23CUDAHistogramMemoryTypeE1EZNS0_21CUDA_tensor_histogramIdiLb1EEEbNS_6TensorES4_S4_lNS_14AccumulateTypeIT0_Lb1EE4typeES8_NS0_13TensorArgTypeES9_S9_EUllE_EEvNS0_6detail10TensorInfoIT_T1_EESF_NSC_IKS6_SE_EElS8_S8_SE_T6_.num_agpr, 0
	.set _ZN2at4cuda17kernelHistogram1DIdilLi1ELi2ELin1ELNS0_23CUDAHistogramMemoryTypeE1EZNS0_21CUDA_tensor_histogramIdiLb1EEEbNS_6TensorES4_S4_lNS_14AccumulateTypeIT0_Lb1EE4typeES8_NS0_13TensorArgTypeES9_S9_EUllE_EEvNS0_6detail10TensorInfoIT_T1_EESF_NSC_IKS6_SE_EElS8_S8_SE_T6_.numbered_sgpr, 51
	.set _ZN2at4cuda17kernelHistogram1DIdilLi1ELi2ELin1ELNS0_23CUDAHistogramMemoryTypeE1EZNS0_21CUDA_tensor_histogramIdiLb1EEEbNS_6TensorES4_S4_lNS_14AccumulateTypeIT0_Lb1EE4typeES8_NS0_13TensorArgTypeES9_S9_EUllE_EEvNS0_6detail10TensorInfoIT_T1_EESF_NSC_IKS6_SE_EElS8_S8_SE_T6_.num_named_barrier, 0
	.set _ZN2at4cuda17kernelHistogram1DIdilLi1ELi2ELin1ELNS0_23CUDAHistogramMemoryTypeE1EZNS0_21CUDA_tensor_histogramIdiLb1EEEbNS_6TensorES4_S4_lNS_14AccumulateTypeIT0_Lb1EE4typeES8_NS0_13TensorArgTypeES9_S9_EUllE_EEvNS0_6detail10TensorInfoIT_T1_EESF_NSC_IKS6_SE_EElS8_S8_SE_T6_.private_seg_size, 0
	.set _ZN2at4cuda17kernelHistogram1DIdilLi1ELi2ELin1ELNS0_23CUDAHistogramMemoryTypeE1EZNS0_21CUDA_tensor_histogramIdiLb1EEEbNS_6TensorES4_S4_lNS_14AccumulateTypeIT0_Lb1EE4typeES8_NS0_13TensorArgTypeES9_S9_EUllE_EEvNS0_6detail10TensorInfoIT_T1_EESF_NSC_IKS6_SE_EElS8_S8_SE_T6_.uses_vcc, 1
	.set _ZN2at4cuda17kernelHistogram1DIdilLi1ELi2ELin1ELNS0_23CUDAHistogramMemoryTypeE1EZNS0_21CUDA_tensor_histogramIdiLb1EEEbNS_6TensorES4_S4_lNS_14AccumulateTypeIT0_Lb1EE4typeES8_NS0_13TensorArgTypeES9_S9_EUllE_EEvNS0_6detail10TensorInfoIT_T1_EESF_NSC_IKS6_SE_EElS8_S8_SE_T6_.uses_flat_scratch, 0
	.set _ZN2at4cuda17kernelHistogram1DIdilLi1ELi2ELin1ELNS0_23CUDAHistogramMemoryTypeE1EZNS0_21CUDA_tensor_histogramIdiLb1EEEbNS_6TensorES4_S4_lNS_14AccumulateTypeIT0_Lb1EE4typeES8_NS0_13TensorArgTypeES9_S9_EUllE_EEvNS0_6detail10TensorInfoIT_T1_EESF_NSC_IKS6_SE_EElS8_S8_SE_T6_.has_dyn_sized_stack, 0
	.set _ZN2at4cuda17kernelHistogram1DIdilLi1ELi2ELin1ELNS0_23CUDAHistogramMemoryTypeE1EZNS0_21CUDA_tensor_histogramIdiLb1EEEbNS_6TensorES4_S4_lNS_14AccumulateTypeIT0_Lb1EE4typeES8_NS0_13TensorArgTypeES9_S9_EUllE_EEvNS0_6detail10TensorInfoIT_T1_EESF_NSC_IKS6_SE_EElS8_S8_SE_T6_.has_recursion, 0
	.set _ZN2at4cuda17kernelHistogram1DIdilLi1ELi2ELin1ELNS0_23CUDAHistogramMemoryTypeE1EZNS0_21CUDA_tensor_histogramIdiLb1EEEbNS_6TensorES4_S4_lNS_14AccumulateTypeIT0_Lb1EE4typeES8_NS0_13TensorArgTypeES9_S9_EUllE_EEvNS0_6detail10TensorInfoIT_T1_EESF_NSC_IKS6_SE_EElS8_S8_SE_T6_.has_indirect_call, 0
	.section	.AMDGPU.csdata,"",@progbits
; Kernel info:
; codeLenInByte = 2204
; TotalNumSgprs: 55
; NumVgprs: 18
; ScratchSize: 0
; MemoryBound: 0
; FloatMode: 240
; IeeeMode: 1
; LDSByteSize: 0 bytes/workgroup (compile time only)
; SGPRBlocks: 6
; VGPRBlocks: 4
; NumSGPRsForWavesPerEU: 55
; NumVGPRsForWavesPerEU: 18
; Occupancy: 10
; WaveLimiterHint : 1
; COMPUTE_PGM_RSRC2:SCRATCH_EN: 0
; COMPUTE_PGM_RSRC2:USER_SGPR: 6
; COMPUTE_PGM_RSRC2:TRAP_HANDLER: 0
; COMPUTE_PGM_RSRC2:TGID_X_EN: 1
; COMPUTE_PGM_RSRC2:TGID_Y_EN: 0
; COMPUTE_PGM_RSRC2:TGID_Z_EN: 0
; COMPUTE_PGM_RSRC2:TIDIG_COMP_CNT: 0
	.section	.text._ZN2at4cuda17kernelHistogram1DIdilLi1ELi2ELin1ELNS0_23CUDAHistogramMemoryTypeE0EZNS0_21CUDA_tensor_histogramIdiLb1EEEbNS_6TensorES4_S4_lNS_14AccumulateTypeIT0_Lb1EE4typeES8_NS0_13TensorArgTypeES9_S9_EUllE0_EEvNS0_6detail10TensorInfoIT_T1_EESF_NSC_IKS6_SE_EElS8_S8_SE_T6_,"axG",@progbits,_ZN2at4cuda17kernelHistogram1DIdilLi1ELi2ELin1ELNS0_23CUDAHistogramMemoryTypeE0EZNS0_21CUDA_tensor_histogramIdiLb1EEEbNS_6TensorES4_S4_lNS_14AccumulateTypeIT0_Lb1EE4typeES8_NS0_13TensorArgTypeES9_S9_EUllE0_EEvNS0_6detail10TensorInfoIT_T1_EESF_NSC_IKS6_SE_EElS8_S8_SE_T6_,comdat
	.protected	_ZN2at4cuda17kernelHistogram1DIdilLi1ELi2ELin1ELNS0_23CUDAHistogramMemoryTypeE0EZNS0_21CUDA_tensor_histogramIdiLb1EEEbNS_6TensorES4_S4_lNS_14AccumulateTypeIT0_Lb1EE4typeES8_NS0_13TensorArgTypeES9_S9_EUllE0_EEvNS0_6detail10TensorInfoIT_T1_EESF_NSC_IKS6_SE_EElS8_S8_SE_T6_ ; -- Begin function _ZN2at4cuda17kernelHistogram1DIdilLi1ELi2ELin1ELNS0_23CUDAHistogramMemoryTypeE0EZNS0_21CUDA_tensor_histogramIdiLb1EEEbNS_6TensorES4_S4_lNS_14AccumulateTypeIT0_Lb1EE4typeES8_NS0_13TensorArgTypeES9_S9_EUllE0_EEvNS0_6detail10TensorInfoIT_T1_EESF_NSC_IKS6_SE_EElS8_S8_SE_T6_
	.globl	_ZN2at4cuda17kernelHistogram1DIdilLi1ELi2ELin1ELNS0_23CUDAHistogramMemoryTypeE0EZNS0_21CUDA_tensor_histogramIdiLb1EEEbNS_6TensorES4_S4_lNS_14AccumulateTypeIT0_Lb1EE4typeES8_NS0_13TensorArgTypeES9_S9_EUllE0_EEvNS0_6detail10TensorInfoIT_T1_EESF_NSC_IKS6_SE_EElS8_S8_SE_T6_
	.p2align	8
	.type	_ZN2at4cuda17kernelHistogram1DIdilLi1ELi2ELin1ELNS0_23CUDAHistogramMemoryTypeE0EZNS0_21CUDA_tensor_histogramIdiLb1EEEbNS_6TensorES4_S4_lNS_14AccumulateTypeIT0_Lb1EE4typeES8_NS0_13TensorArgTypeES9_S9_EUllE0_EEvNS0_6detail10TensorInfoIT_T1_EESF_NSC_IKS6_SE_EElS8_S8_SE_T6_,@function
_ZN2at4cuda17kernelHistogram1DIdilLi1ELi2ELin1ELNS0_23CUDAHistogramMemoryTypeE0EZNS0_21CUDA_tensor_histogramIdiLb1EEEbNS_6TensorES4_S4_lNS_14AccumulateTypeIT0_Lb1EE4typeES8_NS0_13TensorArgTypeES9_S9_EUllE0_EEvNS0_6detail10TensorInfoIT_T1_EESF_NSC_IKS6_SE_EElS8_S8_SE_T6_: ; @_ZN2at4cuda17kernelHistogram1DIdilLi1ELi2ELin1ELNS0_23CUDAHistogramMemoryTypeE0EZNS0_21CUDA_tensor_histogramIdiLb1EEEbNS_6TensorES4_S4_lNS_14AccumulateTypeIT0_Lb1EE4typeES8_NS0_13TensorArgTypeES9_S9_EUllE0_EEvNS0_6detail10TensorInfoIT_T1_EESF_NSC_IKS6_SE_EElS8_S8_SE_T6_
; %bb.0:
	s_load_dwordx4 s[16:19], s[4:5], 0x0
	v_mov_b32_e32 v1, 0
	s_add_u32 s2, s4, 0x508
	s_addc_u32 s3, s5, 0
                                        ; implicit-def: $sgpr10
                                        ; implicit-def: $sgpr7
	s_waitcnt lgkmcnt(0)
	v_cmp_gt_i64_e64 s[0:1], s[18:19], v[0:1]
	v_cmp_le_i64_e32 vcc, s[18:19], v[0:1]
	s_and_saveexec_b64 s[8:9], vcc
	s_xor_b64 s[8:9], exec, s[8:9]
	s_cbranch_execz .LBB34_2
; %bb.1:
	s_load_dword s10, s[2:3], 0xc
	s_waitcnt lgkmcnt(0)
	s_and_b32 s7, s10, 0xffff
.LBB34_2:
	s_or_saveexec_b64 s[8:9], s[8:9]
	s_load_dwordx2 s[20:21], s[4:5], 0xd0
	v_mov_b32_e32 v12, s10
	v_mov_b32_e32 v5, s7
	s_xor_b64 exec, exec, s[8:9]
	s_cbranch_execz .LBB34_6
; %bb.3:
	s_load_dword s7, s[2:3], 0xc
	v_mov_b32_e32 v2, 0
	v_mov_b32_e32 v5, v1
	v_lshl_add_u32 v6, v0, 3, 0
	s_mov_b64 s[10:11], 0
	s_waitcnt lgkmcnt(0)
	s_and_b32 s12, s7, 0xffff
	v_mov_b32_e32 v3, v2
	s_lshl_b32 s13, s12, 3
	v_mov_b32_e32 v4, v0
.LBB34_4:                               ; =>This Inner Loop Header: Depth=1
	v_add_co_u32_e32 v4, vcc, s12, v4
	v_addc_co_u32_e32 v5, vcc, 0, v5, vcc
	v_cmp_le_i64_e32 vcc, s[18:19], v[4:5]
	ds_write_b64 v6, v[2:3]
	s_or_b64 s[10:11], vcc, s[10:11]
	v_add_u32_e32 v6, s13, v6
	s_andn2_b64 exec, exec, s[10:11]
	s_cbranch_execnz .LBB34_4
; %bb.5:
	s_or_b64 exec, exec, s[10:11]
	v_mov_b32_e32 v12, s7
	v_mov_b32_e32 v5, s12
.LBB34_6:
	s_or_b64 exec, exec, s[8:9]
	s_load_dwordx8 s[8:15], s[4:5], 0x4e0
	v_mad_u64_u32 v[2:3], s[6:7], s6, v5, v[0:1]
	v_mov_b32_e32 v4, 0
	v_mov_b32_e32 v3, v4
	s_waitcnt lgkmcnt(0)
	v_cmp_gt_i64_e32 vcc, s[14:15], v[2:3]
	s_barrier
	s_and_saveexec_b64 s[6:7], vcc
	s_cbranch_execz .LBB34_23
; %bb.7:
	s_load_dword s26, s[4:5], 0x4d8
	s_load_dwordx2 s[24:25], s[4:5], 0x340
	s_add_u32 s27, s4, 0x340
	s_addc_u32 s29, s5, 0
	s_load_dword s28, s[2:3], 0x0
	s_load_dwordx2 s[22:23], s[4:5], 0x410
	s_waitcnt lgkmcnt(0)
	s_cmp_gt_i32 s26, 1
	s_cselect_b64 s[2:3], -1, 0
	s_sub_u32 s33, s12, s10
	s_subb_u32 s42, s13, s11
	s_mov_b32 s5, 0
	s_add_i32 s4, s26, -1
	s_add_i32 s43, s26, 1
	s_lshl_b64 s[4:5], s[4:5], 3
	v_mul_lo_u32 v13, s28, v5
	s_add_u32 s4, s27, s4
	s_addc_u32 s5, s29, s5
	s_add_u32 s26, s4, 8
	v_cndmask_b32_e64 v5, 0, 1, s[2:3]
	s_addc_u32 s27, s5, 0
	s_mov_b64 s[28:29], 0
	v_cmp_ne_u32_e64 s[2:3], 1, v5
	s_branch .LBB34_9
.LBB34_8:                               ;   in Loop: Header=BB34_9 Depth=1
	s_or_b64 exec, exec, s[30:31]
	v_add_co_u32_e32 v2, vcc, v2, v13
	v_addc_co_u32_e32 v3, vcc, 0, v3, vcc
	v_cmp_le_i64_e32 vcc, s[14:15], v[2:3]
	s_or_b64 s[28:29], vcc, s[28:29]
	s_andn2_b64 exec, exec, s[28:29]
	s_cbranch_execz .LBB34_23
.LBB34_9:                               ; =>This Loop Header: Depth=1
                                        ;     Child Loop BB34_10 Depth 2
                                        ;     Child Loop BB34_22 Depth 2
	v_mov_b32_e32 v6, 0
	v_mov_b32_e32 v9, v3
	;; [unrolled: 1-line block ×4, first 2 shown]
	s_and_b64 vcc, exec, s[2:3]
	s_mov_b64 s[30:31], s[26:27]
	s_mov_b32 s44, s43
	v_mov_b32_e32 v8, v2
	v_mov_b32_e32 v10, v2
	s_cbranch_vccnz .LBB34_16
.LBB34_10:                              ;   Parent Loop BB34_9 Depth=1
                                        ; =>  This Inner Loop Header: Depth=2
	s_load_dwordx2 s[34:35], s[30:31], 0x0
                                        ; implicit-def: $vgpr10_vgpr11
	s_waitcnt lgkmcnt(0)
	v_or_b32_e32 v5, s35, v9
	v_cmp_ne_u64_e32 vcc, 0, v[4:5]
	s_and_saveexec_b64 s[4:5], vcc
	s_xor_b64 s[36:37], exec, s[4:5]
	s_cbranch_execz .LBB34_12
; %bb.11:                               ;   in Loop: Header=BB34_10 Depth=2
	s_ashr_i32 s38, s35, 31
	s_add_u32 s4, s34, s38
	s_mov_b32 s39, s38
	s_addc_u32 s5, s35, s38
	s_xor_b64 s[40:41], s[4:5], s[38:39]
	v_cvt_f32_u32_e32 v5, s40
	v_cvt_f32_u32_e32 v10, s41
	s_sub_u32 s39, 0, s40
	s_subb_u32 s45, 0, s41
	v_mac_f32_e32 v5, 0x4f800000, v10
	v_rcp_f32_e32 v5, v5
	v_mul_f32_e32 v5, 0x5f7ffffc, v5
	v_mul_f32_e32 v10, 0x2f800000, v5
	v_trunc_f32_e32 v10, v10
	v_mac_f32_e32 v5, 0xcf800000, v10
	v_cvt_u32_f32_e32 v10, v10
	v_cvt_u32_f32_e32 v5, v5
	v_readfirstlane_b32 s46, v10
	v_readfirstlane_b32 s4, v5
	s_mul_i32 s5, s39, s46
	s_mul_hi_u32 s48, s39, s4
	s_mul_i32 s47, s45, s4
	s_add_i32 s5, s48, s5
	s_add_i32 s5, s5, s47
	s_mul_i32 s49, s39, s4
	s_mul_i32 s48, s4, s5
	s_mul_hi_u32 s50, s4, s49
	s_mul_hi_u32 s47, s4, s5
	s_add_u32 s48, s50, s48
	s_addc_u32 s47, 0, s47
	s_mul_hi_u32 s51, s46, s49
	s_mul_i32 s49, s46, s49
	s_add_u32 s48, s48, s49
	s_mul_hi_u32 s50, s46, s5
	s_addc_u32 s47, s47, s51
	s_addc_u32 s48, s50, 0
	s_mul_i32 s5, s46, s5
	s_add_u32 s5, s47, s5
	s_addc_u32 s47, 0, s48
	s_add_u32 s48, s4, s5
	s_cselect_b64 s[4:5], -1, 0
	s_cmp_lg_u64 s[4:5], 0
	s_addc_u32 s46, s46, s47
	s_mul_i32 s4, s39, s46
	s_mul_hi_u32 s5, s39, s48
	s_add_i32 s4, s5, s4
	s_mul_i32 s45, s45, s48
	s_add_i32 s4, s4, s45
	s_mul_i32 s39, s39, s48
	s_mul_hi_u32 s45, s46, s39
	s_mul_i32 s47, s46, s39
	s_mul_i32 s50, s48, s4
	s_mul_hi_u32 s39, s48, s39
	s_mul_hi_u32 s49, s48, s4
	s_add_u32 s39, s39, s50
	s_addc_u32 s49, 0, s49
	s_add_u32 s39, s39, s47
	s_mul_hi_u32 s5, s46, s4
	s_addc_u32 s39, s49, s45
	s_addc_u32 s5, s5, 0
	s_mul_i32 s4, s46, s4
	s_add_u32 s4, s39, s4
	s_addc_u32 s39, 0, s5
	s_add_u32 s45, s48, s4
	s_cselect_b64 s[4:5], -1, 0
	v_ashrrev_i32_e32 v5, 31, v9
	s_cmp_lg_u64 s[4:5], 0
	v_add_co_u32_e32 v10, vcc, v8, v5
	s_addc_u32 s39, s46, s39
	v_xor_b32_e32 v16, v10, v5
	v_mad_u64_u32 v[10:11], s[4:5], v16, s39, 0
	v_mul_hi_u32 v15, v16, s45
	v_addc_co_u32_e32 v14, vcc, v9, v5, vcc
	v_xor_b32_e32 v17, v14, v5
	v_add_co_u32_e32 v18, vcc, v15, v10
	v_addc_co_u32_e32 v19, vcc, 0, v11, vcc
	v_mad_u64_u32 v[10:11], s[4:5], v17, s45, 0
	v_mad_u64_u32 v[14:15], s[4:5], v17, s39, 0
	v_add_co_u32_e32 v10, vcc, v18, v10
	v_addc_co_u32_e32 v10, vcc, v19, v11, vcc
	v_addc_co_u32_e32 v11, vcc, 0, v15, vcc
	v_add_co_u32_e32 v14, vcc, v10, v14
	v_addc_co_u32_e32 v15, vcc, 0, v11, vcc
	v_mul_lo_u32 v18, s41, v14
	v_mul_lo_u32 v19, s40, v15
	v_mad_u64_u32 v[10:11], s[4:5], s40, v14, 0
	v_xor_b32_e32 v5, s38, v5
	v_add3_u32 v11, v11, v19, v18
	v_sub_u32_e32 v18, v17, v11
	v_mov_b32_e32 v19, s41
	v_sub_co_u32_e32 v10, vcc, v16, v10
	v_subb_co_u32_e64 v16, s[4:5], v18, v19, vcc
	v_subrev_co_u32_e64 v18, s[4:5], s40, v10
	v_subbrev_co_u32_e64 v16, s[4:5], 0, v16, s[4:5]
	v_cmp_le_u32_e64 s[4:5], s41, v16
	v_cndmask_b32_e64 v19, 0, -1, s[4:5]
	v_cmp_le_u32_e64 s[4:5], s40, v18
	v_cndmask_b32_e64 v18, 0, -1, s[4:5]
	v_cmp_eq_u32_e64 s[4:5], s41, v16
	v_cndmask_b32_e64 v16, v19, v18, s[4:5]
	v_add_co_u32_e64 v18, s[4:5], 2, v14
	v_subb_co_u32_e32 v11, vcc, v17, v11, vcc
	v_addc_co_u32_e64 v19, s[4:5], 0, v15, s[4:5]
	v_cmp_le_u32_e32 vcc, s41, v11
	v_add_co_u32_e64 v20, s[4:5], 1, v14
	v_cndmask_b32_e64 v17, 0, -1, vcc
	v_cmp_le_u32_e32 vcc, s40, v10
	v_addc_co_u32_e64 v21, s[4:5], 0, v15, s[4:5]
	v_cndmask_b32_e64 v10, 0, -1, vcc
	v_cmp_eq_u32_e32 vcc, s41, v11
	v_cmp_ne_u32_e64 s[4:5], 0, v16
	v_cndmask_b32_e32 v10, v17, v10, vcc
	v_cndmask_b32_e64 v16, v21, v19, s[4:5]
	v_cmp_ne_u32_e32 vcc, 0, v10
	v_cndmask_b32_e64 v11, v20, v18, s[4:5]
	v_cndmask_b32_e32 v10, v15, v16, vcc
	v_cndmask_b32_e32 v11, v14, v11, vcc
	v_xor_b32_e32 v14, v10, v5
	v_xor_b32_e32 v10, v11, v5
	v_sub_co_u32_e32 v10, vcc, v10, v5
	v_subb_co_u32_e32 v11, vcc, v14, v5, vcc
.LBB34_12:                              ;   in Loop: Header=BB34_10 Depth=2
	s_andn2_saveexec_b64 s[4:5], s[36:37]
	s_cbranch_execz .LBB34_14
; %bb.13:                               ;   in Loop: Header=BB34_10 Depth=2
	v_cvt_f32_u32_e32 v5, s34
	s_sub_i32 s36, 0, s34
	v_rcp_iflag_f32_e32 v5, v5
	v_mul_f32_e32 v5, 0x4f7ffffe, v5
	v_cvt_u32_f32_e32 v5, v5
	v_mul_lo_u32 v10, s36, v5
	v_mul_hi_u32 v10, v5, v10
	v_add_u32_e32 v5, v5, v10
	v_mul_hi_u32 v5, v8, v5
	v_mul_lo_u32 v10, v5, s34
	v_add_u32_e32 v11, 1, v5
	v_sub_u32_e32 v10, v8, v10
	v_subrev_u32_e32 v14, s34, v10
	v_cmp_le_u32_e32 vcc, s34, v10
	v_cndmask_b32_e32 v10, v10, v14, vcc
	v_cndmask_b32_e32 v5, v5, v11, vcc
	v_add_u32_e32 v11, 1, v5
	v_cmp_le_u32_e32 vcc, s34, v10
	v_cndmask_b32_e32 v10, v5, v11, vcc
	v_mov_b32_e32 v11, v4
.LBB34_14:                              ;   in Loop: Header=BB34_10 Depth=2
	s_or_b64 exec, exec, s[4:5]
	v_mul_lo_u32 v5, v11, s34
	v_mul_lo_u32 v16, v10, s35
	v_mad_u64_u32 v[14:15], s[4:5], v10, s34, 0
	s_load_dwordx2 s[4:5], s[30:31], 0xc8
	s_add_i32 s44, s44, -1
	v_add3_u32 v5, v15, v16, v5
	v_sub_co_u32_e32 v8, vcc, v8, v14
	v_subb_co_u32_e32 v5, vcc, v9, v5, vcc
	s_waitcnt lgkmcnt(0)
	v_mul_lo_u32 v5, s4, v5
	v_mul_lo_u32 v9, s5, v8
	v_mad_u64_u32 v[6:7], s[4:5], s4, v8, v[6:7]
	s_add_u32 s30, s30, -8
	s_addc_u32 s31, s31, -1
	s_cmp_gt_u32 s44, 2
	v_add3_u32 v7, v9, v7, v5
	s_cbranch_scc0 .LBB34_16
; %bb.15:                               ;   in Loop: Header=BB34_10 Depth=2
	v_mov_b32_e32 v8, v10
	v_mov_b32_e32 v9, v11
	s_branch .LBB34_10
.LBB34_16:                              ;   in Loop: Header=BB34_9 Depth=1
	v_mul_lo_u32 v5, s23, v10
	v_mul_lo_u32 v11, s22, v11
	v_mad_u64_u32 v[8:9], s[4:5], s22, v10, 0
	v_add3_u32 v9, v9, v11, v5
	v_lshlrev_b64 v[8:9], 2, v[8:9]
	v_mov_b32_e32 v5, s25
	v_add_co_u32_e32 v8, vcc, s24, v8
	v_addc_co_u32_e32 v9, vcc, v5, v9, vcc
	v_lshlrev_b64 v[5:6], 2, v[6:7]
	v_add_co_u32_e32 v5, vcc, v8, v5
	v_addc_co_u32_e32 v6, vcc, v9, v6, vcc
	global_load_dword v5, v[5:6], off
	s_waitcnt vmcnt(0)
	v_ashrrev_i32_e32 v6, 31, v5
	v_cmp_le_i64_e32 vcc, s[10:11], v[5:6]
	v_cmp_ge_i64_e64 s[4:5], s[12:13], v[5:6]
	s_and_b64 s[4:5], vcc, s[4:5]
	s_and_saveexec_b64 s[30:31], s[4:5]
	s_cbranch_execz .LBB34_8
; %bb.17:                               ;   in Loop: Header=BB34_9 Depth=1
	v_mov_b32_e32 v7, s11
	v_subrev_co_u32_e32 v5, vcc, s10, v5
	v_subb_co_u32_e32 v6, vcc, v6, v7, vcc
	v_mul_lo_u32 v8, v6, s8
	v_mul_lo_u32 v9, v5, s9
	v_mad_u64_u32 v[6:7], s[4:5], v5, s8, 0
	v_add3_u32 v7, v7, v9, v8
	v_or_b32_e32 v5, s42, v7
	v_cmp_ne_u64_e32 vcc, 0, v[4:5]
                                        ; implicit-def: $vgpr8_vgpr9
	s_and_saveexec_b64 s[4:5], vcc
	s_xor_b64 s[34:35], exec, s[4:5]
	s_cbranch_execz .LBB34_19
; %bb.18:                               ;   in Loop: Header=BB34_9 Depth=1
	s_ashr_i32 s36, s42, 31
	s_add_u32 s4, s33, s36
	s_mov_b32 s37, s36
	s_addc_u32 s5, s42, s36
	s_xor_b64 s[38:39], s[4:5], s[36:37]
	v_cvt_f32_u32_e32 v5, s38
	v_cvt_f32_u32_e32 v8, s39
	s_sub_u32 s37, 0, s38
	s_subb_u32 s40, 0, s39
	v_ashrrev_i32_e32 v9, 31, v7
	v_mac_f32_e32 v5, 0x4f800000, v8
	v_rcp_f32_e32 v5, v5
	v_mul_f32_e32 v5, 0x5f7ffffc, v5
	v_mul_f32_e32 v8, 0x2f800000, v5
	v_trunc_f32_e32 v8, v8
	v_mac_f32_e32 v5, 0xcf800000, v8
	v_cvt_u32_f32_e32 v8, v8
	v_cvt_u32_f32_e32 v5, v5
	v_readfirstlane_b32 s41, v8
	v_readfirstlane_b32 s4, v5
	s_mul_i32 s5, s37, s41
	s_mul_hi_u32 s45, s37, s4
	s_mul_i32 s44, s40, s4
	s_add_i32 s5, s45, s5
	s_add_i32 s5, s5, s44
	s_mul_i32 s46, s37, s4
	s_mul_i32 s45, s4, s5
	s_mul_hi_u32 s47, s4, s46
	s_mul_hi_u32 s44, s4, s5
	s_add_u32 s45, s47, s45
	s_addc_u32 s44, 0, s44
	s_mul_hi_u32 s48, s41, s46
	s_mul_i32 s46, s41, s46
	s_add_u32 s45, s45, s46
	s_mul_hi_u32 s47, s41, s5
	s_addc_u32 s44, s44, s48
	s_addc_u32 s45, s47, 0
	s_mul_i32 s5, s41, s5
	s_add_u32 s5, s44, s5
	s_addc_u32 s44, 0, s45
	s_add_u32 s45, s4, s5
	s_cselect_b64 s[4:5], -1, 0
	s_cmp_lg_u64 s[4:5], 0
	s_addc_u32 s41, s41, s44
	s_mul_i32 s4, s37, s41
	s_mul_hi_u32 s5, s37, s45
	s_add_i32 s4, s5, s4
	s_mul_i32 s40, s40, s45
	s_add_i32 s4, s4, s40
	s_mul_i32 s37, s37, s45
	s_mul_hi_u32 s40, s41, s37
	s_mul_i32 s44, s41, s37
	s_mul_i32 s47, s45, s4
	s_mul_hi_u32 s37, s45, s37
	s_mul_hi_u32 s46, s45, s4
	s_add_u32 s37, s37, s47
	s_addc_u32 s46, 0, s46
	s_add_u32 s37, s37, s44
	s_mul_hi_u32 s5, s41, s4
	s_addc_u32 s37, s46, s40
	s_addc_u32 s5, s5, 0
	s_mul_i32 s4, s41, s4
	s_add_u32 s4, s37, s4
	s_addc_u32 s37, 0, s5
	s_add_u32 s40, s45, s4
	s_cselect_b64 s[4:5], -1, 0
	s_cmp_lg_u64 s[4:5], 0
	v_add_co_u32_e32 v5, vcc, v6, v9
	s_addc_u32 s37, s41, s37
	v_xor_b32_e32 v10, v5, v9
	v_mad_u64_u32 v[5:6], s[4:5], v10, s37, 0
	v_mul_hi_u32 v8, v10, s40
	v_addc_co_u32_e32 v7, vcc, v7, v9, vcc
	v_xor_b32_e32 v11, v7, v9
	v_add_co_u32_e32 v14, vcc, v8, v5
	v_addc_co_u32_e32 v15, vcc, 0, v6, vcc
	v_mad_u64_u32 v[5:6], s[4:5], v11, s40, 0
	v_mad_u64_u32 v[7:8], s[4:5], v11, s37, 0
	v_add_co_u32_e32 v5, vcc, v14, v5
	v_addc_co_u32_e32 v5, vcc, v15, v6, vcc
	v_addc_co_u32_e32 v6, vcc, 0, v8, vcc
	v_add_co_u32_e32 v7, vcc, v5, v7
	v_addc_co_u32_e32 v5, vcc, 0, v6, vcc
	v_mul_lo_u32 v8, s39, v7
	v_mul_lo_u32 v14, s38, v5
	v_mad_u64_u32 v[5:6], s[4:5], s38, v7, 0
	v_add3_u32 v6, v6, v14, v8
	v_sub_u32_e32 v8, v11, v6
	v_mov_b32_e32 v14, s39
	v_sub_co_u32_e32 v5, vcc, v10, v5
	v_subb_co_u32_e64 v8, s[4:5], v8, v14, vcc
	v_subrev_co_u32_e64 v10, s[4:5], s38, v5
	v_subbrev_co_u32_e64 v8, s[4:5], 0, v8, s[4:5]
	v_cmp_le_u32_e64 s[4:5], s39, v8
	v_subb_co_u32_e32 v6, vcc, v11, v6, vcc
	v_cndmask_b32_e64 v14, 0, -1, s[4:5]
	v_cmp_le_u32_e64 s[4:5], s38, v10
	v_cmp_le_u32_e32 vcc, s39, v6
	v_cndmask_b32_e64 v10, 0, -1, s[4:5]
	v_cmp_eq_u32_e64 s[4:5], s39, v8
	v_cndmask_b32_e64 v11, 0, -1, vcc
	v_cmp_le_u32_e32 vcc, s38, v5
	v_cndmask_b32_e64 v8, v14, v10, s[4:5]
	v_cndmask_b32_e64 v5, 0, -1, vcc
	v_cmp_eq_u32_e32 vcc, s39, v6
	v_add_co_u32_e64 v10, s[4:5], 2, v7
	v_add_co_u32_e64 v14, s[4:5], 1, v7
	v_cndmask_b32_e32 v5, v11, v5, vcc
	v_cmp_ne_u32_e32 vcc, 0, v8
	v_cndmask_b32_e32 v6, v14, v10, vcc
	v_cmp_ne_u32_e32 vcc, 0, v5
	v_cndmask_b32_e32 v5, v7, v6, vcc
	v_xor_b32_e32 v6, s36, v9
	v_xor_b32_e32 v5, v5, v6
	v_sub_co_u32_e32 v8, vcc, v5, v6
                                        ; implicit-def: $vgpr6_vgpr7
.LBB34_19:                              ;   in Loop: Header=BB34_9 Depth=1
	s_andn2_saveexec_b64 s[4:5], s[34:35]
	s_cbranch_execz .LBB34_21
; %bb.20:                               ;   in Loop: Header=BB34_9 Depth=1
	v_cvt_f32_u32_e32 v5, s33
	s_sub_i32 s34, 0, s33
	v_rcp_iflag_f32_e32 v5, v5
	v_mul_f32_e32 v5, 0x4f7ffffe, v5
	v_cvt_u32_f32_e32 v5, v5
	v_mul_lo_u32 v7, s34, v5
	v_mul_hi_u32 v7, v5, v7
	v_add_u32_e32 v5, v5, v7
	v_mul_hi_u32 v5, v6, v5
	v_mul_lo_u32 v7, v5, s33
	v_add_u32_e32 v8, 1, v5
	v_sub_u32_e32 v6, v6, v7
	v_subrev_u32_e32 v7, s33, v6
	v_cmp_le_u32_e32 vcc, s33, v6
	v_cndmask_b32_e32 v6, v6, v7, vcc
	v_cndmask_b32_e32 v5, v5, v8, vcc
	v_add_u32_e32 v7, 1, v5
	v_cmp_le_u32_e32 vcc, s33, v6
	v_cndmask_b32_e32 v8, v5, v7, vcc
.LBB34_21:                              ;   in Loop: Header=BB34_9 Depth=1
	s_or_b64 exec, exec, s[4:5]
	v_ashrrev_i32_e32 v9, 31, v8
	v_cmp_eq_u64_e32 vcc, s[8:9], v[8:9]
	s_mov_b64 s[4:5], 0
	v_subbrev_co_u32_e32 v5, vcc, 0, v8, vcc
	v_lshl_add_u32 v7, v5, 3, 0
	ds_read_b64 v[5:6], v7
.LBB34_22:                              ;   Parent Loop BB34_9 Depth=1
                                        ; =>  This Inner Loop Header: Depth=2
	s_waitcnt lgkmcnt(0)
	v_add_f64 v[8:9], v[5:6], 1.0
	ds_cmpst_rtn_b64 v[8:9], v7, v[5:6], v[8:9]
	s_waitcnt lgkmcnt(0)
	v_cmp_eq_u64_e32 vcc, v[8:9], v[5:6]
	v_mov_b32_e32 v5, v8
	s_or_b64 s[4:5], vcc, s[4:5]
	v_mov_b32_e32 v6, v9
	s_andn2_b64 exec, exec, s[4:5]
	s_cbranch_execnz .LBB34_22
	s_branch .LBB34_8
.LBB34_23:
	s_or_b64 exec, exec, s[6:7]
; %bb.24:
	s_barrier
	s_and_saveexec_b64 s[2:3], s[0:1]
	s_cbranch_execz .LBB34_29
; %bb.25:
	v_and_b32_e32 v10, 0xffff, v12
	s_mov_b64 s[0:1], 0
	v_mov_b32_e32 v11, s17
.LBB34_26:                              ; =>This Loop Header: Depth=1
                                        ;     Child Loop BB34_27 Depth 2
	v_mul_lo_u32 v4, v1, s20
	v_mul_lo_u32 v5, v0, s21
	v_mad_u64_u32 v[2:3], s[2:3], v0, s20, 0
	s_mov_b64 s[2:3], 0
	v_add3_u32 v3, v3, v5, v4
	v_lshlrev_b64 v[2:3], 3, v[2:3]
	v_add_co_u32_e32 v6, vcc, s16, v2
	v_addc_co_u32_e32 v7, vcc, v11, v3, vcc
	global_load_dwordx2 v[4:5], v[6:7], off
	v_lshl_add_u32 v2, v0, 3, 0
	ds_read_b64 v[8:9], v2
.LBB34_27:                              ;   Parent Loop BB34_26 Depth=1
                                        ; =>  This Inner Loop Header: Depth=2
	s_waitcnt vmcnt(0) lgkmcnt(0)
	v_add_f64 v[2:3], v[4:5], v[8:9]
	global_atomic_cmpswap_x2 v[2:3], v[6:7], v[2:5], off glc
	s_waitcnt vmcnt(0)
	v_cmp_eq_u64_e32 vcc, v[2:3], v[4:5]
	v_mov_b32_e32 v5, v3
	s_or_b64 s[2:3], vcc, s[2:3]
	v_mov_b32_e32 v4, v2
	s_andn2_b64 exec, exec, s[2:3]
	s_cbranch_execnz .LBB34_27
; %bb.28:                               ;   in Loop: Header=BB34_26 Depth=1
	s_or_b64 exec, exec, s[2:3]
	v_add_co_u32_e32 v0, vcc, v0, v10
	v_addc_co_u32_e32 v1, vcc, 0, v1, vcc
	v_cmp_le_i64_e32 vcc, s[18:19], v[0:1]
	s_or_b64 s[0:1], vcc, s[0:1]
	s_andn2_b64 exec, exec, s[0:1]
	s_cbranch_execnz .LBB34_26
.LBB34_29:
	s_endpgm
	.section	.rodata,"a",@progbits
	.p2align	6, 0x0
	.amdhsa_kernel _ZN2at4cuda17kernelHistogram1DIdilLi1ELi2ELin1ELNS0_23CUDAHistogramMemoryTypeE0EZNS0_21CUDA_tensor_histogramIdiLb1EEEbNS_6TensorES4_S4_lNS_14AccumulateTypeIT0_Lb1EE4typeES8_NS0_13TensorArgTypeES9_S9_EUllE0_EEvNS0_6detail10TensorInfoIT_T1_EESF_NSC_IKS6_SE_EElS8_S8_SE_T6_
		.amdhsa_group_segment_fixed_size 0
		.amdhsa_private_segment_fixed_size 0
		.amdhsa_kernarg_size 1544
		.amdhsa_user_sgpr_count 6
		.amdhsa_user_sgpr_private_segment_buffer 1
		.amdhsa_user_sgpr_dispatch_ptr 0
		.amdhsa_user_sgpr_queue_ptr 0
		.amdhsa_user_sgpr_kernarg_segment_ptr 1
		.amdhsa_user_sgpr_dispatch_id 0
		.amdhsa_user_sgpr_flat_scratch_init 0
		.amdhsa_user_sgpr_private_segment_size 0
		.amdhsa_uses_dynamic_stack 0
		.amdhsa_system_sgpr_private_segment_wavefront_offset 0
		.amdhsa_system_sgpr_workgroup_id_x 1
		.amdhsa_system_sgpr_workgroup_id_y 0
		.amdhsa_system_sgpr_workgroup_id_z 0
		.amdhsa_system_sgpr_workgroup_info 0
		.amdhsa_system_vgpr_workitem_id 0
		.amdhsa_next_free_vgpr 22
		.amdhsa_next_free_sgpr 52
		.amdhsa_reserve_vcc 1
		.amdhsa_reserve_flat_scratch 0
		.amdhsa_float_round_mode_32 0
		.amdhsa_float_round_mode_16_64 0
		.amdhsa_float_denorm_mode_32 3
		.amdhsa_float_denorm_mode_16_64 3
		.amdhsa_dx10_clamp 1
		.amdhsa_ieee_mode 1
		.amdhsa_fp16_overflow 0
		.amdhsa_exception_fp_ieee_invalid_op 0
		.amdhsa_exception_fp_denorm_src 0
		.amdhsa_exception_fp_ieee_div_zero 0
		.amdhsa_exception_fp_ieee_overflow 0
		.amdhsa_exception_fp_ieee_underflow 0
		.amdhsa_exception_fp_ieee_inexact 0
		.amdhsa_exception_int_div_zero 0
	.end_amdhsa_kernel
	.section	.text._ZN2at4cuda17kernelHistogram1DIdilLi1ELi2ELin1ELNS0_23CUDAHistogramMemoryTypeE0EZNS0_21CUDA_tensor_histogramIdiLb1EEEbNS_6TensorES4_S4_lNS_14AccumulateTypeIT0_Lb1EE4typeES8_NS0_13TensorArgTypeES9_S9_EUllE0_EEvNS0_6detail10TensorInfoIT_T1_EESF_NSC_IKS6_SE_EElS8_S8_SE_T6_,"axG",@progbits,_ZN2at4cuda17kernelHistogram1DIdilLi1ELi2ELin1ELNS0_23CUDAHistogramMemoryTypeE0EZNS0_21CUDA_tensor_histogramIdiLb1EEEbNS_6TensorES4_S4_lNS_14AccumulateTypeIT0_Lb1EE4typeES8_NS0_13TensorArgTypeES9_S9_EUllE0_EEvNS0_6detail10TensorInfoIT_T1_EESF_NSC_IKS6_SE_EElS8_S8_SE_T6_,comdat
.Lfunc_end34:
	.size	_ZN2at4cuda17kernelHistogram1DIdilLi1ELi2ELin1ELNS0_23CUDAHistogramMemoryTypeE0EZNS0_21CUDA_tensor_histogramIdiLb1EEEbNS_6TensorES4_S4_lNS_14AccumulateTypeIT0_Lb1EE4typeES8_NS0_13TensorArgTypeES9_S9_EUllE0_EEvNS0_6detail10TensorInfoIT_T1_EESF_NSC_IKS6_SE_EElS8_S8_SE_T6_, .Lfunc_end34-_ZN2at4cuda17kernelHistogram1DIdilLi1ELi2ELin1ELNS0_23CUDAHistogramMemoryTypeE0EZNS0_21CUDA_tensor_histogramIdiLb1EEEbNS_6TensorES4_S4_lNS_14AccumulateTypeIT0_Lb1EE4typeES8_NS0_13TensorArgTypeES9_S9_EUllE0_EEvNS0_6detail10TensorInfoIT_T1_EESF_NSC_IKS6_SE_EElS8_S8_SE_T6_
                                        ; -- End function
	.set _ZN2at4cuda17kernelHistogram1DIdilLi1ELi2ELin1ELNS0_23CUDAHistogramMemoryTypeE0EZNS0_21CUDA_tensor_histogramIdiLb1EEEbNS_6TensorES4_S4_lNS_14AccumulateTypeIT0_Lb1EE4typeES8_NS0_13TensorArgTypeES9_S9_EUllE0_EEvNS0_6detail10TensorInfoIT_T1_EESF_NSC_IKS6_SE_EElS8_S8_SE_T6_.num_vgpr, 22
	.set _ZN2at4cuda17kernelHistogram1DIdilLi1ELi2ELin1ELNS0_23CUDAHistogramMemoryTypeE0EZNS0_21CUDA_tensor_histogramIdiLb1EEEbNS_6TensorES4_S4_lNS_14AccumulateTypeIT0_Lb1EE4typeES8_NS0_13TensorArgTypeES9_S9_EUllE0_EEvNS0_6detail10TensorInfoIT_T1_EESF_NSC_IKS6_SE_EElS8_S8_SE_T6_.num_agpr, 0
	.set _ZN2at4cuda17kernelHistogram1DIdilLi1ELi2ELin1ELNS0_23CUDAHistogramMemoryTypeE0EZNS0_21CUDA_tensor_histogramIdiLb1EEEbNS_6TensorES4_S4_lNS_14AccumulateTypeIT0_Lb1EE4typeES8_NS0_13TensorArgTypeES9_S9_EUllE0_EEvNS0_6detail10TensorInfoIT_T1_EESF_NSC_IKS6_SE_EElS8_S8_SE_T6_.numbered_sgpr, 52
	.set _ZN2at4cuda17kernelHistogram1DIdilLi1ELi2ELin1ELNS0_23CUDAHistogramMemoryTypeE0EZNS0_21CUDA_tensor_histogramIdiLb1EEEbNS_6TensorES4_S4_lNS_14AccumulateTypeIT0_Lb1EE4typeES8_NS0_13TensorArgTypeES9_S9_EUllE0_EEvNS0_6detail10TensorInfoIT_T1_EESF_NSC_IKS6_SE_EElS8_S8_SE_T6_.num_named_barrier, 0
	.set _ZN2at4cuda17kernelHistogram1DIdilLi1ELi2ELin1ELNS0_23CUDAHistogramMemoryTypeE0EZNS0_21CUDA_tensor_histogramIdiLb1EEEbNS_6TensorES4_S4_lNS_14AccumulateTypeIT0_Lb1EE4typeES8_NS0_13TensorArgTypeES9_S9_EUllE0_EEvNS0_6detail10TensorInfoIT_T1_EESF_NSC_IKS6_SE_EElS8_S8_SE_T6_.private_seg_size, 0
	.set _ZN2at4cuda17kernelHistogram1DIdilLi1ELi2ELin1ELNS0_23CUDAHistogramMemoryTypeE0EZNS0_21CUDA_tensor_histogramIdiLb1EEEbNS_6TensorES4_S4_lNS_14AccumulateTypeIT0_Lb1EE4typeES8_NS0_13TensorArgTypeES9_S9_EUllE0_EEvNS0_6detail10TensorInfoIT_T1_EESF_NSC_IKS6_SE_EElS8_S8_SE_T6_.uses_vcc, 1
	.set _ZN2at4cuda17kernelHistogram1DIdilLi1ELi2ELin1ELNS0_23CUDAHistogramMemoryTypeE0EZNS0_21CUDA_tensor_histogramIdiLb1EEEbNS_6TensorES4_S4_lNS_14AccumulateTypeIT0_Lb1EE4typeES8_NS0_13TensorArgTypeES9_S9_EUllE0_EEvNS0_6detail10TensorInfoIT_T1_EESF_NSC_IKS6_SE_EElS8_S8_SE_T6_.uses_flat_scratch, 0
	.set _ZN2at4cuda17kernelHistogram1DIdilLi1ELi2ELin1ELNS0_23CUDAHistogramMemoryTypeE0EZNS0_21CUDA_tensor_histogramIdiLb1EEEbNS_6TensorES4_S4_lNS_14AccumulateTypeIT0_Lb1EE4typeES8_NS0_13TensorArgTypeES9_S9_EUllE0_EEvNS0_6detail10TensorInfoIT_T1_EESF_NSC_IKS6_SE_EElS8_S8_SE_T6_.has_dyn_sized_stack, 0
	.set _ZN2at4cuda17kernelHistogram1DIdilLi1ELi2ELin1ELNS0_23CUDAHistogramMemoryTypeE0EZNS0_21CUDA_tensor_histogramIdiLb1EEEbNS_6TensorES4_S4_lNS_14AccumulateTypeIT0_Lb1EE4typeES8_NS0_13TensorArgTypeES9_S9_EUllE0_EEvNS0_6detail10TensorInfoIT_T1_EESF_NSC_IKS6_SE_EElS8_S8_SE_T6_.has_recursion, 0
	.set _ZN2at4cuda17kernelHistogram1DIdilLi1ELi2ELin1ELNS0_23CUDAHistogramMemoryTypeE0EZNS0_21CUDA_tensor_histogramIdiLb1EEEbNS_6TensorES4_S4_lNS_14AccumulateTypeIT0_Lb1EE4typeES8_NS0_13TensorArgTypeES9_S9_EUllE0_EEvNS0_6detail10TensorInfoIT_T1_EESF_NSC_IKS6_SE_EElS8_S8_SE_T6_.has_indirect_call, 0
	.section	.AMDGPU.csdata,"",@progbits
; Kernel info:
; codeLenInByte = 2420
; TotalNumSgprs: 56
; NumVgprs: 22
; ScratchSize: 0
; MemoryBound: 0
; FloatMode: 240
; IeeeMode: 1
; LDSByteSize: 0 bytes/workgroup (compile time only)
; SGPRBlocks: 6
; VGPRBlocks: 5
; NumSGPRsForWavesPerEU: 56
; NumVGPRsForWavesPerEU: 22
; Occupancy: 10
; WaveLimiterHint : 1
; COMPUTE_PGM_RSRC2:SCRATCH_EN: 0
; COMPUTE_PGM_RSRC2:USER_SGPR: 6
; COMPUTE_PGM_RSRC2:TRAP_HANDLER: 0
; COMPUTE_PGM_RSRC2:TGID_X_EN: 1
; COMPUTE_PGM_RSRC2:TGID_Y_EN: 0
; COMPUTE_PGM_RSRC2:TGID_Z_EN: 0
; COMPUTE_PGM_RSRC2:TIDIG_COMP_CNT: 0
	.section	.text._ZN2at4cuda17kernelHistogram1DIdilLi1ELi2ELin1ELNS0_23CUDAHistogramMemoryTypeE1EZNS0_21CUDA_tensor_histogramIdiLb1EEEbNS_6TensorES4_S4_lNS_14AccumulateTypeIT0_Lb1EE4typeES8_NS0_13TensorArgTypeES9_S9_EUllE0_EEvNS0_6detail10TensorInfoIT_T1_EESF_NSC_IKS6_SE_EElS8_S8_SE_T6_,"axG",@progbits,_ZN2at4cuda17kernelHistogram1DIdilLi1ELi2ELin1ELNS0_23CUDAHistogramMemoryTypeE1EZNS0_21CUDA_tensor_histogramIdiLb1EEEbNS_6TensorES4_S4_lNS_14AccumulateTypeIT0_Lb1EE4typeES8_NS0_13TensorArgTypeES9_S9_EUllE0_EEvNS0_6detail10TensorInfoIT_T1_EESF_NSC_IKS6_SE_EElS8_S8_SE_T6_,comdat
	.protected	_ZN2at4cuda17kernelHistogram1DIdilLi1ELi2ELin1ELNS0_23CUDAHistogramMemoryTypeE1EZNS0_21CUDA_tensor_histogramIdiLb1EEEbNS_6TensorES4_S4_lNS_14AccumulateTypeIT0_Lb1EE4typeES8_NS0_13TensorArgTypeES9_S9_EUllE0_EEvNS0_6detail10TensorInfoIT_T1_EESF_NSC_IKS6_SE_EElS8_S8_SE_T6_ ; -- Begin function _ZN2at4cuda17kernelHistogram1DIdilLi1ELi2ELin1ELNS0_23CUDAHistogramMemoryTypeE1EZNS0_21CUDA_tensor_histogramIdiLb1EEEbNS_6TensorES4_S4_lNS_14AccumulateTypeIT0_Lb1EE4typeES8_NS0_13TensorArgTypeES9_S9_EUllE0_EEvNS0_6detail10TensorInfoIT_T1_EESF_NSC_IKS6_SE_EElS8_S8_SE_T6_
	.globl	_ZN2at4cuda17kernelHistogram1DIdilLi1ELi2ELin1ELNS0_23CUDAHistogramMemoryTypeE1EZNS0_21CUDA_tensor_histogramIdiLb1EEEbNS_6TensorES4_S4_lNS_14AccumulateTypeIT0_Lb1EE4typeES8_NS0_13TensorArgTypeES9_S9_EUllE0_EEvNS0_6detail10TensorInfoIT_T1_EESF_NSC_IKS6_SE_EElS8_S8_SE_T6_
	.p2align	8
	.type	_ZN2at4cuda17kernelHistogram1DIdilLi1ELi2ELin1ELNS0_23CUDAHistogramMemoryTypeE1EZNS0_21CUDA_tensor_histogramIdiLb1EEEbNS_6TensorES4_S4_lNS_14AccumulateTypeIT0_Lb1EE4typeES8_NS0_13TensorArgTypeES9_S9_EUllE0_EEvNS0_6detail10TensorInfoIT_T1_EESF_NSC_IKS6_SE_EElS8_S8_SE_T6_,@function
_ZN2at4cuda17kernelHistogram1DIdilLi1ELi2ELin1ELNS0_23CUDAHistogramMemoryTypeE1EZNS0_21CUDA_tensor_histogramIdiLb1EEEbNS_6TensorES4_S4_lNS_14AccumulateTypeIT0_Lb1EE4typeES8_NS0_13TensorArgTypeES9_S9_EUllE0_EEvNS0_6detail10TensorInfoIT_T1_EESF_NSC_IKS6_SE_EElS8_S8_SE_T6_: ; @_ZN2at4cuda17kernelHistogram1DIdilLi1ELi2ELin1ELNS0_23CUDAHistogramMemoryTypeE1EZNS0_21CUDA_tensor_histogramIdiLb1EEEbNS_6TensorES4_S4_lNS_14AccumulateTypeIT0_Lb1EE4typeES8_NS0_13TensorArgTypeES9_S9_EUllE0_EEvNS0_6detail10TensorInfoIT_T1_EESF_NSC_IKS6_SE_EElS8_S8_SE_T6_
; %bb.0:
	s_load_dword s2, s[4:5], 0x514
	s_load_dwordx8 s[8:15], s[4:5], 0x4e0
	s_add_u32 s0, s4, 0x508
	s_addc_u32 s1, s5, 0
	v_mov_b32_e32 v6, 0
	s_waitcnt lgkmcnt(0)
	s_and_b32 s2, s2, 0xffff
	s_mul_i32 s6, s6, s2
	v_add_u32_e32 v4, s6, v0
	v_mov_b32_e32 v5, v6
	v_cmp_gt_i64_e32 vcc, s[14:15], v[4:5]
	s_and_saveexec_b64 s[6:7], vcc
	s_cbranch_execz .LBB35_17
; %bb.1:
	s_load_dword s22, s[4:5], 0x4d8
	s_load_dword s3, s[0:1], 0x0
	s_add_u32 s23, s4, 0x340
	s_addc_u32 s24, s5, 0
	s_load_dwordx2 s[6:7], s[4:5], 0x0
	s_load_dwordx2 s[16:17], s[4:5], 0xd0
	;; [unrolled: 1-line block ×4, first 2 shown]
	s_waitcnt lgkmcnt(0)
	s_cmp_gt_i32 s22, 1
	s_cselect_b64 s[0:1], -1, 0
	s_sub_u32 s33, s12, s10
	s_subb_u32 s36, s13, s11
	s_mul_i32 s37, s3, s2
	s_mov_b32 s3, 0
	s_add_i32 s2, s22, -1
	s_add_i32 s38, s22, 1
	s_lshl_b64 s[2:3], s[2:3], 3
	s_add_u32 s2, s23, s2
	s_addc_u32 s3, s24, s3
	s_add_u32 s4, s2, 8
	v_cndmask_b32_e64 v0, 0, 1, s[0:1]
	s_addc_u32 s5, s3, 0
	s_mov_b64 s[22:23], 0
	v_cmp_ne_u32_e64 s[0:1], 1, v0
	s_branch .LBB35_3
.LBB35_2:                               ;   in Loop: Header=BB35_3 Depth=1
	s_or_b64 exec, exec, s[24:25]
	v_add_co_u32_e32 v4, vcc, s37, v4
	v_addc_co_u32_e32 v5, vcc, 0, v5, vcc
	v_cmp_le_i64_e32 vcc, s[14:15], v[4:5]
	s_or_b64 s[22:23], vcc, s[22:23]
	s_andn2_b64 exec, exec, s[22:23]
	s_cbranch_execz .LBB35_17
.LBB35_3:                               ; =>This Loop Header: Depth=1
                                        ;     Child Loop BB35_4 Depth 2
                                        ;     Child Loop BB35_16 Depth 2
	v_mov_b32_e32 v0, 0
	v_mov_b32_e32 v2, v4
	v_mov_b32_e32 v8, v5
	v_mov_b32_e32 v1, 0
	s_and_b64 vcc, exec, s[0:1]
	s_mov_b64 s[24:25], s[4:5]
	s_mov_b32 s39, s38
	v_mov_b32_e32 v3, v5
	v_mov_b32_e32 v7, v4
	s_cbranch_vccnz .LBB35_10
.LBB35_4:                               ;   Parent Loop BB35_3 Depth=1
                                        ; =>  This Inner Loop Header: Depth=2
	s_load_dwordx2 s[26:27], s[24:25], 0x0
	s_waitcnt lgkmcnt(0)
	v_or_b32_e32 v7, s27, v3
	v_cmp_ne_u64_e32 vcc, 0, v[6:7]
                                        ; implicit-def: $vgpr7_vgpr8
	s_and_saveexec_b64 s[2:3], vcc
	s_xor_b64 s[28:29], exec, s[2:3]
	s_cbranch_execz .LBB35_6
; %bb.5:                                ;   in Loop: Header=BB35_4 Depth=2
	s_ashr_i32 s30, s27, 31
	s_add_u32 s2, s26, s30
	s_mov_b32 s31, s30
	s_addc_u32 s3, s27, s30
	s_xor_b64 s[34:35], s[2:3], s[30:31]
	v_cvt_f32_u32_e32 v7, s34
	v_cvt_f32_u32_e32 v8, s35
	s_sub_u32 s31, 0, s34
	s_subb_u32 s40, 0, s35
	v_ashrrev_i32_e32 v11, 31, v3
	v_mac_f32_e32 v7, 0x4f800000, v8
	v_rcp_f32_e32 v7, v7
	v_mul_f32_e32 v7, 0x5f7ffffc, v7
	v_mul_f32_e32 v8, 0x2f800000, v7
	v_trunc_f32_e32 v8, v8
	v_mac_f32_e32 v7, 0xcf800000, v8
	v_cvt_u32_f32_e32 v8, v8
	v_cvt_u32_f32_e32 v7, v7
	v_readfirstlane_b32 s41, v8
	v_readfirstlane_b32 s2, v7
	s_mul_i32 s3, s31, s41
	s_mul_hi_u32 s43, s31, s2
	s_mul_i32 s42, s40, s2
	s_add_i32 s3, s43, s3
	s_add_i32 s3, s3, s42
	s_mul_i32 s44, s31, s2
	s_mul_i32 s43, s2, s3
	s_mul_hi_u32 s45, s2, s44
	s_mul_hi_u32 s42, s2, s3
	s_add_u32 s43, s45, s43
	s_addc_u32 s42, 0, s42
	s_mul_hi_u32 s46, s41, s44
	s_mul_i32 s44, s41, s44
	s_add_u32 s43, s43, s44
	s_mul_hi_u32 s45, s41, s3
	s_addc_u32 s42, s42, s46
	s_addc_u32 s43, s45, 0
	s_mul_i32 s3, s41, s3
	s_add_u32 s3, s42, s3
	s_addc_u32 s42, 0, s43
	s_add_u32 s43, s2, s3
	s_cselect_b64 s[2:3], -1, 0
	s_cmp_lg_u64 s[2:3], 0
	s_addc_u32 s41, s41, s42
	s_mul_i32 s2, s31, s41
	s_mul_hi_u32 s3, s31, s43
	s_add_i32 s2, s3, s2
	s_mul_i32 s40, s40, s43
	s_add_i32 s2, s2, s40
	s_mul_i32 s31, s31, s43
	s_mul_hi_u32 s40, s41, s31
	s_mul_i32 s42, s41, s31
	s_mul_i32 s45, s43, s2
	s_mul_hi_u32 s31, s43, s31
	s_mul_hi_u32 s44, s43, s2
	s_add_u32 s31, s31, s45
	s_addc_u32 s44, 0, s44
	s_add_u32 s31, s31, s42
	s_mul_hi_u32 s3, s41, s2
	s_addc_u32 s31, s44, s40
	s_addc_u32 s3, s3, 0
	s_mul_i32 s2, s41, s2
	s_add_u32 s2, s31, s2
	s_addc_u32 s31, 0, s3
	s_add_u32 s40, s43, s2
	s_cselect_b64 s[2:3], -1, 0
	s_cmp_lg_u64 s[2:3], 0
	v_add_co_u32_e32 v7, vcc, v2, v11
	s_addc_u32 s31, s41, s31
	v_xor_b32_e32 v12, v7, v11
	v_mad_u64_u32 v[7:8], s[2:3], v12, s31, 0
	v_mul_hi_u32 v10, v12, s40
	v_addc_co_u32_e32 v9, vcc, v3, v11, vcc
	v_xor_b32_e32 v13, v9, v11
	v_add_co_u32_e32 v14, vcc, v10, v7
	v_addc_co_u32_e32 v15, vcc, 0, v8, vcc
	v_mad_u64_u32 v[7:8], s[2:3], v13, s40, 0
	v_mad_u64_u32 v[9:10], s[2:3], v13, s31, 0
	v_add_co_u32_e32 v7, vcc, v14, v7
	v_addc_co_u32_e32 v7, vcc, v15, v8, vcc
	v_addc_co_u32_e32 v8, vcc, 0, v10, vcc
	v_add_co_u32_e32 v9, vcc, v7, v9
	v_addc_co_u32_e32 v10, vcc, 0, v8, vcc
	v_mul_lo_u32 v14, s35, v9
	v_mul_lo_u32 v15, s34, v10
	v_mad_u64_u32 v[7:8], s[2:3], s34, v9, 0
	v_add3_u32 v8, v8, v15, v14
	v_sub_u32_e32 v14, v13, v8
	v_mov_b32_e32 v15, s35
	v_sub_co_u32_e32 v7, vcc, v12, v7
	v_subb_co_u32_e64 v12, s[2:3], v14, v15, vcc
	v_subrev_co_u32_e64 v14, s[2:3], s34, v7
	v_subbrev_co_u32_e64 v12, s[2:3], 0, v12, s[2:3]
	v_cmp_le_u32_e64 s[2:3], s35, v12
	v_cndmask_b32_e64 v15, 0, -1, s[2:3]
	v_cmp_le_u32_e64 s[2:3], s34, v14
	v_cndmask_b32_e64 v14, 0, -1, s[2:3]
	v_cmp_eq_u32_e64 s[2:3], s35, v12
	v_cndmask_b32_e64 v12, v15, v14, s[2:3]
	v_add_co_u32_e64 v14, s[2:3], 2, v9
	v_subb_co_u32_e32 v8, vcc, v13, v8, vcc
	v_addc_co_u32_e64 v15, s[2:3], 0, v10, s[2:3]
	v_cmp_le_u32_e32 vcc, s35, v8
	v_add_co_u32_e64 v16, s[2:3], 1, v9
	v_cndmask_b32_e64 v13, 0, -1, vcc
	v_cmp_le_u32_e32 vcc, s34, v7
	v_addc_co_u32_e64 v17, s[2:3], 0, v10, s[2:3]
	v_cndmask_b32_e64 v7, 0, -1, vcc
	v_cmp_eq_u32_e32 vcc, s35, v8
	v_cmp_ne_u32_e64 s[2:3], 0, v12
	v_cndmask_b32_e32 v7, v13, v7, vcc
	v_cndmask_b32_e64 v12, v17, v15, s[2:3]
	v_cmp_ne_u32_e32 vcc, 0, v7
	v_cndmask_b32_e64 v8, v16, v14, s[2:3]
	v_cndmask_b32_e32 v7, v10, v12, vcc
	v_cndmask_b32_e32 v8, v9, v8, vcc
	v_xor_b32_e32 v9, s30, v11
	v_xor_b32_e32 v10, v7, v9
	;; [unrolled: 1-line block ×3, first 2 shown]
	v_sub_co_u32_e32 v7, vcc, v7, v9
	v_subb_co_u32_e32 v8, vcc, v10, v9, vcc
.LBB35_6:                               ;   in Loop: Header=BB35_4 Depth=2
	s_andn2_saveexec_b64 s[2:3], s[28:29]
	s_cbranch_execz .LBB35_8
; %bb.7:                                ;   in Loop: Header=BB35_4 Depth=2
	v_cvt_f32_u32_e32 v7, s26
	s_sub_i32 s28, 0, s26
	v_rcp_iflag_f32_e32 v7, v7
	v_mul_f32_e32 v7, 0x4f7ffffe, v7
	v_cvt_u32_f32_e32 v7, v7
	v_mul_lo_u32 v8, s28, v7
	v_mul_hi_u32 v8, v7, v8
	v_add_u32_e32 v7, v7, v8
	v_mul_hi_u32 v7, v2, v7
	v_mul_lo_u32 v8, v7, s26
	v_add_u32_e32 v9, 1, v7
	v_sub_u32_e32 v8, v2, v8
	v_subrev_u32_e32 v10, s26, v8
	v_cmp_le_u32_e32 vcc, s26, v8
	v_cndmask_b32_e32 v8, v8, v10, vcc
	v_cndmask_b32_e32 v7, v7, v9, vcc
	v_add_u32_e32 v9, 1, v7
	v_cmp_le_u32_e32 vcc, s26, v8
	v_cndmask_b32_e32 v7, v7, v9, vcc
	v_mov_b32_e32 v8, v6
.LBB35_8:                               ;   in Loop: Header=BB35_4 Depth=2
	s_or_b64 exec, exec, s[2:3]
	v_mul_lo_u32 v11, v8, s26
	v_mul_lo_u32 v12, v7, s27
	v_mad_u64_u32 v[9:10], s[2:3], v7, s26, 0
	s_load_dwordx2 s[2:3], s[24:25], 0xc8
	s_add_i32 s39, s39, -1
	v_add3_u32 v10, v10, v12, v11
	v_sub_co_u32_e32 v2, vcc, v2, v9
	v_subb_co_u32_e32 v3, vcc, v3, v10, vcc
	s_waitcnt lgkmcnt(0)
	v_mul_lo_u32 v3, s2, v3
	v_mul_lo_u32 v9, s3, v2
	v_mad_u64_u32 v[0:1], s[2:3], s2, v2, v[0:1]
	s_add_u32 s24, s24, -8
	s_addc_u32 s25, s25, -1
	s_cmp_gt_u32 s39, 2
	v_add3_u32 v1, v9, v1, v3
	s_cbranch_scc0 .LBB35_10
; %bb.9:                                ;   in Loop: Header=BB35_4 Depth=2
	v_mov_b32_e32 v2, v7
	v_mov_b32_e32 v3, v8
	s_branch .LBB35_4
.LBB35_10:                              ;   in Loop: Header=BB35_3 Depth=1
	v_mul_lo_u32 v9, s19, v7
	v_mul_lo_u32 v8, s18, v8
	v_mad_u64_u32 v[2:3], s[2:3], s18, v7, 0
	v_mov_b32_e32 v7, s21
	v_lshlrev_b64 v[0:1], 2, v[0:1]
	v_add3_u32 v3, v3, v8, v9
	v_lshlrev_b64 v[2:3], 2, v[2:3]
	v_add_co_u32_e32 v2, vcc, s20, v2
	v_addc_co_u32_e32 v3, vcc, v7, v3, vcc
	v_add_co_u32_e32 v0, vcc, v2, v0
	v_addc_co_u32_e32 v1, vcc, v3, v1, vcc
	global_load_dword v0, v[0:1], off
	s_waitcnt vmcnt(0)
	v_ashrrev_i32_e32 v1, 31, v0
	v_cmp_le_i64_e32 vcc, s[10:11], v[0:1]
	v_cmp_ge_i64_e64 s[2:3], s[12:13], v[0:1]
	s_and_b64 s[2:3], vcc, s[2:3]
	s_and_saveexec_b64 s[24:25], s[2:3]
	s_cbranch_execz .LBB35_2
; %bb.11:                               ;   in Loop: Header=BB35_3 Depth=1
	v_mov_b32_e32 v2, s11
	v_subrev_co_u32_e32 v0, vcc, s10, v0
	v_subb_co_u32_e32 v1, vcc, v1, v2, vcc
	v_mul_lo_u32 v2, v1, s8
	v_mul_lo_u32 v3, v0, s9
	v_mad_u64_u32 v[0:1], s[2:3], v0, s8, 0
	v_add3_u32 v1, v1, v3, v2
	v_or_b32_e32 v7, s36, v1
	v_cmp_ne_u64_e32 vcc, 0, v[6:7]
                                        ; implicit-def: $vgpr2_vgpr3
	s_and_saveexec_b64 s[2:3], vcc
	s_xor_b64 s[26:27], exec, s[2:3]
	s_cbranch_execz .LBB35_13
; %bb.12:                               ;   in Loop: Header=BB35_3 Depth=1
	s_ashr_i32 s28, s36, 31
	s_add_u32 s2, s33, s28
	s_mov_b32 s29, s28
	s_addc_u32 s3, s36, s28
	s_xor_b64 s[30:31], s[2:3], s[28:29]
	v_cvt_f32_u32_e32 v2, s30
	v_cvt_f32_u32_e32 v3, s31
	s_sub_u32 s29, 0, s30
	s_subb_u32 s34, 0, s31
	v_ashrrev_i32_e32 v7, 31, v1
	v_mac_f32_e32 v2, 0x4f800000, v3
	v_rcp_f32_e32 v2, v2
	v_add_co_u32_e32 v0, vcc, v0, v7
	v_xor_b32_e32 v8, v0, v7
	v_mul_f32_e32 v2, 0x5f7ffffc, v2
	v_mul_f32_e32 v3, 0x2f800000, v2
	v_trunc_f32_e32 v3, v3
	v_mac_f32_e32 v2, 0xcf800000, v3
	v_cvt_u32_f32_e32 v3, v3
	v_cvt_u32_f32_e32 v2, v2
	v_readfirstlane_b32 s35, v3
	v_readfirstlane_b32 s2, v2
	s_mul_i32 s3, s29, s35
	s_mul_hi_u32 s40, s29, s2
	s_mul_i32 s39, s34, s2
	s_add_i32 s3, s40, s3
	s_add_i32 s3, s3, s39
	s_mul_i32 s41, s29, s2
	s_mul_i32 s40, s2, s3
	s_mul_hi_u32 s42, s2, s41
	s_mul_hi_u32 s39, s2, s3
	s_add_u32 s40, s42, s40
	s_addc_u32 s39, 0, s39
	s_mul_hi_u32 s43, s35, s41
	s_mul_i32 s41, s35, s41
	s_add_u32 s40, s40, s41
	s_mul_hi_u32 s42, s35, s3
	s_addc_u32 s39, s39, s43
	s_addc_u32 s40, s42, 0
	s_mul_i32 s3, s35, s3
	s_add_u32 s3, s39, s3
	s_addc_u32 s39, 0, s40
	s_add_u32 s40, s2, s3
	s_cselect_b64 s[2:3], -1, 0
	s_cmp_lg_u64 s[2:3], 0
	s_addc_u32 s35, s35, s39
	s_mul_i32 s2, s29, s35
	s_mul_hi_u32 s3, s29, s40
	s_add_i32 s2, s3, s2
	s_mul_i32 s34, s34, s40
	s_add_i32 s2, s2, s34
	s_mul_i32 s29, s29, s40
	s_mul_hi_u32 s34, s35, s29
	s_mul_i32 s39, s35, s29
	s_mul_i32 s42, s40, s2
	s_mul_hi_u32 s29, s40, s29
	s_mul_hi_u32 s41, s40, s2
	s_add_u32 s29, s29, s42
	s_addc_u32 s41, 0, s41
	s_add_u32 s29, s29, s39
	s_mul_hi_u32 s3, s35, s2
	s_addc_u32 s29, s41, s34
	s_addc_u32 s3, s3, 0
	s_mul_i32 s2, s35, s2
	s_add_u32 s2, s29, s2
	s_addc_u32 s29, 0, s3
	s_add_u32 s34, s40, s2
	s_cselect_b64 s[2:3], -1, 0
	s_cmp_lg_u64 s[2:3], 0
	s_addc_u32 s29, s35, s29
	v_addc_co_u32_e32 v2, vcc, v1, v7, vcc
	v_mad_u64_u32 v[0:1], s[2:3], v8, s29, 0
	v_mul_hi_u32 v3, v8, s34
	v_xor_b32_e32 v9, v2, v7
	v_add_co_u32_e32 v10, vcc, v3, v0
	v_addc_co_u32_e32 v11, vcc, 0, v1, vcc
	v_mad_u64_u32 v[0:1], s[2:3], v9, s34, 0
	v_mad_u64_u32 v[2:3], s[2:3], v9, s29, 0
	v_add_co_u32_e32 v0, vcc, v10, v0
	v_addc_co_u32_e32 v0, vcc, v11, v1, vcc
	v_addc_co_u32_e32 v1, vcc, 0, v3, vcc
	v_add_co_u32_e32 v2, vcc, v0, v2
	v_addc_co_u32_e32 v0, vcc, 0, v1, vcc
	v_mul_lo_u32 v3, s31, v2
	v_mul_lo_u32 v10, s30, v0
	v_mad_u64_u32 v[0:1], s[2:3], s30, v2, 0
	v_add3_u32 v1, v1, v10, v3
	v_sub_u32_e32 v3, v9, v1
	v_mov_b32_e32 v10, s31
	v_sub_co_u32_e32 v0, vcc, v8, v0
	v_subb_co_u32_e64 v3, s[2:3], v3, v10, vcc
	v_subrev_co_u32_e64 v8, s[2:3], s30, v0
	v_subbrev_co_u32_e64 v3, s[2:3], 0, v3, s[2:3]
	v_cmp_le_u32_e64 s[2:3], s31, v3
	v_subb_co_u32_e32 v1, vcc, v9, v1, vcc
	v_cndmask_b32_e64 v10, 0, -1, s[2:3]
	v_cmp_le_u32_e64 s[2:3], s30, v8
	v_cmp_le_u32_e32 vcc, s31, v1
	v_cndmask_b32_e64 v8, 0, -1, s[2:3]
	v_cmp_eq_u32_e64 s[2:3], s31, v3
	v_cndmask_b32_e64 v9, 0, -1, vcc
	v_cmp_le_u32_e32 vcc, s30, v0
	v_cndmask_b32_e64 v3, v10, v8, s[2:3]
	v_cndmask_b32_e64 v0, 0, -1, vcc
	v_cmp_eq_u32_e32 vcc, s31, v1
	v_add_co_u32_e64 v8, s[2:3], 2, v2
	v_add_co_u32_e64 v10, s[2:3], 1, v2
	v_cndmask_b32_e32 v0, v9, v0, vcc
	v_cmp_ne_u32_e32 vcc, 0, v3
	v_cndmask_b32_e32 v1, v10, v8, vcc
	v_cmp_ne_u32_e32 vcc, 0, v0
	v_cndmask_b32_e32 v0, v2, v1, vcc
	v_xor_b32_e32 v1, s28, v7
	v_xor_b32_e32 v0, v0, v1
	v_sub_co_u32_e32 v2, vcc, v0, v1
                                        ; implicit-def: $vgpr0_vgpr1
.LBB35_13:                              ;   in Loop: Header=BB35_3 Depth=1
	s_andn2_saveexec_b64 s[2:3], s[26:27]
	s_cbranch_execz .LBB35_15
; %bb.14:                               ;   in Loop: Header=BB35_3 Depth=1
	v_cvt_f32_u32_e32 v1, s33
	s_sub_i32 s26, 0, s33
	v_rcp_iflag_f32_e32 v1, v1
	v_mul_f32_e32 v1, 0x4f7ffffe, v1
	v_cvt_u32_f32_e32 v1, v1
	v_mul_lo_u32 v2, s26, v1
	v_mul_hi_u32 v2, v1, v2
	v_add_u32_e32 v1, v1, v2
	v_mul_hi_u32 v1, v0, v1
	v_mul_lo_u32 v2, v1, s33
	v_add_u32_e32 v3, 1, v1
	v_sub_u32_e32 v0, v0, v2
	v_subrev_u32_e32 v2, s33, v0
	v_cmp_le_u32_e32 vcc, s33, v0
	v_cndmask_b32_e32 v0, v0, v2, vcc
	v_cndmask_b32_e32 v1, v1, v3, vcc
	v_add_u32_e32 v2, 1, v1
	v_cmp_le_u32_e32 vcc, s33, v0
	v_cndmask_b32_e32 v2, v1, v2, vcc
.LBB35_15:                              ;   in Loop: Header=BB35_3 Depth=1
	s_or_b64 exec, exec, s[2:3]
	v_ashrrev_i32_e32 v3, 31, v2
	v_cmp_eq_u64_e32 vcc, s[8:9], v[2:3]
	v_cndmask_b32_e64 v0, 0, 1, vcc
	v_sub_co_u32_e32 v0, vcc, v2, v0
	v_subbrev_co_u32_e32 v1, vcc, 0, v3, vcc
	v_mul_lo_u32 v2, v1, s16
	v_mul_lo_u32 v3, v0, s17
	v_mad_u64_u32 v[0:1], s[2:3], v0, s16, 0
	s_mov_b64 s[2:3], 0
	v_add3_u32 v1, v1, v3, v2
	v_lshlrev_b64 v[0:1], 3, v[0:1]
	v_mov_b32_e32 v2, s7
	v_add_co_u32_e32 v7, vcc, s6, v0
	v_addc_co_u32_e32 v8, vcc, v2, v1, vcc
	global_load_dwordx2 v[2:3], v[7:8], off
.LBB35_16:                              ;   Parent Loop BB35_3 Depth=1
                                        ; =>  This Inner Loop Header: Depth=2
	s_waitcnt vmcnt(0)
	v_add_f64 v[0:1], v[2:3], 1.0
	global_atomic_cmpswap_x2 v[0:1], v[7:8], v[0:3], off glc
	s_waitcnt vmcnt(0)
	v_cmp_eq_u64_e32 vcc, v[0:1], v[2:3]
	v_mov_b32_e32 v3, v1
	s_or_b64 s[2:3], vcc, s[2:3]
	v_mov_b32_e32 v2, v0
	s_andn2_b64 exec, exec, s[2:3]
	s_cbranch_execnz .LBB35_16
	s_branch .LBB35_2
.LBB35_17:
	s_endpgm
	.section	.rodata,"a",@progbits
	.p2align	6, 0x0
	.amdhsa_kernel _ZN2at4cuda17kernelHistogram1DIdilLi1ELi2ELin1ELNS0_23CUDAHistogramMemoryTypeE1EZNS0_21CUDA_tensor_histogramIdiLb1EEEbNS_6TensorES4_S4_lNS_14AccumulateTypeIT0_Lb1EE4typeES8_NS0_13TensorArgTypeES9_S9_EUllE0_EEvNS0_6detail10TensorInfoIT_T1_EESF_NSC_IKS6_SE_EElS8_S8_SE_T6_
		.amdhsa_group_segment_fixed_size 0
		.amdhsa_private_segment_fixed_size 0
		.amdhsa_kernarg_size 1544
		.amdhsa_user_sgpr_count 6
		.amdhsa_user_sgpr_private_segment_buffer 1
		.amdhsa_user_sgpr_dispatch_ptr 0
		.amdhsa_user_sgpr_queue_ptr 0
		.amdhsa_user_sgpr_kernarg_segment_ptr 1
		.amdhsa_user_sgpr_dispatch_id 0
		.amdhsa_user_sgpr_flat_scratch_init 0
		.amdhsa_user_sgpr_private_segment_size 0
		.amdhsa_uses_dynamic_stack 0
		.amdhsa_system_sgpr_private_segment_wavefront_offset 0
		.amdhsa_system_sgpr_workgroup_id_x 1
		.amdhsa_system_sgpr_workgroup_id_y 0
		.amdhsa_system_sgpr_workgroup_id_z 0
		.amdhsa_system_sgpr_workgroup_info 0
		.amdhsa_system_vgpr_workitem_id 0
		.amdhsa_next_free_vgpr 18
		.amdhsa_next_free_sgpr 47
		.amdhsa_reserve_vcc 1
		.amdhsa_reserve_flat_scratch 0
		.amdhsa_float_round_mode_32 0
		.amdhsa_float_round_mode_16_64 0
		.amdhsa_float_denorm_mode_32 3
		.amdhsa_float_denorm_mode_16_64 3
		.amdhsa_dx10_clamp 1
		.amdhsa_ieee_mode 1
		.amdhsa_fp16_overflow 0
		.amdhsa_exception_fp_ieee_invalid_op 0
		.amdhsa_exception_fp_denorm_src 0
		.amdhsa_exception_fp_ieee_div_zero 0
		.amdhsa_exception_fp_ieee_overflow 0
		.amdhsa_exception_fp_ieee_underflow 0
		.amdhsa_exception_fp_ieee_inexact 0
		.amdhsa_exception_int_div_zero 0
	.end_amdhsa_kernel
	.section	.text._ZN2at4cuda17kernelHistogram1DIdilLi1ELi2ELin1ELNS0_23CUDAHistogramMemoryTypeE1EZNS0_21CUDA_tensor_histogramIdiLb1EEEbNS_6TensorES4_S4_lNS_14AccumulateTypeIT0_Lb1EE4typeES8_NS0_13TensorArgTypeES9_S9_EUllE0_EEvNS0_6detail10TensorInfoIT_T1_EESF_NSC_IKS6_SE_EElS8_S8_SE_T6_,"axG",@progbits,_ZN2at4cuda17kernelHistogram1DIdilLi1ELi2ELin1ELNS0_23CUDAHistogramMemoryTypeE1EZNS0_21CUDA_tensor_histogramIdiLb1EEEbNS_6TensorES4_S4_lNS_14AccumulateTypeIT0_Lb1EE4typeES8_NS0_13TensorArgTypeES9_S9_EUllE0_EEvNS0_6detail10TensorInfoIT_T1_EESF_NSC_IKS6_SE_EElS8_S8_SE_T6_,comdat
.Lfunc_end35:
	.size	_ZN2at4cuda17kernelHistogram1DIdilLi1ELi2ELin1ELNS0_23CUDAHistogramMemoryTypeE1EZNS0_21CUDA_tensor_histogramIdiLb1EEEbNS_6TensorES4_S4_lNS_14AccumulateTypeIT0_Lb1EE4typeES8_NS0_13TensorArgTypeES9_S9_EUllE0_EEvNS0_6detail10TensorInfoIT_T1_EESF_NSC_IKS6_SE_EElS8_S8_SE_T6_, .Lfunc_end35-_ZN2at4cuda17kernelHistogram1DIdilLi1ELi2ELin1ELNS0_23CUDAHistogramMemoryTypeE1EZNS0_21CUDA_tensor_histogramIdiLb1EEEbNS_6TensorES4_S4_lNS_14AccumulateTypeIT0_Lb1EE4typeES8_NS0_13TensorArgTypeES9_S9_EUllE0_EEvNS0_6detail10TensorInfoIT_T1_EESF_NSC_IKS6_SE_EElS8_S8_SE_T6_
                                        ; -- End function
	.set _ZN2at4cuda17kernelHistogram1DIdilLi1ELi2ELin1ELNS0_23CUDAHistogramMemoryTypeE1EZNS0_21CUDA_tensor_histogramIdiLb1EEEbNS_6TensorES4_S4_lNS_14AccumulateTypeIT0_Lb1EE4typeES8_NS0_13TensorArgTypeES9_S9_EUllE0_EEvNS0_6detail10TensorInfoIT_T1_EESF_NSC_IKS6_SE_EElS8_S8_SE_T6_.num_vgpr, 18
	.set _ZN2at4cuda17kernelHistogram1DIdilLi1ELi2ELin1ELNS0_23CUDAHistogramMemoryTypeE1EZNS0_21CUDA_tensor_histogramIdiLb1EEEbNS_6TensorES4_S4_lNS_14AccumulateTypeIT0_Lb1EE4typeES8_NS0_13TensorArgTypeES9_S9_EUllE0_EEvNS0_6detail10TensorInfoIT_T1_EESF_NSC_IKS6_SE_EElS8_S8_SE_T6_.num_agpr, 0
	.set _ZN2at4cuda17kernelHistogram1DIdilLi1ELi2ELin1ELNS0_23CUDAHistogramMemoryTypeE1EZNS0_21CUDA_tensor_histogramIdiLb1EEEbNS_6TensorES4_S4_lNS_14AccumulateTypeIT0_Lb1EE4typeES8_NS0_13TensorArgTypeES9_S9_EUllE0_EEvNS0_6detail10TensorInfoIT_T1_EESF_NSC_IKS6_SE_EElS8_S8_SE_T6_.numbered_sgpr, 47
	.set _ZN2at4cuda17kernelHistogram1DIdilLi1ELi2ELin1ELNS0_23CUDAHistogramMemoryTypeE1EZNS0_21CUDA_tensor_histogramIdiLb1EEEbNS_6TensorES4_S4_lNS_14AccumulateTypeIT0_Lb1EE4typeES8_NS0_13TensorArgTypeES9_S9_EUllE0_EEvNS0_6detail10TensorInfoIT_T1_EESF_NSC_IKS6_SE_EElS8_S8_SE_T6_.num_named_barrier, 0
	.set _ZN2at4cuda17kernelHistogram1DIdilLi1ELi2ELin1ELNS0_23CUDAHistogramMemoryTypeE1EZNS0_21CUDA_tensor_histogramIdiLb1EEEbNS_6TensorES4_S4_lNS_14AccumulateTypeIT0_Lb1EE4typeES8_NS0_13TensorArgTypeES9_S9_EUllE0_EEvNS0_6detail10TensorInfoIT_T1_EESF_NSC_IKS6_SE_EElS8_S8_SE_T6_.private_seg_size, 0
	.set _ZN2at4cuda17kernelHistogram1DIdilLi1ELi2ELin1ELNS0_23CUDAHistogramMemoryTypeE1EZNS0_21CUDA_tensor_histogramIdiLb1EEEbNS_6TensorES4_S4_lNS_14AccumulateTypeIT0_Lb1EE4typeES8_NS0_13TensorArgTypeES9_S9_EUllE0_EEvNS0_6detail10TensorInfoIT_T1_EESF_NSC_IKS6_SE_EElS8_S8_SE_T6_.uses_vcc, 1
	.set _ZN2at4cuda17kernelHistogram1DIdilLi1ELi2ELin1ELNS0_23CUDAHistogramMemoryTypeE1EZNS0_21CUDA_tensor_histogramIdiLb1EEEbNS_6TensorES4_S4_lNS_14AccumulateTypeIT0_Lb1EE4typeES8_NS0_13TensorArgTypeES9_S9_EUllE0_EEvNS0_6detail10TensorInfoIT_T1_EESF_NSC_IKS6_SE_EElS8_S8_SE_T6_.uses_flat_scratch, 0
	.set _ZN2at4cuda17kernelHistogram1DIdilLi1ELi2ELin1ELNS0_23CUDAHistogramMemoryTypeE1EZNS0_21CUDA_tensor_histogramIdiLb1EEEbNS_6TensorES4_S4_lNS_14AccumulateTypeIT0_Lb1EE4typeES8_NS0_13TensorArgTypeES9_S9_EUllE0_EEvNS0_6detail10TensorInfoIT_T1_EESF_NSC_IKS6_SE_EElS8_S8_SE_T6_.has_dyn_sized_stack, 0
	.set _ZN2at4cuda17kernelHistogram1DIdilLi1ELi2ELin1ELNS0_23CUDAHistogramMemoryTypeE1EZNS0_21CUDA_tensor_histogramIdiLb1EEEbNS_6TensorES4_S4_lNS_14AccumulateTypeIT0_Lb1EE4typeES8_NS0_13TensorArgTypeES9_S9_EUllE0_EEvNS0_6detail10TensorInfoIT_T1_EESF_NSC_IKS6_SE_EElS8_S8_SE_T6_.has_recursion, 0
	.set _ZN2at4cuda17kernelHistogram1DIdilLi1ELi2ELin1ELNS0_23CUDAHistogramMemoryTypeE1EZNS0_21CUDA_tensor_histogramIdiLb1EEEbNS_6TensorES4_S4_lNS_14AccumulateTypeIT0_Lb1EE4typeES8_NS0_13TensorArgTypeES9_S9_EUllE0_EEvNS0_6detail10TensorInfoIT_T1_EESF_NSC_IKS6_SE_EElS8_S8_SE_T6_.has_indirect_call, 0
	.section	.AMDGPU.csdata,"",@progbits
; Kernel info:
; codeLenInByte = 2124
; TotalNumSgprs: 51
; NumVgprs: 18
; ScratchSize: 0
; MemoryBound: 0
; FloatMode: 240
; IeeeMode: 1
; LDSByteSize: 0 bytes/workgroup (compile time only)
; SGPRBlocks: 6
; VGPRBlocks: 4
; NumSGPRsForWavesPerEU: 51
; NumVGPRsForWavesPerEU: 18
; Occupancy: 10
; WaveLimiterHint : 1
; COMPUTE_PGM_RSRC2:SCRATCH_EN: 0
; COMPUTE_PGM_RSRC2:USER_SGPR: 6
; COMPUTE_PGM_RSRC2:TRAP_HANDLER: 0
; COMPUTE_PGM_RSRC2:TGID_X_EN: 1
; COMPUTE_PGM_RSRC2:TGID_Y_EN: 0
; COMPUTE_PGM_RSRC2:TGID_Z_EN: 0
; COMPUTE_PGM_RSRC2:TIDIG_COMP_CNT: 0
	.section	.text._ZN2at4cuda17kernelHistogram1DIfllLi1ELi2ELin1ELNS0_23CUDAHistogramMemoryTypeE0EZNS0_21CUDA_tensor_histogramIflLb1EEEbNS_6TensorES4_S4_lNS_14AccumulateTypeIT0_Lb1EE4typeES8_NS0_13TensorArgTypeES9_S9_EUllE_EEvNS0_6detail10TensorInfoIT_T1_EESF_NSC_IKS6_SE_EElS8_S8_SE_T6_,"axG",@progbits,_ZN2at4cuda17kernelHistogram1DIfllLi1ELi2ELin1ELNS0_23CUDAHistogramMemoryTypeE0EZNS0_21CUDA_tensor_histogramIflLb1EEEbNS_6TensorES4_S4_lNS_14AccumulateTypeIT0_Lb1EE4typeES8_NS0_13TensorArgTypeES9_S9_EUllE_EEvNS0_6detail10TensorInfoIT_T1_EESF_NSC_IKS6_SE_EElS8_S8_SE_T6_,comdat
	.protected	_ZN2at4cuda17kernelHistogram1DIfllLi1ELi2ELin1ELNS0_23CUDAHistogramMemoryTypeE0EZNS0_21CUDA_tensor_histogramIflLb1EEEbNS_6TensorES4_S4_lNS_14AccumulateTypeIT0_Lb1EE4typeES8_NS0_13TensorArgTypeES9_S9_EUllE_EEvNS0_6detail10TensorInfoIT_T1_EESF_NSC_IKS6_SE_EElS8_S8_SE_T6_ ; -- Begin function _ZN2at4cuda17kernelHistogram1DIfllLi1ELi2ELin1ELNS0_23CUDAHistogramMemoryTypeE0EZNS0_21CUDA_tensor_histogramIflLb1EEEbNS_6TensorES4_S4_lNS_14AccumulateTypeIT0_Lb1EE4typeES8_NS0_13TensorArgTypeES9_S9_EUllE_EEvNS0_6detail10TensorInfoIT_T1_EESF_NSC_IKS6_SE_EElS8_S8_SE_T6_
	.globl	_ZN2at4cuda17kernelHistogram1DIfllLi1ELi2ELin1ELNS0_23CUDAHistogramMemoryTypeE0EZNS0_21CUDA_tensor_histogramIflLb1EEEbNS_6TensorES4_S4_lNS_14AccumulateTypeIT0_Lb1EE4typeES8_NS0_13TensorArgTypeES9_S9_EUllE_EEvNS0_6detail10TensorInfoIT_T1_EESF_NSC_IKS6_SE_EElS8_S8_SE_T6_
	.p2align	8
	.type	_ZN2at4cuda17kernelHistogram1DIfllLi1ELi2ELin1ELNS0_23CUDAHistogramMemoryTypeE0EZNS0_21CUDA_tensor_histogramIflLb1EEEbNS_6TensorES4_S4_lNS_14AccumulateTypeIT0_Lb1EE4typeES8_NS0_13TensorArgTypeES9_S9_EUllE_EEvNS0_6detail10TensorInfoIT_T1_EESF_NSC_IKS6_SE_EElS8_S8_SE_T6_,@function
_ZN2at4cuda17kernelHistogram1DIfllLi1ELi2ELin1ELNS0_23CUDAHistogramMemoryTypeE0EZNS0_21CUDA_tensor_histogramIflLb1EEEbNS_6TensorES4_S4_lNS_14AccumulateTypeIT0_Lb1EE4typeES8_NS0_13TensorArgTypeES9_S9_EUllE_EEvNS0_6detail10TensorInfoIT_T1_EESF_NSC_IKS6_SE_EElS8_S8_SE_T6_: ; @_ZN2at4cuda17kernelHistogram1DIfllLi1ELi2ELin1ELNS0_23CUDAHistogramMemoryTypeE0EZNS0_21CUDA_tensor_histogramIflLb1EEEbNS_6TensorES4_S4_lNS_14AccumulateTypeIT0_Lb1EE4typeES8_NS0_13TensorArgTypeES9_S9_EUllE_EEvNS0_6detail10TensorInfoIT_T1_EESF_NSC_IKS6_SE_EElS8_S8_SE_T6_
; %bb.0:
	s_load_dwordx4 s[16:19], s[4:5], 0x0
	s_load_dwordx2 s[22:23], s[4:5], 0x500
	s_load_dwordx8 s[8:15], s[4:5], 0x4e0
	v_mov_b32_e32 v1, 0
	s_add_u32 s2, s4, 0x6a0
	s_waitcnt lgkmcnt(0)
	v_cmp_gt_i64_e64 s[0:1], s[18:19], v[0:1]
	v_cmp_le_i64_e32 vcc, s[18:19], v[0:1]
	s_addc_u32 s3, s5, 0
                                        ; implicit-def: $sgpr28
                                        ; implicit-def: $sgpr7
	s_and_saveexec_b64 s[20:21], vcc
	s_xor_b64 s[20:21], exec, s[20:21]
	s_cbranch_execz .LBB36_2
; %bb.1:
	s_load_dword s28, s[2:3], 0xc
	s_waitcnt lgkmcnt(0)
	s_and_b32 s7, s28, 0xffff
.LBB36_2:
	s_or_saveexec_b64 s[26:27], s[20:21]
	s_load_dwordx2 s[20:21], s[4:5], 0xd0
	s_load_dwordx2 s[24:25], s[4:5], 0x5d0
	v_mov_b32_e32 v12, s28
	v_mov_b32_e32 v5, s7
	s_xor_b64 exec, exec, s[26:27]
	s_cbranch_execz .LBB36_6
; %bb.3:
	s_load_dword s7, s[2:3], 0xc
	v_mov_b32_e32 v3, v1
	v_lshl_add_u32 v4, v0, 2, 0
	s_mov_b64 s[28:29], 0
	v_mov_b32_e32 v5, 0
	s_waitcnt lgkmcnt(0)
	s_and_b32 s30, s7, 0xffff
	s_lshl_b32 s31, s30, 2
	v_mov_b32_e32 v2, v0
.LBB36_4:                               ; =>This Inner Loop Header: Depth=1
	v_add_co_u32_e32 v2, vcc, s30, v2
	v_addc_co_u32_e32 v3, vcc, 0, v3, vcc
	v_cmp_le_i64_e32 vcc, s[18:19], v[2:3]
	ds_write_b32 v4, v5
	s_or_b64 s[28:29], vcc, s[28:29]
	v_add_u32_e32 v4, s31, v4
	s_andn2_b64 exec, exec, s[28:29]
	s_cbranch_execnz .LBB36_4
; %bb.5:
	s_or_b64 exec, exec, s[28:29]
	v_mov_b32_e32 v12, s7
	v_mov_b32_e32 v5, s30
.LBB36_6:
	s_or_b64 exec, exec, s[26:27]
	v_mad_u64_u32 v[2:3], s[6:7], s6, v5, v[0:1]
	v_mov_b32_e32 v4, 0
	v_mov_b32_e32 v3, v4
	v_cmp_gt_i64_e32 vcc, s[14:15], v[2:3]
	s_waitcnt lgkmcnt(0)
	s_barrier
	s_and_saveexec_b64 s[6:7], vcc
	s_cbranch_execz .LBB36_22
; %bb.7:
	s_load_dword s30, s[4:5], 0x4d8
	s_load_dwordx2 s[28:29], s[4:5], 0x340
	s_add_u32 s31, s4, 0x340
	s_addc_u32 s35, s5, 0
	s_load_dword s34, s[2:3], 0x0
	s_load_dwordx2 s[26:27], s[4:5], 0x410
	s_waitcnt lgkmcnt(0)
	s_cmp_gt_i32 s30, 1
	s_cselect_b64 s[2:3], -1, 0
	s_sub_u32 s33, s12, s10
	s_subb_u32 s46, s13, s11
	s_mov_b32 s5, 0
	s_add_i32 s4, s30, -1
	s_add_i32 s47, s30, 1
	s_lshl_b64 s[4:5], s[4:5], 3
	v_mul_lo_u32 v13, s34, v5
	s_add_u32 s4, s31, s4
	s_addc_u32 s5, s35, s5
	s_add_u32 s30, s4, 8
	v_cndmask_b32_e64 v5, 0, 1, s[2:3]
	s_addc_u32 s31, s5, 0
	s_mov_b64 s[34:35], 0
	v_cmp_ne_u32_e64 s[2:3], 1, v5
	s_branch .LBB36_10
.LBB36_8:                               ;   in Loop: Header=BB36_10 Depth=1
	s_or_b64 exec, exec, s[4:5]
	v_mul_lo_u32 v7, v3, s24
	v_mul_lo_u32 v9, v2, s25
	v_mad_u64_u32 v[5:6], s[4:5], v2, s24, 0
	v_add3_u32 v6, v6, v9, v7
	v_lshlrev_b64 v[5:6], 2, v[5:6]
	v_mov_b32_e32 v7, s23
	v_add_co_u32_e32 v5, vcc, s22, v5
	v_addc_co_u32_e32 v6, vcc, v7, v6, vcc
	global_load_dword v5, v[5:6], off
	v_ashrrev_i32_e32 v9, 31, v8
	v_cmp_eq_u64_e32 vcc, s[8:9], v[8:9]
	v_subbrev_co_u32_e32 v6, vcc, 0, v8, vcc
	v_lshl_add_u32 v6, v6, 2, 0
	s_waitcnt vmcnt(0)
	ds_add_f32 v6, v5
.LBB36_9:                               ;   in Loop: Header=BB36_10 Depth=1
	s_or_b64 exec, exec, s[36:37]
	v_add_co_u32_e32 v2, vcc, v2, v13
	v_addc_co_u32_e32 v3, vcc, 0, v3, vcc
	v_cmp_le_i64_e32 vcc, s[14:15], v[2:3]
	s_or_b64 s[34:35], vcc, s[34:35]
	s_andn2_b64 exec, exec, s[34:35]
	s_cbranch_execz .LBB36_22
.LBB36_10:                              ; =>This Loop Header: Depth=1
                                        ;     Child Loop BB36_11 Depth 2
	v_mov_b32_e32 v6, 0
	v_mov_b32_e32 v9, v3
	;; [unrolled: 1-line block ×4, first 2 shown]
	s_and_b64 vcc, exec, s[2:3]
	s_mov_b64 s[36:37], s[30:31]
	s_mov_b32 s48, s47
	v_mov_b32_e32 v8, v2
	v_mov_b32_e32 v10, v2
	s_cbranch_vccnz .LBB36_17
.LBB36_11:                              ;   Parent Loop BB36_10 Depth=1
                                        ; =>  This Inner Loop Header: Depth=2
	s_load_dwordx2 s[38:39], s[36:37], 0x0
                                        ; implicit-def: $vgpr10_vgpr11
	s_waitcnt lgkmcnt(0)
	v_or_b32_e32 v5, s39, v9
	v_cmp_ne_u64_e32 vcc, 0, v[4:5]
	s_and_saveexec_b64 s[4:5], vcc
	s_xor_b64 s[40:41], exec, s[4:5]
	s_cbranch_execz .LBB36_13
; %bb.12:                               ;   in Loop: Header=BB36_11 Depth=2
	s_ashr_i32 s42, s39, 31
	s_add_u32 s4, s38, s42
	s_mov_b32 s43, s42
	s_addc_u32 s5, s39, s42
	s_xor_b64 s[44:45], s[4:5], s[42:43]
	v_cvt_f32_u32_e32 v5, s44
	v_cvt_f32_u32_e32 v10, s45
	s_sub_u32 s43, 0, s44
	s_subb_u32 s49, 0, s45
	v_mac_f32_e32 v5, 0x4f800000, v10
	v_rcp_f32_e32 v5, v5
	v_mul_f32_e32 v5, 0x5f7ffffc, v5
	v_mul_f32_e32 v10, 0x2f800000, v5
	v_trunc_f32_e32 v10, v10
	v_mac_f32_e32 v5, 0xcf800000, v10
	v_cvt_u32_f32_e32 v10, v10
	v_cvt_u32_f32_e32 v5, v5
	v_readfirstlane_b32 s50, v10
	v_readfirstlane_b32 s4, v5
	s_mul_i32 s5, s43, s50
	s_mul_hi_u32 s52, s43, s4
	s_mul_i32 s51, s49, s4
	s_add_i32 s5, s52, s5
	s_add_i32 s5, s5, s51
	s_mul_i32 s53, s43, s4
	s_mul_i32 s52, s4, s5
	s_mul_hi_u32 s54, s4, s53
	s_mul_hi_u32 s51, s4, s5
	s_add_u32 s52, s54, s52
	s_addc_u32 s51, 0, s51
	s_mul_hi_u32 s55, s50, s53
	s_mul_i32 s53, s50, s53
	s_add_u32 s52, s52, s53
	s_mul_hi_u32 s54, s50, s5
	s_addc_u32 s51, s51, s55
	s_addc_u32 s52, s54, 0
	s_mul_i32 s5, s50, s5
	s_add_u32 s5, s51, s5
	s_addc_u32 s51, 0, s52
	s_add_u32 s52, s4, s5
	s_cselect_b64 s[4:5], -1, 0
	s_cmp_lg_u64 s[4:5], 0
	s_addc_u32 s50, s50, s51
	s_mul_i32 s4, s43, s50
	s_mul_hi_u32 s5, s43, s52
	s_add_i32 s4, s5, s4
	s_mul_i32 s49, s49, s52
	s_add_i32 s4, s4, s49
	s_mul_i32 s43, s43, s52
	s_mul_hi_u32 s49, s50, s43
	s_mul_i32 s51, s50, s43
	s_mul_i32 s54, s52, s4
	s_mul_hi_u32 s43, s52, s43
	s_mul_hi_u32 s53, s52, s4
	s_add_u32 s43, s43, s54
	s_addc_u32 s53, 0, s53
	s_add_u32 s43, s43, s51
	s_mul_hi_u32 s5, s50, s4
	s_addc_u32 s43, s53, s49
	s_addc_u32 s5, s5, 0
	s_mul_i32 s4, s50, s4
	s_add_u32 s4, s43, s4
	s_addc_u32 s43, 0, s5
	s_add_u32 s49, s52, s4
	s_cselect_b64 s[4:5], -1, 0
	v_ashrrev_i32_e32 v5, 31, v9
	s_cmp_lg_u64 s[4:5], 0
	v_add_co_u32_e32 v10, vcc, v8, v5
	s_addc_u32 s43, s50, s43
	v_xor_b32_e32 v16, v10, v5
	v_mad_u64_u32 v[10:11], s[4:5], v16, s43, 0
	v_mul_hi_u32 v15, v16, s49
	v_addc_co_u32_e32 v14, vcc, v9, v5, vcc
	v_xor_b32_e32 v17, v14, v5
	v_add_co_u32_e32 v18, vcc, v15, v10
	v_addc_co_u32_e32 v19, vcc, 0, v11, vcc
	v_mad_u64_u32 v[10:11], s[4:5], v17, s49, 0
	v_mad_u64_u32 v[14:15], s[4:5], v17, s43, 0
	v_add_co_u32_e32 v10, vcc, v18, v10
	v_addc_co_u32_e32 v10, vcc, v19, v11, vcc
	v_addc_co_u32_e32 v11, vcc, 0, v15, vcc
	v_add_co_u32_e32 v14, vcc, v10, v14
	v_addc_co_u32_e32 v15, vcc, 0, v11, vcc
	v_mul_lo_u32 v18, s45, v14
	v_mul_lo_u32 v19, s44, v15
	v_mad_u64_u32 v[10:11], s[4:5], s44, v14, 0
	v_xor_b32_e32 v5, s42, v5
	v_add3_u32 v11, v11, v19, v18
	v_sub_u32_e32 v18, v17, v11
	v_mov_b32_e32 v19, s45
	v_sub_co_u32_e32 v10, vcc, v16, v10
	v_subb_co_u32_e64 v16, s[4:5], v18, v19, vcc
	v_subrev_co_u32_e64 v18, s[4:5], s44, v10
	v_subbrev_co_u32_e64 v16, s[4:5], 0, v16, s[4:5]
	v_cmp_le_u32_e64 s[4:5], s45, v16
	v_cndmask_b32_e64 v19, 0, -1, s[4:5]
	v_cmp_le_u32_e64 s[4:5], s44, v18
	v_cndmask_b32_e64 v18, 0, -1, s[4:5]
	v_cmp_eq_u32_e64 s[4:5], s45, v16
	v_cndmask_b32_e64 v16, v19, v18, s[4:5]
	v_add_co_u32_e64 v18, s[4:5], 2, v14
	v_subb_co_u32_e32 v11, vcc, v17, v11, vcc
	v_addc_co_u32_e64 v19, s[4:5], 0, v15, s[4:5]
	v_cmp_le_u32_e32 vcc, s45, v11
	v_add_co_u32_e64 v20, s[4:5], 1, v14
	v_cndmask_b32_e64 v17, 0, -1, vcc
	v_cmp_le_u32_e32 vcc, s44, v10
	v_addc_co_u32_e64 v21, s[4:5], 0, v15, s[4:5]
	v_cndmask_b32_e64 v10, 0, -1, vcc
	v_cmp_eq_u32_e32 vcc, s45, v11
	v_cmp_ne_u32_e64 s[4:5], 0, v16
	v_cndmask_b32_e32 v10, v17, v10, vcc
	v_cndmask_b32_e64 v16, v21, v19, s[4:5]
	v_cmp_ne_u32_e32 vcc, 0, v10
	v_cndmask_b32_e64 v11, v20, v18, s[4:5]
	v_cndmask_b32_e32 v10, v15, v16, vcc
	v_cndmask_b32_e32 v11, v14, v11, vcc
	v_xor_b32_e32 v14, v10, v5
	v_xor_b32_e32 v10, v11, v5
	v_sub_co_u32_e32 v10, vcc, v10, v5
	v_subb_co_u32_e32 v11, vcc, v14, v5, vcc
.LBB36_13:                              ;   in Loop: Header=BB36_11 Depth=2
	s_andn2_saveexec_b64 s[4:5], s[40:41]
	s_cbranch_execz .LBB36_15
; %bb.14:                               ;   in Loop: Header=BB36_11 Depth=2
	v_cvt_f32_u32_e32 v5, s38
	s_sub_i32 s40, 0, s38
	v_rcp_iflag_f32_e32 v5, v5
	v_mul_f32_e32 v5, 0x4f7ffffe, v5
	v_cvt_u32_f32_e32 v5, v5
	v_mul_lo_u32 v10, s40, v5
	v_mul_hi_u32 v10, v5, v10
	v_add_u32_e32 v5, v5, v10
	v_mul_hi_u32 v5, v8, v5
	v_mul_lo_u32 v10, v5, s38
	v_add_u32_e32 v11, 1, v5
	v_sub_u32_e32 v10, v8, v10
	v_subrev_u32_e32 v14, s38, v10
	v_cmp_le_u32_e32 vcc, s38, v10
	v_cndmask_b32_e32 v10, v10, v14, vcc
	v_cndmask_b32_e32 v5, v5, v11, vcc
	v_add_u32_e32 v11, 1, v5
	v_cmp_le_u32_e32 vcc, s38, v10
	v_cndmask_b32_e32 v10, v5, v11, vcc
	v_mov_b32_e32 v11, v4
.LBB36_15:                              ;   in Loop: Header=BB36_11 Depth=2
	s_or_b64 exec, exec, s[4:5]
	v_mul_lo_u32 v5, v11, s38
	v_mul_lo_u32 v16, v10, s39
	v_mad_u64_u32 v[14:15], s[4:5], v10, s38, 0
	s_load_dwordx2 s[4:5], s[36:37], 0xc8
	s_add_i32 s48, s48, -1
	v_add3_u32 v5, v15, v16, v5
	v_sub_co_u32_e32 v8, vcc, v8, v14
	v_subb_co_u32_e32 v5, vcc, v9, v5, vcc
	s_waitcnt lgkmcnt(0)
	v_mul_lo_u32 v5, s4, v5
	v_mul_lo_u32 v9, s5, v8
	v_mad_u64_u32 v[6:7], s[4:5], s4, v8, v[6:7]
	s_add_u32 s36, s36, -8
	s_addc_u32 s37, s37, -1
	s_cmp_gt_u32 s48, 2
	v_add3_u32 v7, v9, v7, v5
	s_cbranch_scc0 .LBB36_17
; %bb.16:                               ;   in Loop: Header=BB36_11 Depth=2
	v_mov_b32_e32 v8, v10
	v_mov_b32_e32 v9, v11
	s_branch .LBB36_11
.LBB36_17:                              ;   in Loop: Header=BB36_10 Depth=1
	v_mul_lo_u32 v5, s27, v10
	v_mul_lo_u32 v11, s26, v11
	v_mad_u64_u32 v[8:9], s[4:5], s26, v10, 0
	v_add3_u32 v9, v9, v11, v5
	v_lshlrev_b64 v[8:9], 3, v[8:9]
	v_mov_b32_e32 v5, s29
	v_add_co_u32_e32 v8, vcc, s28, v8
	v_addc_co_u32_e32 v9, vcc, v5, v9, vcc
	v_lshlrev_b64 v[5:6], 3, v[6:7]
	v_add_co_u32_e32 v5, vcc, v8, v5
	v_addc_co_u32_e32 v6, vcc, v9, v6, vcc
	global_load_dwordx2 v[5:6], v[5:6], off
	s_waitcnt vmcnt(0)
	v_cmp_le_i64_e32 vcc, s[10:11], v[5:6]
	v_cmp_ge_i64_e64 s[4:5], s[12:13], v[5:6]
	s_and_b64 s[4:5], vcc, s[4:5]
	s_and_saveexec_b64 s[36:37], s[4:5]
	s_cbranch_execz .LBB36_9
; %bb.18:                               ;   in Loop: Header=BB36_10 Depth=1
	v_mov_b32_e32 v7, s11
	v_subrev_co_u32_e32 v5, vcc, s10, v5
	v_subb_co_u32_e32 v6, vcc, v6, v7, vcc
	v_mul_lo_u32 v8, v6, s8
	v_mul_lo_u32 v9, v5, s9
	v_mad_u64_u32 v[6:7], s[4:5], v5, s8, 0
	v_add3_u32 v7, v7, v9, v8
	v_or_b32_e32 v5, s46, v7
	v_cmp_ne_u64_e32 vcc, 0, v[4:5]
                                        ; implicit-def: $vgpr8_vgpr9
	s_and_saveexec_b64 s[4:5], vcc
	s_xor_b64 s[38:39], exec, s[4:5]
	s_cbranch_execz .LBB36_20
; %bb.19:                               ;   in Loop: Header=BB36_10 Depth=1
	s_ashr_i32 s40, s46, 31
	s_add_u32 s4, s33, s40
	s_mov_b32 s41, s40
	s_addc_u32 s5, s46, s40
	s_xor_b64 s[42:43], s[4:5], s[40:41]
	v_cvt_f32_u32_e32 v5, s42
	v_cvt_f32_u32_e32 v8, s43
	s_sub_u32 s41, 0, s42
	s_subb_u32 s44, 0, s43
	v_ashrrev_i32_e32 v9, 31, v7
	v_mac_f32_e32 v5, 0x4f800000, v8
	v_rcp_f32_e32 v5, v5
	v_mul_f32_e32 v5, 0x5f7ffffc, v5
	v_mul_f32_e32 v8, 0x2f800000, v5
	v_trunc_f32_e32 v8, v8
	v_mac_f32_e32 v5, 0xcf800000, v8
	v_cvt_u32_f32_e32 v8, v8
	v_cvt_u32_f32_e32 v5, v5
	v_readfirstlane_b32 s45, v8
	v_readfirstlane_b32 s4, v5
	s_mul_i32 s5, s41, s45
	s_mul_hi_u32 s49, s41, s4
	s_mul_i32 s48, s44, s4
	s_add_i32 s5, s49, s5
	s_add_i32 s5, s5, s48
	s_mul_i32 s50, s41, s4
	s_mul_i32 s49, s4, s5
	s_mul_hi_u32 s51, s4, s50
	s_mul_hi_u32 s48, s4, s5
	s_add_u32 s49, s51, s49
	s_addc_u32 s48, 0, s48
	s_mul_hi_u32 s52, s45, s50
	s_mul_i32 s50, s45, s50
	s_add_u32 s49, s49, s50
	s_mul_hi_u32 s51, s45, s5
	s_addc_u32 s48, s48, s52
	s_addc_u32 s49, s51, 0
	s_mul_i32 s5, s45, s5
	s_add_u32 s5, s48, s5
	s_addc_u32 s48, 0, s49
	s_add_u32 s49, s4, s5
	s_cselect_b64 s[4:5], -1, 0
	s_cmp_lg_u64 s[4:5], 0
	s_addc_u32 s45, s45, s48
	s_mul_i32 s4, s41, s45
	s_mul_hi_u32 s5, s41, s49
	s_add_i32 s4, s5, s4
	s_mul_i32 s44, s44, s49
	s_add_i32 s4, s4, s44
	s_mul_i32 s41, s41, s49
	s_mul_hi_u32 s44, s45, s41
	s_mul_i32 s48, s45, s41
	s_mul_i32 s51, s49, s4
	s_mul_hi_u32 s41, s49, s41
	s_mul_hi_u32 s50, s49, s4
	s_add_u32 s41, s41, s51
	s_addc_u32 s50, 0, s50
	s_add_u32 s41, s41, s48
	s_mul_hi_u32 s5, s45, s4
	s_addc_u32 s41, s50, s44
	s_addc_u32 s5, s5, 0
	s_mul_i32 s4, s45, s4
	s_add_u32 s4, s41, s4
	s_addc_u32 s41, 0, s5
	s_add_u32 s44, s49, s4
	s_cselect_b64 s[4:5], -1, 0
	s_cmp_lg_u64 s[4:5], 0
	v_add_co_u32_e32 v5, vcc, v6, v9
	s_addc_u32 s41, s45, s41
	v_xor_b32_e32 v10, v5, v9
	v_mad_u64_u32 v[5:6], s[4:5], v10, s41, 0
	v_mul_hi_u32 v8, v10, s44
	v_addc_co_u32_e32 v7, vcc, v7, v9, vcc
	v_xor_b32_e32 v11, v7, v9
	v_add_co_u32_e32 v14, vcc, v8, v5
	v_addc_co_u32_e32 v15, vcc, 0, v6, vcc
	v_mad_u64_u32 v[5:6], s[4:5], v11, s44, 0
	v_mad_u64_u32 v[7:8], s[4:5], v11, s41, 0
	v_add_co_u32_e32 v5, vcc, v14, v5
	v_addc_co_u32_e32 v5, vcc, v15, v6, vcc
	v_addc_co_u32_e32 v6, vcc, 0, v8, vcc
	v_add_co_u32_e32 v7, vcc, v5, v7
	v_addc_co_u32_e32 v5, vcc, 0, v6, vcc
	v_mul_lo_u32 v8, s43, v7
	v_mul_lo_u32 v14, s42, v5
	v_mad_u64_u32 v[5:6], s[4:5], s42, v7, 0
	v_add3_u32 v6, v6, v14, v8
	v_sub_u32_e32 v8, v11, v6
	v_mov_b32_e32 v14, s43
	v_sub_co_u32_e32 v5, vcc, v10, v5
	v_subb_co_u32_e64 v8, s[4:5], v8, v14, vcc
	v_subrev_co_u32_e64 v10, s[4:5], s42, v5
	v_subbrev_co_u32_e64 v8, s[4:5], 0, v8, s[4:5]
	v_cmp_le_u32_e64 s[4:5], s43, v8
	v_subb_co_u32_e32 v6, vcc, v11, v6, vcc
	v_cndmask_b32_e64 v14, 0, -1, s[4:5]
	v_cmp_le_u32_e64 s[4:5], s42, v10
	v_cmp_le_u32_e32 vcc, s43, v6
	v_cndmask_b32_e64 v10, 0, -1, s[4:5]
	v_cmp_eq_u32_e64 s[4:5], s43, v8
	v_cndmask_b32_e64 v11, 0, -1, vcc
	v_cmp_le_u32_e32 vcc, s42, v5
	v_cndmask_b32_e64 v8, v14, v10, s[4:5]
	v_cndmask_b32_e64 v5, 0, -1, vcc
	v_cmp_eq_u32_e32 vcc, s43, v6
	v_add_co_u32_e64 v10, s[4:5], 2, v7
	v_add_co_u32_e64 v14, s[4:5], 1, v7
	v_cndmask_b32_e32 v5, v11, v5, vcc
	v_cmp_ne_u32_e32 vcc, 0, v8
	v_cndmask_b32_e32 v6, v14, v10, vcc
	v_cmp_ne_u32_e32 vcc, 0, v5
	v_cndmask_b32_e32 v5, v7, v6, vcc
	v_xor_b32_e32 v6, s40, v9
	v_xor_b32_e32 v5, v5, v6
	v_sub_co_u32_e32 v8, vcc, v5, v6
                                        ; implicit-def: $vgpr6_vgpr7
.LBB36_20:                              ;   in Loop: Header=BB36_10 Depth=1
	s_andn2_saveexec_b64 s[4:5], s[38:39]
	s_cbranch_execz .LBB36_8
; %bb.21:                               ;   in Loop: Header=BB36_10 Depth=1
	v_cvt_f32_u32_e32 v5, s33
	s_sub_i32 s38, 0, s33
	v_rcp_iflag_f32_e32 v5, v5
	v_mul_f32_e32 v5, 0x4f7ffffe, v5
	v_cvt_u32_f32_e32 v5, v5
	v_mul_lo_u32 v7, s38, v5
	v_mul_hi_u32 v7, v5, v7
	v_add_u32_e32 v5, v5, v7
	v_mul_hi_u32 v5, v6, v5
	v_mul_lo_u32 v7, v5, s33
	v_add_u32_e32 v8, 1, v5
	v_sub_u32_e32 v6, v6, v7
	v_subrev_u32_e32 v7, s33, v6
	v_cmp_le_u32_e32 vcc, s33, v6
	v_cndmask_b32_e32 v6, v6, v7, vcc
	v_cndmask_b32_e32 v5, v5, v8, vcc
	v_add_u32_e32 v7, 1, v5
	v_cmp_le_u32_e32 vcc, s33, v6
	v_cndmask_b32_e32 v8, v5, v7, vcc
	s_branch .LBB36_8
.LBB36_22:
	s_or_b64 exec, exec, s[6:7]
; %bb.23:
	s_waitcnt lgkmcnt(0)
	s_barrier
	s_and_saveexec_b64 s[2:3], s[0:1]
	s_cbranch_execz .LBB36_28
; %bb.24:
	v_and_b32_e32 v6, 0xffff, v12
	s_mov_b64 s[0:1], 0
	v_mov_b32_e32 v7, s17
.LBB36_25:                              ; =>This Loop Header: Depth=1
                                        ;     Child Loop BB36_26 Depth 2
	v_mul_lo_u32 v4, v1, s20
	v_mul_lo_u32 v5, v0, s21
	v_mad_u64_u32 v[2:3], s[2:3], v0, s20, 0
	s_mov_b64 s[2:3], 0
	v_add3_u32 v3, v3, v5, v4
	v_lshlrev_b64 v[2:3], 2, v[2:3]
	v_lshl_add_u32 v4, v0, 2, 0
	v_add_co_u32_e32 v2, vcc, s16, v2
	v_addc_co_u32_e32 v3, vcc, v7, v3, vcc
	global_load_dword v5, v[2:3], off
	ds_read_b32 v8, v4
.LBB36_26:                              ;   Parent Loop BB36_25 Depth=1
                                        ; =>  This Inner Loop Header: Depth=2
	s_waitcnt vmcnt(0) lgkmcnt(0)
	v_add_f32_e32 v4, v5, v8
	global_atomic_cmpswap v4, v[2:3], v[4:5], off glc
	s_waitcnt vmcnt(0)
	v_cmp_eq_u32_e32 vcc, v4, v5
	s_or_b64 s[2:3], vcc, s[2:3]
	v_mov_b32_e32 v5, v4
	s_andn2_b64 exec, exec, s[2:3]
	s_cbranch_execnz .LBB36_26
; %bb.27:                               ;   in Loop: Header=BB36_25 Depth=1
	s_or_b64 exec, exec, s[2:3]
	v_add_co_u32_e32 v0, vcc, v0, v6
	v_addc_co_u32_e32 v1, vcc, 0, v1, vcc
	v_cmp_le_i64_e32 vcc, s[18:19], v[0:1]
	s_or_b64 s[0:1], vcc, s[0:1]
	s_andn2_b64 exec, exec, s[0:1]
	s_cbranch_execnz .LBB36_25
.LBB36_28:
	s_endpgm
	.section	.rodata,"a",@progbits
	.p2align	6, 0x0
	.amdhsa_kernel _ZN2at4cuda17kernelHistogram1DIfllLi1ELi2ELin1ELNS0_23CUDAHistogramMemoryTypeE0EZNS0_21CUDA_tensor_histogramIflLb1EEEbNS_6TensorES4_S4_lNS_14AccumulateTypeIT0_Lb1EE4typeES8_NS0_13TensorArgTypeES9_S9_EUllE_EEvNS0_6detail10TensorInfoIT_T1_EESF_NSC_IKS6_SE_EElS8_S8_SE_T6_
		.amdhsa_group_segment_fixed_size 0
		.amdhsa_private_segment_fixed_size 0
		.amdhsa_kernarg_size 1952
		.amdhsa_user_sgpr_count 6
		.amdhsa_user_sgpr_private_segment_buffer 1
		.amdhsa_user_sgpr_dispatch_ptr 0
		.amdhsa_user_sgpr_queue_ptr 0
		.amdhsa_user_sgpr_kernarg_segment_ptr 1
		.amdhsa_user_sgpr_dispatch_id 0
		.amdhsa_user_sgpr_flat_scratch_init 0
		.amdhsa_user_sgpr_private_segment_size 0
		.amdhsa_uses_dynamic_stack 0
		.amdhsa_system_sgpr_private_segment_wavefront_offset 0
		.amdhsa_system_sgpr_workgroup_id_x 1
		.amdhsa_system_sgpr_workgroup_id_y 0
		.amdhsa_system_sgpr_workgroup_id_z 0
		.amdhsa_system_sgpr_workgroup_info 0
		.amdhsa_system_vgpr_workitem_id 0
		.amdhsa_next_free_vgpr 22
		.amdhsa_next_free_sgpr 56
		.amdhsa_reserve_vcc 1
		.amdhsa_reserve_flat_scratch 0
		.amdhsa_float_round_mode_32 0
		.amdhsa_float_round_mode_16_64 0
		.amdhsa_float_denorm_mode_32 3
		.amdhsa_float_denorm_mode_16_64 3
		.amdhsa_dx10_clamp 1
		.amdhsa_ieee_mode 1
		.amdhsa_fp16_overflow 0
		.amdhsa_exception_fp_ieee_invalid_op 0
		.amdhsa_exception_fp_denorm_src 0
		.amdhsa_exception_fp_ieee_div_zero 0
		.amdhsa_exception_fp_ieee_overflow 0
		.amdhsa_exception_fp_ieee_underflow 0
		.amdhsa_exception_fp_ieee_inexact 0
		.amdhsa_exception_int_div_zero 0
	.end_amdhsa_kernel
	.section	.text._ZN2at4cuda17kernelHistogram1DIfllLi1ELi2ELin1ELNS0_23CUDAHistogramMemoryTypeE0EZNS0_21CUDA_tensor_histogramIflLb1EEEbNS_6TensorES4_S4_lNS_14AccumulateTypeIT0_Lb1EE4typeES8_NS0_13TensorArgTypeES9_S9_EUllE_EEvNS0_6detail10TensorInfoIT_T1_EESF_NSC_IKS6_SE_EElS8_S8_SE_T6_,"axG",@progbits,_ZN2at4cuda17kernelHistogram1DIfllLi1ELi2ELin1ELNS0_23CUDAHistogramMemoryTypeE0EZNS0_21CUDA_tensor_histogramIflLb1EEEbNS_6TensorES4_S4_lNS_14AccumulateTypeIT0_Lb1EE4typeES8_NS0_13TensorArgTypeES9_S9_EUllE_EEvNS0_6detail10TensorInfoIT_T1_EESF_NSC_IKS6_SE_EElS8_S8_SE_T6_,comdat
.Lfunc_end36:
	.size	_ZN2at4cuda17kernelHistogram1DIfllLi1ELi2ELin1ELNS0_23CUDAHistogramMemoryTypeE0EZNS0_21CUDA_tensor_histogramIflLb1EEEbNS_6TensorES4_S4_lNS_14AccumulateTypeIT0_Lb1EE4typeES8_NS0_13TensorArgTypeES9_S9_EUllE_EEvNS0_6detail10TensorInfoIT_T1_EESF_NSC_IKS6_SE_EElS8_S8_SE_T6_, .Lfunc_end36-_ZN2at4cuda17kernelHistogram1DIfllLi1ELi2ELin1ELNS0_23CUDAHistogramMemoryTypeE0EZNS0_21CUDA_tensor_histogramIflLb1EEEbNS_6TensorES4_S4_lNS_14AccumulateTypeIT0_Lb1EE4typeES8_NS0_13TensorArgTypeES9_S9_EUllE_EEvNS0_6detail10TensorInfoIT_T1_EESF_NSC_IKS6_SE_EElS8_S8_SE_T6_
                                        ; -- End function
	.set _ZN2at4cuda17kernelHistogram1DIfllLi1ELi2ELin1ELNS0_23CUDAHistogramMemoryTypeE0EZNS0_21CUDA_tensor_histogramIflLb1EEEbNS_6TensorES4_S4_lNS_14AccumulateTypeIT0_Lb1EE4typeES8_NS0_13TensorArgTypeES9_S9_EUllE_EEvNS0_6detail10TensorInfoIT_T1_EESF_NSC_IKS6_SE_EElS8_S8_SE_T6_.num_vgpr, 22
	.set _ZN2at4cuda17kernelHistogram1DIfllLi1ELi2ELin1ELNS0_23CUDAHistogramMemoryTypeE0EZNS0_21CUDA_tensor_histogramIflLb1EEEbNS_6TensorES4_S4_lNS_14AccumulateTypeIT0_Lb1EE4typeES8_NS0_13TensorArgTypeES9_S9_EUllE_EEvNS0_6detail10TensorInfoIT_T1_EESF_NSC_IKS6_SE_EElS8_S8_SE_T6_.num_agpr, 0
	.set _ZN2at4cuda17kernelHistogram1DIfllLi1ELi2ELin1ELNS0_23CUDAHistogramMemoryTypeE0EZNS0_21CUDA_tensor_histogramIflLb1EEEbNS_6TensorES4_S4_lNS_14AccumulateTypeIT0_Lb1EE4typeES8_NS0_13TensorArgTypeES9_S9_EUllE_EEvNS0_6detail10TensorInfoIT_T1_EESF_NSC_IKS6_SE_EElS8_S8_SE_T6_.numbered_sgpr, 56
	.set _ZN2at4cuda17kernelHistogram1DIfllLi1ELi2ELin1ELNS0_23CUDAHistogramMemoryTypeE0EZNS0_21CUDA_tensor_histogramIflLb1EEEbNS_6TensorES4_S4_lNS_14AccumulateTypeIT0_Lb1EE4typeES8_NS0_13TensorArgTypeES9_S9_EUllE_EEvNS0_6detail10TensorInfoIT_T1_EESF_NSC_IKS6_SE_EElS8_S8_SE_T6_.num_named_barrier, 0
	.set _ZN2at4cuda17kernelHistogram1DIfllLi1ELi2ELin1ELNS0_23CUDAHistogramMemoryTypeE0EZNS0_21CUDA_tensor_histogramIflLb1EEEbNS_6TensorES4_S4_lNS_14AccumulateTypeIT0_Lb1EE4typeES8_NS0_13TensorArgTypeES9_S9_EUllE_EEvNS0_6detail10TensorInfoIT_T1_EESF_NSC_IKS6_SE_EElS8_S8_SE_T6_.private_seg_size, 0
	.set _ZN2at4cuda17kernelHistogram1DIfllLi1ELi2ELin1ELNS0_23CUDAHistogramMemoryTypeE0EZNS0_21CUDA_tensor_histogramIflLb1EEEbNS_6TensorES4_S4_lNS_14AccumulateTypeIT0_Lb1EE4typeES8_NS0_13TensorArgTypeES9_S9_EUllE_EEvNS0_6detail10TensorInfoIT_T1_EESF_NSC_IKS6_SE_EElS8_S8_SE_T6_.uses_vcc, 1
	.set _ZN2at4cuda17kernelHistogram1DIfllLi1ELi2ELin1ELNS0_23CUDAHistogramMemoryTypeE0EZNS0_21CUDA_tensor_histogramIflLb1EEEbNS_6TensorES4_S4_lNS_14AccumulateTypeIT0_Lb1EE4typeES8_NS0_13TensorArgTypeES9_S9_EUllE_EEvNS0_6detail10TensorInfoIT_T1_EESF_NSC_IKS6_SE_EElS8_S8_SE_T6_.uses_flat_scratch, 0
	.set _ZN2at4cuda17kernelHistogram1DIfllLi1ELi2ELin1ELNS0_23CUDAHistogramMemoryTypeE0EZNS0_21CUDA_tensor_histogramIflLb1EEEbNS_6TensorES4_S4_lNS_14AccumulateTypeIT0_Lb1EE4typeES8_NS0_13TensorArgTypeES9_S9_EUllE_EEvNS0_6detail10TensorInfoIT_T1_EESF_NSC_IKS6_SE_EElS8_S8_SE_T6_.has_dyn_sized_stack, 0
	.set _ZN2at4cuda17kernelHistogram1DIfllLi1ELi2ELin1ELNS0_23CUDAHistogramMemoryTypeE0EZNS0_21CUDA_tensor_histogramIflLb1EEEbNS_6TensorES4_S4_lNS_14AccumulateTypeIT0_Lb1EE4typeES8_NS0_13TensorArgTypeES9_S9_EUllE_EEvNS0_6detail10TensorInfoIT_T1_EESF_NSC_IKS6_SE_EElS8_S8_SE_T6_.has_recursion, 0
	.set _ZN2at4cuda17kernelHistogram1DIfllLi1ELi2ELin1ELNS0_23CUDAHistogramMemoryTypeE0EZNS0_21CUDA_tensor_histogramIflLb1EEEbNS_6TensorES4_S4_lNS_14AccumulateTypeIT0_Lb1EE4typeES8_NS0_13TensorArgTypeES9_S9_EUllE_EEvNS0_6detail10TensorInfoIT_T1_EESF_NSC_IKS6_SE_EElS8_S8_SE_T6_.has_indirect_call, 0
	.section	.AMDGPU.csdata,"",@progbits
; Kernel info:
; codeLenInByte = 2436
; TotalNumSgprs: 60
; NumVgprs: 22
; ScratchSize: 0
; MemoryBound: 0
; FloatMode: 240
; IeeeMode: 1
; LDSByteSize: 0 bytes/workgroup (compile time only)
; SGPRBlocks: 7
; VGPRBlocks: 5
; NumSGPRsForWavesPerEU: 60
; NumVGPRsForWavesPerEU: 22
; Occupancy: 10
; WaveLimiterHint : 1
; COMPUTE_PGM_RSRC2:SCRATCH_EN: 0
; COMPUTE_PGM_RSRC2:USER_SGPR: 6
; COMPUTE_PGM_RSRC2:TRAP_HANDLER: 0
; COMPUTE_PGM_RSRC2:TGID_X_EN: 1
; COMPUTE_PGM_RSRC2:TGID_Y_EN: 0
; COMPUTE_PGM_RSRC2:TGID_Z_EN: 0
; COMPUTE_PGM_RSRC2:TIDIG_COMP_CNT: 0
	.section	.text._ZN2at4cuda17kernelHistogram1DIfllLi1ELi2ELin1ELNS0_23CUDAHistogramMemoryTypeE1EZNS0_21CUDA_tensor_histogramIflLb1EEEbNS_6TensorES4_S4_lNS_14AccumulateTypeIT0_Lb1EE4typeES8_NS0_13TensorArgTypeES9_S9_EUllE_EEvNS0_6detail10TensorInfoIT_T1_EESF_NSC_IKS6_SE_EElS8_S8_SE_T6_,"axG",@progbits,_ZN2at4cuda17kernelHistogram1DIfllLi1ELi2ELin1ELNS0_23CUDAHistogramMemoryTypeE1EZNS0_21CUDA_tensor_histogramIflLb1EEEbNS_6TensorES4_S4_lNS_14AccumulateTypeIT0_Lb1EE4typeES8_NS0_13TensorArgTypeES9_S9_EUllE_EEvNS0_6detail10TensorInfoIT_T1_EESF_NSC_IKS6_SE_EElS8_S8_SE_T6_,comdat
	.protected	_ZN2at4cuda17kernelHistogram1DIfllLi1ELi2ELin1ELNS0_23CUDAHistogramMemoryTypeE1EZNS0_21CUDA_tensor_histogramIflLb1EEEbNS_6TensorES4_S4_lNS_14AccumulateTypeIT0_Lb1EE4typeES8_NS0_13TensorArgTypeES9_S9_EUllE_EEvNS0_6detail10TensorInfoIT_T1_EESF_NSC_IKS6_SE_EElS8_S8_SE_T6_ ; -- Begin function _ZN2at4cuda17kernelHistogram1DIfllLi1ELi2ELin1ELNS0_23CUDAHistogramMemoryTypeE1EZNS0_21CUDA_tensor_histogramIflLb1EEEbNS_6TensorES4_S4_lNS_14AccumulateTypeIT0_Lb1EE4typeES8_NS0_13TensorArgTypeES9_S9_EUllE_EEvNS0_6detail10TensorInfoIT_T1_EESF_NSC_IKS6_SE_EElS8_S8_SE_T6_
	.globl	_ZN2at4cuda17kernelHistogram1DIfllLi1ELi2ELin1ELNS0_23CUDAHistogramMemoryTypeE1EZNS0_21CUDA_tensor_histogramIflLb1EEEbNS_6TensorES4_S4_lNS_14AccumulateTypeIT0_Lb1EE4typeES8_NS0_13TensorArgTypeES9_S9_EUllE_EEvNS0_6detail10TensorInfoIT_T1_EESF_NSC_IKS6_SE_EElS8_S8_SE_T6_
	.p2align	8
	.type	_ZN2at4cuda17kernelHistogram1DIfllLi1ELi2ELin1ELNS0_23CUDAHistogramMemoryTypeE1EZNS0_21CUDA_tensor_histogramIflLb1EEEbNS_6TensorES4_S4_lNS_14AccumulateTypeIT0_Lb1EE4typeES8_NS0_13TensorArgTypeES9_S9_EUllE_EEvNS0_6detail10TensorInfoIT_T1_EESF_NSC_IKS6_SE_EElS8_S8_SE_T6_,@function
_ZN2at4cuda17kernelHistogram1DIfllLi1ELi2ELin1ELNS0_23CUDAHistogramMemoryTypeE1EZNS0_21CUDA_tensor_histogramIflLb1EEEbNS_6TensorES4_S4_lNS_14AccumulateTypeIT0_Lb1EE4typeES8_NS0_13TensorArgTypeES9_S9_EUllE_EEvNS0_6detail10TensorInfoIT_T1_EESF_NSC_IKS6_SE_EElS8_S8_SE_T6_: ; @_ZN2at4cuda17kernelHistogram1DIfllLi1ELi2ELin1ELNS0_23CUDAHistogramMemoryTypeE1EZNS0_21CUDA_tensor_histogramIflLb1EEEbNS_6TensorES4_S4_lNS_14AccumulateTypeIT0_Lb1EE4typeES8_NS0_13TensorArgTypeES9_S9_EUllE_EEvNS0_6detail10TensorInfoIT_T1_EESF_NSC_IKS6_SE_EElS8_S8_SE_T6_
; %bb.0:
	s_load_dword s2, s[4:5], 0x6ac
	s_load_dwordx8 s[8:15], s[4:5], 0x4e0
	s_add_u32 s0, s4, 0x6a0
	s_addc_u32 s1, s5, 0
	v_mov_b32_e32 v2, 0
	s_waitcnt lgkmcnt(0)
	s_and_b32 s2, s2, 0xffff
	s_mul_i32 s6, s6, s2
	v_add_u32_e32 v0, s6, v0
	v_mov_b32_e32 v1, v2
	v_cmp_gt_i64_e32 vcc, s[14:15], v[0:1]
	s_and_saveexec_b64 s[6:7], vcc
	s_cbranch_execz .LBB37_17
; %bb.1:
	s_load_dwordx2 s[6:7], s[4:5], 0x5d0
	s_load_dword s26, s[4:5], 0x4d8
	s_load_dwordx2 s[16:17], s[4:5], 0x500
	s_load_dword s3, s[0:1], 0x0
	s_add_u32 s27, s4, 0x340
	s_addc_u32 s28, s5, 0
	s_waitcnt lgkmcnt(0)
	s_cmp_gt_i32 s26, 1
	s_cselect_b64 s[0:1], -1, 0
	s_load_dwordx2 s[18:19], s[4:5], 0x0
	s_load_dwordx2 s[20:21], s[4:5], 0xd0
	;; [unrolled: 1-line block ×4, first 2 shown]
	s_sub_u32 s33, s12, s10
	s_subb_u32 s40, s13, s11
	s_mul_i32 s41, s3, s2
	s_mov_b32 s3, 0
	s_add_i32 s2, s26, -1
	s_add_i32 s42, s26, 1
	s_lshl_b64 s[2:3], s[2:3], 3
	s_add_u32 s2, s27, s2
	s_addc_u32 s3, s28, s3
	s_add_u32 s4, s2, 8
	v_cndmask_b32_e64 v3, 0, 1, s[0:1]
	s_addc_u32 s5, s3, 0
	s_mov_b64 s[26:27], 0
	v_cmp_ne_u32_e64 s[0:1], 1, v3
	s_branch .LBB37_3
.LBB37_2:                               ;   in Loop: Header=BB37_3 Depth=1
	s_or_b64 exec, exec, s[28:29]
	v_add_co_u32_e32 v0, vcc, s41, v0
	v_addc_co_u32_e32 v1, vcc, 0, v1, vcc
	v_cmp_le_i64_e32 vcc, s[14:15], v[0:1]
	s_or_b64 s[26:27], vcc, s[26:27]
	s_andn2_b64 exec, exec, s[26:27]
	s_cbranch_execz .LBB37_17
.LBB37_3:                               ; =>This Loop Header: Depth=1
                                        ;     Child Loop BB37_4 Depth 2
                                        ;     Child Loop BB37_16 Depth 2
	v_mov_b32_e32 v4, 0
	v_mov_b32_e32 v7, v1
	;; [unrolled: 1-line block ×4, first 2 shown]
	s_and_b64 vcc, exec, s[0:1]
	s_mov_b64 s[28:29], s[4:5]
	s_mov_b32 s43, s42
	v_mov_b32_e32 v6, v0
	v_mov_b32_e32 v8, v0
	s_cbranch_vccnz .LBB37_10
.LBB37_4:                               ;   Parent Loop BB37_3 Depth=1
                                        ; =>  This Inner Loop Header: Depth=2
	s_load_dwordx2 s[30:31], s[28:29], 0x0
                                        ; implicit-def: $vgpr8_vgpr9
	s_waitcnt lgkmcnt(0)
	v_or_b32_e32 v3, s31, v7
	v_cmp_ne_u64_e32 vcc, 0, v[2:3]
	s_and_saveexec_b64 s[2:3], vcc
	s_xor_b64 s[34:35], exec, s[2:3]
	s_cbranch_execz .LBB37_6
; %bb.5:                                ;   in Loop: Header=BB37_4 Depth=2
	s_ashr_i32 s36, s31, 31
	s_add_u32 s2, s30, s36
	s_mov_b32 s37, s36
	s_addc_u32 s3, s31, s36
	s_xor_b64 s[38:39], s[2:3], s[36:37]
	v_cvt_f32_u32_e32 v3, s38
	v_cvt_f32_u32_e32 v8, s39
	s_sub_u32 s37, 0, s38
	s_subb_u32 s44, 0, s39
	v_mac_f32_e32 v3, 0x4f800000, v8
	v_rcp_f32_e32 v3, v3
	v_mul_f32_e32 v3, 0x5f7ffffc, v3
	v_mul_f32_e32 v8, 0x2f800000, v3
	v_trunc_f32_e32 v8, v8
	v_mac_f32_e32 v3, 0xcf800000, v8
	v_cvt_u32_f32_e32 v8, v8
	v_cvt_u32_f32_e32 v3, v3
	v_readfirstlane_b32 s45, v8
	v_readfirstlane_b32 s2, v3
	s_mul_i32 s3, s37, s45
	s_mul_hi_u32 s47, s37, s2
	s_mul_i32 s46, s44, s2
	s_add_i32 s3, s47, s3
	s_add_i32 s3, s3, s46
	s_mul_i32 s48, s37, s2
	s_mul_i32 s47, s2, s3
	s_mul_hi_u32 s49, s2, s48
	s_mul_hi_u32 s46, s2, s3
	s_add_u32 s47, s49, s47
	s_addc_u32 s46, 0, s46
	s_mul_hi_u32 s50, s45, s48
	s_mul_i32 s48, s45, s48
	s_add_u32 s47, s47, s48
	s_mul_hi_u32 s49, s45, s3
	s_addc_u32 s46, s46, s50
	s_addc_u32 s47, s49, 0
	s_mul_i32 s3, s45, s3
	s_add_u32 s3, s46, s3
	s_addc_u32 s46, 0, s47
	s_add_u32 s47, s2, s3
	s_cselect_b64 s[2:3], -1, 0
	s_cmp_lg_u64 s[2:3], 0
	s_addc_u32 s45, s45, s46
	s_mul_i32 s2, s37, s45
	s_mul_hi_u32 s3, s37, s47
	s_add_i32 s2, s3, s2
	s_mul_i32 s44, s44, s47
	s_add_i32 s2, s2, s44
	s_mul_i32 s37, s37, s47
	s_mul_hi_u32 s44, s45, s37
	s_mul_i32 s46, s45, s37
	s_mul_i32 s49, s47, s2
	s_mul_hi_u32 s37, s47, s37
	s_mul_hi_u32 s48, s47, s2
	s_add_u32 s37, s37, s49
	s_addc_u32 s48, 0, s48
	s_add_u32 s37, s37, s46
	s_mul_hi_u32 s3, s45, s2
	s_addc_u32 s37, s48, s44
	s_addc_u32 s3, s3, 0
	s_mul_i32 s2, s45, s2
	s_add_u32 s2, s37, s2
	s_addc_u32 s37, 0, s3
	s_add_u32 s44, s47, s2
	s_cselect_b64 s[2:3], -1, 0
	v_ashrrev_i32_e32 v3, 31, v7
	s_cmp_lg_u64 s[2:3], 0
	v_add_co_u32_e32 v8, vcc, v6, v3
	s_addc_u32 s37, s45, s37
	v_xor_b32_e32 v12, v8, v3
	v_mad_u64_u32 v[8:9], s[2:3], v12, s37, 0
	v_mul_hi_u32 v11, v12, s44
	v_addc_co_u32_e32 v10, vcc, v7, v3, vcc
	v_xor_b32_e32 v13, v10, v3
	v_add_co_u32_e32 v14, vcc, v11, v8
	v_addc_co_u32_e32 v15, vcc, 0, v9, vcc
	v_mad_u64_u32 v[8:9], s[2:3], v13, s44, 0
	v_mad_u64_u32 v[10:11], s[2:3], v13, s37, 0
	v_add_co_u32_e32 v8, vcc, v14, v8
	v_addc_co_u32_e32 v8, vcc, v15, v9, vcc
	v_addc_co_u32_e32 v9, vcc, 0, v11, vcc
	v_add_co_u32_e32 v10, vcc, v8, v10
	v_addc_co_u32_e32 v11, vcc, 0, v9, vcc
	v_mul_lo_u32 v14, s39, v10
	v_mul_lo_u32 v15, s38, v11
	v_mad_u64_u32 v[8:9], s[2:3], s38, v10, 0
	v_xor_b32_e32 v3, s36, v3
	v_add3_u32 v9, v9, v15, v14
	v_sub_u32_e32 v14, v13, v9
	v_mov_b32_e32 v15, s39
	v_sub_co_u32_e32 v8, vcc, v12, v8
	v_subb_co_u32_e64 v12, s[2:3], v14, v15, vcc
	v_subrev_co_u32_e64 v14, s[2:3], s38, v8
	v_subbrev_co_u32_e64 v12, s[2:3], 0, v12, s[2:3]
	v_cmp_le_u32_e64 s[2:3], s39, v12
	v_cndmask_b32_e64 v15, 0, -1, s[2:3]
	v_cmp_le_u32_e64 s[2:3], s38, v14
	v_cndmask_b32_e64 v14, 0, -1, s[2:3]
	v_cmp_eq_u32_e64 s[2:3], s39, v12
	v_cndmask_b32_e64 v12, v15, v14, s[2:3]
	v_add_co_u32_e64 v14, s[2:3], 2, v10
	v_subb_co_u32_e32 v9, vcc, v13, v9, vcc
	v_addc_co_u32_e64 v15, s[2:3], 0, v11, s[2:3]
	v_cmp_le_u32_e32 vcc, s39, v9
	v_add_co_u32_e64 v16, s[2:3], 1, v10
	v_cndmask_b32_e64 v13, 0, -1, vcc
	v_cmp_le_u32_e32 vcc, s38, v8
	v_addc_co_u32_e64 v17, s[2:3], 0, v11, s[2:3]
	v_cndmask_b32_e64 v8, 0, -1, vcc
	v_cmp_eq_u32_e32 vcc, s39, v9
	v_cmp_ne_u32_e64 s[2:3], 0, v12
	v_cndmask_b32_e32 v8, v13, v8, vcc
	v_cndmask_b32_e64 v12, v17, v15, s[2:3]
	v_cmp_ne_u32_e32 vcc, 0, v8
	v_cndmask_b32_e64 v9, v16, v14, s[2:3]
	v_cndmask_b32_e32 v8, v11, v12, vcc
	v_cndmask_b32_e32 v9, v10, v9, vcc
	v_xor_b32_e32 v10, v8, v3
	v_xor_b32_e32 v8, v9, v3
	v_sub_co_u32_e32 v8, vcc, v8, v3
	v_subb_co_u32_e32 v9, vcc, v10, v3, vcc
.LBB37_6:                               ;   in Loop: Header=BB37_4 Depth=2
	s_andn2_saveexec_b64 s[2:3], s[34:35]
	s_cbranch_execz .LBB37_8
; %bb.7:                                ;   in Loop: Header=BB37_4 Depth=2
	v_cvt_f32_u32_e32 v3, s30
	s_sub_i32 s34, 0, s30
	v_rcp_iflag_f32_e32 v3, v3
	v_mul_f32_e32 v3, 0x4f7ffffe, v3
	v_cvt_u32_f32_e32 v3, v3
	v_mul_lo_u32 v8, s34, v3
	v_mul_hi_u32 v8, v3, v8
	v_add_u32_e32 v3, v3, v8
	v_mul_hi_u32 v3, v6, v3
	v_mul_lo_u32 v8, v3, s30
	v_add_u32_e32 v9, 1, v3
	v_sub_u32_e32 v8, v6, v8
	v_subrev_u32_e32 v10, s30, v8
	v_cmp_le_u32_e32 vcc, s30, v8
	v_cndmask_b32_e32 v8, v8, v10, vcc
	v_cndmask_b32_e32 v3, v3, v9, vcc
	v_add_u32_e32 v9, 1, v3
	v_cmp_le_u32_e32 vcc, s30, v8
	v_cndmask_b32_e32 v8, v3, v9, vcc
	v_mov_b32_e32 v9, v2
.LBB37_8:                               ;   in Loop: Header=BB37_4 Depth=2
	s_or_b64 exec, exec, s[2:3]
	v_mul_lo_u32 v3, v9, s30
	v_mul_lo_u32 v12, v8, s31
	v_mad_u64_u32 v[10:11], s[2:3], v8, s30, 0
	s_load_dwordx2 s[2:3], s[28:29], 0xc8
	s_add_i32 s43, s43, -1
	v_add3_u32 v3, v11, v12, v3
	v_sub_co_u32_e32 v6, vcc, v6, v10
	v_subb_co_u32_e32 v3, vcc, v7, v3, vcc
	s_waitcnt lgkmcnt(0)
	v_mul_lo_u32 v3, s2, v3
	v_mul_lo_u32 v7, s3, v6
	v_mad_u64_u32 v[4:5], s[2:3], s2, v6, v[4:5]
	s_add_u32 s28, s28, -8
	s_addc_u32 s29, s29, -1
	s_cmp_gt_u32 s43, 2
	v_add3_u32 v5, v7, v5, v3
	s_cbranch_scc0 .LBB37_10
; %bb.9:                                ;   in Loop: Header=BB37_4 Depth=2
	v_mov_b32_e32 v6, v8
	v_mov_b32_e32 v7, v9
	s_branch .LBB37_4
.LBB37_10:                              ;   in Loop: Header=BB37_3 Depth=1
	s_waitcnt lgkmcnt(0)
	v_mul_lo_u32 v3, s23, v8
	v_mul_lo_u32 v9, s22, v9
	v_mad_u64_u32 v[6:7], s[2:3], s22, v8, 0
	v_add3_u32 v7, v7, v9, v3
	v_lshlrev_b64 v[6:7], 3, v[6:7]
	v_mov_b32_e32 v3, s25
	v_add_co_u32_e32 v6, vcc, s24, v6
	v_addc_co_u32_e32 v7, vcc, v3, v7, vcc
	v_lshlrev_b64 v[3:4], 3, v[4:5]
	v_add_co_u32_e32 v3, vcc, v6, v3
	v_addc_co_u32_e32 v4, vcc, v7, v4, vcc
	global_load_dwordx2 v[3:4], v[3:4], off
	s_waitcnt vmcnt(0)
	v_cmp_le_i64_e32 vcc, s[10:11], v[3:4]
	v_cmp_ge_i64_e64 s[2:3], s[12:13], v[3:4]
	s_and_b64 s[2:3], vcc, s[2:3]
	s_and_saveexec_b64 s[28:29], s[2:3]
	s_cbranch_execz .LBB37_2
; %bb.11:                               ;   in Loop: Header=BB37_3 Depth=1
	v_mov_b32_e32 v5, s11
	v_subrev_co_u32_e32 v3, vcc, s10, v3
	v_subb_co_u32_e32 v4, vcc, v4, v5, vcc
	v_mul_lo_u32 v6, v4, s8
	v_mul_lo_u32 v7, v3, s9
	v_mad_u64_u32 v[4:5], s[2:3], v3, s8, 0
	v_add3_u32 v5, v5, v7, v6
	v_or_b32_e32 v3, s40, v5
	v_cmp_ne_u64_e32 vcc, 0, v[2:3]
                                        ; implicit-def: $vgpr6_vgpr7
	s_and_saveexec_b64 s[2:3], vcc
	s_xor_b64 s[30:31], exec, s[2:3]
	s_cbranch_execz .LBB37_13
; %bb.12:                               ;   in Loop: Header=BB37_3 Depth=1
	s_ashr_i32 s34, s40, 31
	s_add_u32 s2, s33, s34
	s_mov_b32 s35, s34
	s_addc_u32 s3, s40, s34
	s_xor_b64 s[36:37], s[2:3], s[34:35]
	v_cvt_f32_u32_e32 v3, s36
	v_cvt_f32_u32_e32 v6, s37
	s_sub_u32 s35, 0, s36
	s_subb_u32 s38, 0, s37
	v_ashrrev_i32_e32 v7, 31, v5
	v_mac_f32_e32 v3, 0x4f800000, v6
	v_rcp_f32_e32 v3, v3
	v_mul_f32_e32 v3, 0x5f7ffffc, v3
	v_mul_f32_e32 v6, 0x2f800000, v3
	v_trunc_f32_e32 v6, v6
	v_mac_f32_e32 v3, 0xcf800000, v6
	v_cvt_u32_f32_e32 v6, v6
	v_cvt_u32_f32_e32 v3, v3
	v_readfirstlane_b32 s39, v6
	v_readfirstlane_b32 s2, v3
	s_mul_i32 s3, s35, s39
	s_mul_hi_u32 s44, s35, s2
	s_mul_i32 s43, s38, s2
	s_add_i32 s3, s44, s3
	s_add_i32 s3, s3, s43
	s_mul_i32 s45, s35, s2
	s_mul_i32 s44, s2, s3
	s_mul_hi_u32 s46, s2, s45
	s_mul_hi_u32 s43, s2, s3
	s_add_u32 s44, s46, s44
	s_addc_u32 s43, 0, s43
	s_mul_hi_u32 s47, s39, s45
	s_mul_i32 s45, s39, s45
	s_add_u32 s44, s44, s45
	s_mul_hi_u32 s46, s39, s3
	s_addc_u32 s43, s43, s47
	s_addc_u32 s44, s46, 0
	s_mul_i32 s3, s39, s3
	s_add_u32 s3, s43, s3
	s_addc_u32 s43, 0, s44
	s_add_u32 s44, s2, s3
	s_cselect_b64 s[2:3], -1, 0
	s_cmp_lg_u64 s[2:3], 0
	s_addc_u32 s39, s39, s43
	s_mul_i32 s2, s35, s39
	s_mul_hi_u32 s3, s35, s44
	s_add_i32 s2, s3, s2
	s_mul_i32 s38, s38, s44
	s_add_i32 s2, s2, s38
	s_mul_i32 s35, s35, s44
	s_mul_hi_u32 s38, s39, s35
	s_mul_i32 s43, s39, s35
	s_mul_i32 s46, s44, s2
	s_mul_hi_u32 s35, s44, s35
	s_mul_hi_u32 s45, s44, s2
	s_add_u32 s35, s35, s46
	s_addc_u32 s45, 0, s45
	s_add_u32 s35, s35, s43
	s_mul_hi_u32 s3, s39, s2
	s_addc_u32 s35, s45, s38
	s_addc_u32 s3, s3, 0
	s_mul_i32 s2, s39, s2
	s_add_u32 s2, s35, s2
	s_addc_u32 s35, 0, s3
	s_add_u32 s38, s44, s2
	s_cselect_b64 s[2:3], -1, 0
	s_cmp_lg_u64 s[2:3], 0
	v_add_co_u32_e32 v3, vcc, v4, v7
	s_addc_u32 s35, s39, s35
	v_xor_b32_e32 v8, v3, v7
	v_mad_u64_u32 v[3:4], s[2:3], v8, s35, 0
	v_mul_hi_u32 v6, v8, s38
	v_addc_co_u32_e32 v5, vcc, v5, v7, vcc
	v_xor_b32_e32 v9, v5, v7
	v_add_co_u32_e32 v10, vcc, v6, v3
	v_addc_co_u32_e32 v11, vcc, 0, v4, vcc
	v_mad_u64_u32 v[3:4], s[2:3], v9, s38, 0
	v_mad_u64_u32 v[5:6], s[2:3], v9, s35, 0
	v_add_co_u32_e32 v3, vcc, v10, v3
	v_addc_co_u32_e32 v3, vcc, v11, v4, vcc
	v_addc_co_u32_e32 v4, vcc, 0, v6, vcc
	v_add_co_u32_e32 v5, vcc, v3, v5
	v_addc_co_u32_e32 v3, vcc, 0, v4, vcc
	v_mul_lo_u32 v6, s37, v5
	v_mul_lo_u32 v10, s36, v3
	v_mad_u64_u32 v[3:4], s[2:3], s36, v5, 0
	v_add3_u32 v4, v4, v10, v6
	v_sub_u32_e32 v6, v9, v4
	v_mov_b32_e32 v10, s37
	v_sub_co_u32_e32 v3, vcc, v8, v3
	v_subb_co_u32_e64 v6, s[2:3], v6, v10, vcc
	v_subrev_co_u32_e64 v8, s[2:3], s36, v3
	v_subbrev_co_u32_e64 v6, s[2:3], 0, v6, s[2:3]
	v_cmp_le_u32_e64 s[2:3], s37, v6
	v_subb_co_u32_e32 v4, vcc, v9, v4, vcc
	v_cndmask_b32_e64 v10, 0, -1, s[2:3]
	v_cmp_le_u32_e64 s[2:3], s36, v8
	v_cmp_le_u32_e32 vcc, s37, v4
	v_cndmask_b32_e64 v8, 0, -1, s[2:3]
	v_cmp_eq_u32_e64 s[2:3], s37, v6
	v_cndmask_b32_e64 v9, 0, -1, vcc
	v_cmp_le_u32_e32 vcc, s36, v3
	v_cndmask_b32_e64 v6, v10, v8, s[2:3]
	v_cndmask_b32_e64 v3, 0, -1, vcc
	v_cmp_eq_u32_e32 vcc, s37, v4
	v_add_co_u32_e64 v8, s[2:3], 2, v5
	v_add_co_u32_e64 v10, s[2:3], 1, v5
	v_cndmask_b32_e32 v3, v9, v3, vcc
	v_cmp_ne_u32_e32 vcc, 0, v6
	v_cndmask_b32_e32 v4, v10, v8, vcc
	v_cmp_ne_u32_e32 vcc, 0, v3
	v_cndmask_b32_e32 v3, v5, v4, vcc
	v_xor_b32_e32 v4, s34, v7
	v_xor_b32_e32 v3, v3, v4
	v_sub_co_u32_e32 v6, vcc, v3, v4
                                        ; implicit-def: $vgpr4_vgpr5
.LBB37_13:                              ;   in Loop: Header=BB37_3 Depth=1
	s_andn2_saveexec_b64 s[2:3], s[30:31]
	s_cbranch_execz .LBB37_15
; %bb.14:                               ;   in Loop: Header=BB37_3 Depth=1
	v_cvt_f32_u32_e32 v3, s33
	s_sub_i32 s30, 0, s33
	v_rcp_iflag_f32_e32 v3, v3
	v_mul_f32_e32 v3, 0x4f7ffffe, v3
	v_cvt_u32_f32_e32 v3, v3
	v_mul_lo_u32 v5, s30, v3
	v_mul_hi_u32 v5, v3, v5
	v_add_u32_e32 v3, v3, v5
	v_mul_hi_u32 v3, v4, v3
	v_mul_lo_u32 v5, v3, s33
	v_add_u32_e32 v6, 1, v3
	v_sub_u32_e32 v4, v4, v5
	v_subrev_u32_e32 v5, s33, v4
	v_cmp_le_u32_e32 vcc, s33, v4
	v_cndmask_b32_e32 v4, v4, v5, vcc
	v_cndmask_b32_e32 v3, v3, v6, vcc
	v_add_u32_e32 v5, 1, v3
	v_cmp_le_u32_e32 vcc, s33, v4
	v_cndmask_b32_e32 v6, v3, v5, vcc
.LBB37_15:                              ;   in Loop: Header=BB37_3 Depth=1
	s_or_b64 exec, exec, s[2:3]
	v_ashrrev_i32_e32 v7, 31, v6
	v_cmp_eq_u64_e32 vcc, s[8:9], v[6:7]
	v_mul_lo_u32 v8, v1, s6
	v_cndmask_b32_e64 v3, 0, 1, vcc
	v_sub_co_u32_e32 v3, vcc, v6, v3
	v_subbrev_co_u32_e32 v4, vcc, 0, v7, vcc
	v_mul_lo_u32 v5, v4, s20
	v_mul_lo_u32 v6, v3, s21
	v_mad_u64_u32 v[3:4], s[2:3], v3, s20, 0
	v_mul_lo_u32 v9, v0, s7
	v_mov_b32_e32 v7, s19
	v_add3_u32 v4, v4, v6, v5
	v_mad_u64_u32 v[5:6], s[2:3], v0, s6, 0
	v_lshlrev_b64 v[3:4], 2, v[3:4]
	s_mov_b64 s[2:3], 0
	v_add3_u32 v6, v6, v9, v8
	v_add_co_u32_e32 v3, vcc, s18, v3
	v_lshlrev_b64 v[5:6], 2, v[5:6]
	v_addc_co_u32_e32 v4, vcc, v7, v4, vcc
	v_mov_b32_e32 v7, s17
	v_add_co_u32_e32 v8, vcc, s16, v5
	v_addc_co_u32_e32 v9, vcc, v7, v6, vcc
	global_load_dword v7, v[8:9], off
	global_load_dword v6, v[3:4], off
.LBB37_16:                              ;   Parent Loop BB37_3 Depth=1
                                        ; =>  This Inner Loop Header: Depth=2
	s_waitcnt vmcnt(0)
	v_add_f32_e32 v5, v6, v7
	global_atomic_cmpswap v5, v[3:4], v[5:6], off glc
	s_waitcnt vmcnt(0)
	v_cmp_eq_u32_e32 vcc, v5, v6
	s_or_b64 s[2:3], vcc, s[2:3]
	v_mov_b32_e32 v6, v5
	s_andn2_b64 exec, exec, s[2:3]
	s_cbranch_execnz .LBB37_16
	s_branch .LBB37_2
.LBB37_17:
	s_endpgm
	.section	.rodata,"a",@progbits
	.p2align	6, 0x0
	.amdhsa_kernel _ZN2at4cuda17kernelHistogram1DIfllLi1ELi2ELin1ELNS0_23CUDAHistogramMemoryTypeE1EZNS0_21CUDA_tensor_histogramIflLb1EEEbNS_6TensorES4_S4_lNS_14AccumulateTypeIT0_Lb1EE4typeES8_NS0_13TensorArgTypeES9_S9_EUllE_EEvNS0_6detail10TensorInfoIT_T1_EESF_NSC_IKS6_SE_EElS8_S8_SE_T6_
		.amdhsa_group_segment_fixed_size 0
		.amdhsa_private_segment_fixed_size 0
		.amdhsa_kernarg_size 1952
		.amdhsa_user_sgpr_count 6
		.amdhsa_user_sgpr_private_segment_buffer 1
		.amdhsa_user_sgpr_dispatch_ptr 0
		.amdhsa_user_sgpr_queue_ptr 0
		.amdhsa_user_sgpr_kernarg_segment_ptr 1
		.amdhsa_user_sgpr_dispatch_id 0
		.amdhsa_user_sgpr_flat_scratch_init 0
		.amdhsa_user_sgpr_private_segment_size 0
		.amdhsa_uses_dynamic_stack 0
		.amdhsa_system_sgpr_private_segment_wavefront_offset 0
		.amdhsa_system_sgpr_workgroup_id_x 1
		.amdhsa_system_sgpr_workgroup_id_y 0
		.amdhsa_system_sgpr_workgroup_id_z 0
		.amdhsa_system_sgpr_workgroup_info 0
		.amdhsa_system_vgpr_workitem_id 0
		.amdhsa_next_free_vgpr 18
		.amdhsa_next_free_sgpr 51
		.amdhsa_reserve_vcc 1
		.amdhsa_reserve_flat_scratch 0
		.amdhsa_float_round_mode_32 0
		.amdhsa_float_round_mode_16_64 0
		.amdhsa_float_denorm_mode_32 3
		.amdhsa_float_denorm_mode_16_64 3
		.amdhsa_dx10_clamp 1
		.amdhsa_ieee_mode 1
		.amdhsa_fp16_overflow 0
		.amdhsa_exception_fp_ieee_invalid_op 0
		.amdhsa_exception_fp_denorm_src 0
		.amdhsa_exception_fp_ieee_div_zero 0
		.amdhsa_exception_fp_ieee_overflow 0
		.amdhsa_exception_fp_ieee_underflow 0
		.amdhsa_exception_fp_ieee_inexact 0
		.amdhsa_exception_int_div_zero 0
	.end_amdhsa_kernel
	.section	.text._ZN2at4cuda17kernelHistogram1DIfllLi1ELi2ELin1ELNS0_23CUDAHistogramMemoryTypeE1EZNS0_21CUDA_tensor_histogramIflLb1EEEbNS_6TensorES4_S4_lNS_14AccumulateTypeIT0_Lb1EE4typeES8_NS0_13TensorArgTypeES9_S9_EUllE_EEvNS0_6detail10TensorInfoIT_T1_EESF_NSC_IKS6_SE_EElS8_S8_SE_T6_,"axG",@progbits,_ZN2at4cuda17kernelHistogram1DIfllLi1ELi2ELin1ELNS0_23CUDAHistogramMemoryTypeE1EZNS0_21CUDA_tensor_histogramIflLb1EEEbNS_6TensorES4_S4_lNS_14AccumulateTypeIT0_Lb1EE4typeES8_NS0_13TensorArgTypeES9_S9_EUllE_EEvNS0_6detail10TensorInfoIT_T1_EESF_NSC_IKS6_SE_EElS8_S8_SE_T6_,comdat
.Lfunc_end37:
	.size	_ZN2at4cuda17kernelHistogram1DIfllLi1ELi2ELin1ELNS0_23CUDAHistogramMemoryTypeE1EZNS0_21CUDA_tensor_histogramIflLb1EEEbNS_6TensorES4_S4_lNS_14AccumulateTypeIT0_Lb1EE4typeES8_NS0_13TensorArgTypeES9_S9_EUllE_EEvNS0_6detail10TensorInfoIT_T1_EESF_NSC_IKS6_SE_EElS8_S8_SE_T6_, .Lfunc_end37-_ZN2at4cuda17kernelHistogram1DIfllLi1ELi2ELin1ELNS0_23CUDAHistogramMemoryTypeE1EZNS0_21CUDA_tensor_histogramIflLb1EEEbNS_6TensorES4_S4_lNS_14AccumulateTypeIT0_Lb1EE4typeES8_NS0_13TensorArgTypeES9_S9_EUllE_EEvNS0_6detail10TensorInfoIT_T1_EESF_NSC_IKS6_SE_EElS8_S8_SE_T6_
                                        ; -- End function
	.set _ZN2at4cuda17kernelHistogram1DIfllLi1ELi2ELin1ELNS0_23CUDAHistogramMemoryTypeE1EZNS0_21CUDA_tensor_histogramIflLb1EEEbNS_6TensorES4_S4_lNS_14AccumulateTypeIT0_Lb1EE4typeES8_NS0_13TensorArgTypeES9_S9_EUllE_EEvNS0_6detail10TensorInfoIT_T1_EESF_NSC_IKS6_SE_EElS8_S8_SE_T6_.num_vgpr, 18
	.set _ZN2at4cuda17kernelHistogram1DIfllLi1ELi2ELin1ELNS0_23CUDAHistogramMemoryTypeE1EZNS0_21CUDA_tensor_histogramIflLb1EEEbNS_6TensorES4_S4_lNS_14AccumulateTypeIT0_Lb1EE4typeES8_NS0_13TensorArgTypeES9_S9_EUllE_EEvNS0_6detail10TensorInfoIT_T1_EESF_NSC_IKS6_SE_EElS8_S8_SE_T6_.num_agpr, 0
	.set _ZN2at4cuda17kernelHistogram1DIfllLi1ELi2ELin1ELNS0_23CUDAHistogramMemoryTypeE1EZNS0_21CUDA_tensor_histogramIflLb1EEEbNS_6TensorES4_S4_lNS_14AccumulateTypeIT0_Lb1EE4typeES8_NS0_13TensorArgTypeES9_S9_EUllE_EEvNS0_6detail10TensorInfoIT_T1_EESF_NSC_IKS6_SE_EElS8_S8_SE_T6_.numbered_sgpr, 51
	.set _ZN2at4cuda17kernelHistogram1DIfllLi1ELi2ELin1ELNS0_23CUDAHistogramMemoryTypeE1EZNS0_21CUDA_tensor_histogramIflLb1EEEbNS_6TensorES4_S4_lNS_14AccumulateTypeIT0_Lb1EE4typeES8_NS0_13TensorArgTypeES9_S9_EUllE_EEvNS0_6detail10TensorInfoIT_T1_EESF_NSC_IKS6_SE_EElS8_S8_SE_T6_.num_named_barrier, 0
	.set _ZN2at4cuda17kernelHistogram1DIfllLi1ELi2ELin1ELNS0_23CUDAHistogramMemoryTypeE1EZNS0_21CUDA_tensor_histogramIflLb1EEEbNS_6TensorES4_S4_lNS_14AccumulateTypeIT0_Lb1EE4typeES8_NS0_13TensorArgTypeES9_S9_EUllE_EEvNS0_6detail10TensorInfoIT_T1_EESF_NSC_IKS6_SE_EElS8_S8_SE_T6_.private_seg_size, 0
	.set _ZN2at4cuda17kernelHistogram1DIfllLi1ELi2ELin1ELNS0_23CUDAHistogramMemoryTypeE1EZNS0_21CUDA_tensor_histogramIflLb1EEEbNS_6TensorES4_S4_lNS_14AccumulateTypeIT0_Lb1EE4typeES8_NS0_13TensorArgTypeES9_S9_EUllE_EEvNS0_6detail10TensorInfoIT_T1_EESF_NSC_IKS6_SE_EElS8_S8_SE_T6_.uses_vcc, 1
	.set _ZN2at4cuda17kernelHistogram1DIfllLi1ELi2ELin1ELNS0_23CUDAHistogramMemoryTypeE1EZNS0_21CUDA_tensor_histogramIflLb1EEEbNS_6TensorES4_S4_lNS_14AccumulateTypeIT0_Lb1EE4typeES8_NS0_13TensorArgTypeES9_S9_EUllE_EEvNS0_6detail10TensorInfoIT_T1_EESF_NSC_IKS6_SE_EElS8_S8_SE_T6_.uses_flat_scratch, 0
	.set _ZN2at4cuda17kernelHistogram1DIfllLi1ELi2ELin1ELNS0_23CUDAHistogramMemoryTypeE1EZNS0_21CUDA_tensor_histogramIflLb1EEEbNS_6TensorES4_S4_lNS_14AccumulateTypeIT0_Lb1EE4typeES8_NS0_13TensorArgTypeES9_S9_EUllE_EEvNS0_6detail10TensorInfoIT_T1_EESF_NSC_IKS6_SE_EElS8_S8_SE_T6_.has_dyn_sized_stack, 0
	.set _ZN2at4cuda17kernelHistogram1DIfllLi1ELi2ELin1ELNS0_23CUDAHistogramMemoryTypeE1EZNS0_21CUDA_tensor_histogramIflLb1EEEbNS_6TensorES4_S4_lNS_14AccumulateTypeIT0_Lb1EE4typeES8_NS0_13TensorArgTypeES9_S9_EUllE_EEvNS0_6detail10TensorInfoIT_T1_EESF_NSC_IKS6_SE_EElS8_S8_SE_T6_.has_recursion, 0
	.set _ZN2at4cuda17kernelHistogram1DIfllLi1ELi2ELin1ELNS0_23CUDAHistogramMemoryTypeE1EZNS0_21CUDA_tensor_histogramIflLb1EEEbNS_6TensorES4_S4_lNS_14AccumulateTypeIT0_Lb1EE4typeES8_NS0_13TensorArgTypeES9_S9_EUllE_EEvNS0_6detail10TensorInfoIT_T1_EESF_NSC_IKS6_SE_EElS8_S8_SE_T6_.has_indirect_call, 0
	.section	.AMDGPU.csdata,"",@progbits
; Kernel info:
; codeLenInByte = 2192
; TotalNumSgprs: 55
; NumVgprs: 18
; ScratchSize: 0
; MemoryBound: 0
; FloatMode: 240
; IeeeMode: 1
; LDSByteSize: 0 bytes/workgroup (compile time only)
; SGPRBlocks: 6
; VGPRBlocks: 4
; NumSGPRsForWavesPerEU: 55
; NumVGPRsForWavesPerEU: 18
; Occupancy: 10
; WaveLimiterHint : 1
; COMPUTE_PGM_RSRC2:SCRATCH_EN: 0
; COMPUTE_PGM_RSRC2:USER_SGPR: 6
; COMPUTE_PGM_RSRC2:TRAP_HANDLER: 0
; COMPUTE_PGM_RSRC2:TGID_X_EN: 1
; COMPUTE_PGM_RSRC2:TGID_Y_EN: 0
; COMPUTE_PGM_RSRC2:TGID_Z_EN: 0
; COMPUTE_PGM_RSRC2:TIDIG_COMP_CNT: 0
	.section	.text._ZN2at4cuda17kernelHistogram1DIfllLi1ELi2ELin1ELNS0_23CUDAHistogramMemoryTypeE0EZNS0_21CUDA_tensor_histogramIflLb1EEEbNS_6TensorES4_S4_lNS_14AccumulateTypeIT0_Lb1EE4typeES8_NS0_13TensorArgTypeES9_S9_EUllE0_EEvNS0_6detail10TensorInfoIT_T1_EESF_NSC_IKS6_SE_EElS8_S8_SE_T6_,"axG",@progbits,_ZN2at4cuda17kernelHistogram1DIfllLi1ELi2ELin1ELNS0_23CUDAHistogramMemoryTypeE0EZNS0_21CUDA_tensor_histogramIflLb1EEEbNS_6TensorES4_S4_lNS_14AccumulateTypeIT0_Lb1EE4typeES8_NS0_13TensorArgTypeES9_S9_EUllE0_EEvNS0_6detail10TensorInfoIT_T1_EESF_NSC_IKS6_SE_EElS8_S8_SE_T6_,comdat
	.protected	_ZN2at4cuda17kernelHistogram1DIfllLi1ELi2ELin1ELNS0_23CUDAHistogramMemoryTypeE0EZNS0_21CUDA_tensor_histogramIflLb1EEEbNS_6TensorES4_S4_lNS_14AccumulateTypeIT0_Lb1EE4typeES8_NS0_13TensorArgTypeES9_S9_EUllE0_EEvNS0_6detail10TensorInfoIT_T1_EESF_NSC_IKS6_SE_EElS8_S8_SE_T6_ ; -- Begin function _ZN2at4cuda17kernelHistogram1DIfllLi1ELi2ELin1ELNS0_23CUDAHistogramMemoryTypeE0EZNS0_21CUDA_tensor_histogramIflLb1EEEbNS_6TensorES4_S4_lNS_14AccumulateTypeIT0_Lb1EE4typeES8_NS0_13TensorArgTypeES9_S9_EUllE0_EEvNS0_6detail10TensorInfoIT_T1_EESF_NSC_IKS6_SE_EElS8_S8_SE_T6_
	.globl	_ZN2at4cuda17kernelHistogram1DIfllLi1ELi2ELin1ELNS0_23CUDAHistogramMemoryTypeE0EZNS0_21CUDA_tensor_histogramIflLb1EEEbNS_6TensorES4_S4_lNS_14AccumulateTypeIT0_Lb1EE4typeES8_NS0_13TensorArgTypeES9_S9_EUllE0_EEvNS0_6detail10TensorInfoIT_T1_EESF_NSC_IKS6_SE_EElS8_S8_SE_T6_
	.p2align	8
	.type	_ZN2at4cuda17kernelHistogram1DIfllLi1ELi2ELin1ELNS0_23CUDAHistogramMemoryTypeE0EZNS0_21CUDA_tensor_histogramIflLb1EEEbNS_6TensorES4_S4_lNS_14AccumulateTypeIT0_Lb1EE4typeES8_NS0_13TensorArgTypeES9_S9_EUllE0_EEvNS0_6detail10TensorInfoIT_T1_EESF_NSC_IKS6_SE_EElS8_S8_SE_T6_,@function
_ZN2at4cuda17kernelHistogram1DIfllLi1ELi2ELin1ELNS0_23CUDAHistogramMemoryTypeE0EZNS0_21CUDA_tensor_histogramIflLb1EEEbNS_6TensorES4_S4_lNS_14AccumulateTypeIT0_Lb1EE4typeES8_NS0_13TensorArgTypeES9_S9_EUllE0_EEvNS0_6detail10TensorInfoIT_T1_EESF_NSC_IKS6_SE_EElS8_S8_SE_T6_: ; @_ZN2at4cuda17kernelHistogram1DIfllLi1ELi2ELin1ELNS0_23CUDAHistogramMemoryTypeE0EZNS0_21CUDA_tensor_histogramIflLb1EEEbNS_6TensorES4_S4_lNS_14AccumulateTypeIT0_Lb1EE4typeES8_NS0_13TensorArgTypeES9_S9_EUllE0_EEvNS0_6detail10TensorInfoIT_T1_EESF_NSC_IKS6_SE_EElS8_S8_SE_T6_
; %bb.0:
	s_load_dwordx4 s[16:19], s[4:5], 0x0
	v_mov_b32_e32 v1, 0
	s_add_u32 s2, s4, 0x508
	s_addc_u32 s3, s5, 0
                                        ; implicit-def: $sgpr10
                                        ; implicit-def: $sgpr7
	s_waitcnt lgkmcnt(0)
	v_cmp_gt_i64_e64 s[0:1], s[18:19], v[0:1]
	v_cmp_le_i64_e32 vcc, s[18:19], v[0:1]
	s_and_saveexec_b64 s[8:9], vcc
	s_xor_b64 s[8:9], exec, s[8:9]
	s_cbranch_execz .LBB38_2
; %bb.1:
	s_load_dword s10, s[2:3], 0xc
	s_waitcnt lgkmcnt(0)
	s_and_b32 s7, s10, 0xffff
.LBB38_2:
	s_or_saveexec_b64 s[8:9], s[8:9]
	s_load_dwordx2 s[20:21], s[4:5], 0xd0
	v_mov_b32_e32 v12, s10
	v_mov_b32_e32 v5, s7
	s_xor_b64 exec, exec, s[8:9]
	s_cbranch_execz .LBB38_6
; %bb.3:
	s_load_dword s7, s[2:3], 0xc
	v_mov_b32_e32 v3, v1
	v_lshl_add_u32 v4, v0, 2, 0
	s_mov_b64 s[10:11], 0
	v_mov_b32_e32 v5, 0
	s_waitcnt lgkmcnt(0)
	s_and_b32 s12, s7, 0xffff
	s_lshl_b32 s13, s12, 2
	v_mov_b32_e32 v2, v0
.LBB38_4:                               ; =>This Inner Loop Header: Depth=1
	v_add_co_u32_e32 v2, vcc, s12, v2
	v_addc_co_u32_e32 v3, vcc, 0, v3, vcc
	v_cmp_le_i64_e32 vcc, s[18:19], v[2:3]
	ds_write_b32 v4, v5
	s_or_b64 s[10:11], vcc, s[10:11]
	v_add_u32_e32 v4, s13, v4
	s_andn2_b64 exec, exec, s[10:11]
	s_cbranch_execnz .LBB38_4
; %bb.5:
	s_or_b64 exec, exec, s[10:11]
	v_mov_b32_e32 v12, s7
	v_mov_b32_e32 v5, s12
.LBB38_6:
	s_or_b64 exec, exec, s[8:9]
	s_load_dwordx8 s[8:15], s[4:5], 0x4e0
	v_mad_u64_u32 v[2:3], s[6:7], s6, v5, v[0:1]
	v_mov_b32_e32 v4, 0
	v_mov_b32_e32 v3, v4
	s_waitcnt lgkmcnt(0)
	v_cmp_gt_i64_e32 vcc, s[14:15], v[2:3]
	s_barrier
	s_and_saveexec_b64 s[6:7], vcc
	s_cbranch_execz .LBB38_22
; %bb.7:
	s_load_dword s26, s[4:5], 0x4d8
	s_load_dwordx2 s[24:25], s[4:5], 0x340
	s_add_u32 s27, s4, 0x340
	s_addc_u32 s29, s5, 0
	s_load_dword s28, s[2:3], 0x0
	s_load_dwordx2 s[22:23], s[4:5], 0x410
	s_waitcnt lgkmcnt(0)
	s_cmp_gt_i32 s26, 1
	s_cselect_b64 s[2:3], -1, 0
	s_sub_u32 s33, s12, s10
	s_subb_u32 s42, s13, s11
	s_mov_b32 s5, 0
	s_add_i32 s4, s26, -1
	s_add_i32 s43, s26, 1
	s_lshl_b64 s[4:5], s[4:5], 3
	v_mul_lo_u32 v13, s28, v5
	s_add_u32 s4, s27, s4
	s_addc_u32 s5, s29, s5
	s_add_u32 s26, s4, 8
	v_cndmask_b32_e64 v5, 0, 1, s[2:3]
	s_addc_u32 s27, s5, 0
	s_mov_b64 s[28:29], 0
	v_mov_b32_e32 v14, 1.0
	v_cmp_ne_u32_e64 s[2:3], 1, v5
	s_branch .LBB38_10
.LBB38_8:                               ;   in Loop: Header=BB38_10 Depth=1
	s_or_b64 exec, exec, s[4:5]
	v_ashrrev_i32_e32 v9, 31, v8
	v_cmp_eq_u64_e32 vcc, s[8:9], v[8:9]
	v_subbrev_co_u32_e32 v5, vcc, 0, v8, vcc
	v_lshl_add_u32 v5, v5, 2, 0
	ds_add_f32 v5, v14
.LBB38_9:                               ;   in Loop: Header=BB38_10 Depth=1
	s_or_b64 exec, exec, s[30:31]
	v_add_co_u32_e32 v2, vcc, v2, v13
	v_addc_co_u32_e32 v3, vcc, 0, v3, vcc
	v_cmp_le_i64_e32 vcc, s[14:15], v[2:3]
	s_or_b64 s[28:29], vcc, s[28:29]
	s_andn2_b64 exec, exec, s[28:29]
	s_cbranch_execz .LBB38_22
.LBB38_10:                              ; =>This Loop Header: Depth=1
                                        ;     Child Loop BB38_11 Depth 2
	v_mov_b32_e32 v6, 0
	v_mov_b32_e32 v9, v3
	;; [unrolled: 1-line block ×4, first 2 shown]
	s_and_b64 vcc, exec, s[2:3]
	s_mov_b64 s[30:31], s[26:27]
	s_mov_b32 s44, s43
	v_mov_b32_e32 v8, v2
	v_mov_b32_e32 v10, v2
	s_cbranch_vccnz .LBB38_17
.LBB38_11:                              ;   Parent Loop BB38_10 Depth=1
                                        ; =>  This Inner Loop Header: Depth=2
	s_load_dwordx2 s[34:35], s[30:31], 0x0
                                        ; implicit-def: $vgpr10_vgpr11
	s_waitcnt lgkmcnt(0)
	v_or_b32_e32 v5, s35, v9
	v_cmp_ne_u64_e32 vcc, 0, v[4:5]
	s_and_saveexec_b64 s[4:5], vcc
	s_xor_b64 s[36:37], exec, s[4:5]
	s_cbranch_execz .LBB38_13
; %bb.12:                               ;   in Loop: Header=BB38_11 Depth=2
	s_ashr_i32 s38, s35, 31
	s_add_u32 s4, s34, s38
	s_mov_b32 s39, s38
	s_addc_u32 s5, s35, s38
	s_xor_b64 s[40:41], s[4:5], s[38:39]
	v_cvt_f32_u32_e32 v5, s40
	v_cvt_f32_u32_e32 v10, s41
	s_sub_u32 s39, 0, s40
	s_subb_u32 s45, 0, s41
	v_mac_f32_e32 v5, 0x4f800000, v10
	v_rcp_f32_e32 v5, v5
	v_mul_f32_e32 v5, 0x5f7ffffc, v5
	v_mul_f32_e32 v10, 0x2f800000, v5
	v_trunc_f32_e32 v10, v10
	v_mac_f32_e32 v5, 0xcf800000, v10
	v_cvt_u32_f32_e32 v10, v10
	v_cvt_u32_f32_e32 v5, v5
	v_readfirstlane_b32 s46, v10
	v_readfirstlane_b32 s4, v5
	s_mul_i32 s5, s39, s46
	s_mul_hi_u32 s48, s39, s4
	s_mul_i32 s47, s45, s4
	s_add_i32 s5, s48, s5
	s_add_i32 s5, s5, s47
	s_mul_i32 s49, s39, s4
	s_mul_i32 s48, s4, s5
	s_mul_hi_u32 s50, s4, s49
	s_mul_hi_u32 s47, s4, s5
	s_add_u32 s48, s50, s48
	s_addc_u32 s47, 0, s47
	s_mul_hi_u32 s51, s46, s49
	s_mul_i32 s49, s46, s49
	s_add_u32 s48, s48, s49
	s_mul_hi_u32 s50, s46, s5
	s_addc_u32 s47, s47, s51
	s_addc_u32 s48, s50, 0
	s_mul_i32 s5, s46, s5
	s_add_u32 s5, s47, s5
	s_addc_u32 s47, 0, s48
	s_add_u32 s48, s4, s5
	s_cselect_b64 s[4:5], -1, 0
	s_cmp_lg_u64 s[4:5], 0
	s_addc_u32 s46, s46, s47
	s_mul_i32 s4, s39, s46
	s_mul_hi_u32 s5, s39, s48
	s_add_i32 s4, s5, s4
	s_mul_i32 s45, s45, s48
	s_add_i32 s4, s4, s45
	s_mul_i32 s39, s39, s48
	s_mul_hi_u32 s45, s46, s39
	s_mul_i32 s47, s46, s39
	s_mul_i32 s50, s48, s4
	s_mul_hi_u32 s39, s48, s39
	s_mul_hi_u32 s49, s48, s4
	s_add_u32 s39, s39, s50
	s_addc_u32 s49, 0, s49
	s_add_u32 s39, s39, s47
	s_mul_hi_u32 s5, s46, s4
	s_addc_u32 s39, s49, s45
	s_addc_u32 s5, s5, 0
	s_mul_i32 s4, s46, s4
	s_add_u32 s4, s39, s4
	s_addc_u32 s39, 0, s5
	s_add_u32 s45, s48, s4
	s_cselect_b64 s[4:5], -1, 0
	v_ashrrev_i32_e32 v5, 31, v9
	s_cmp_lg_u64 s[4:5], 0
	v_add_co_u32_e32 v10, vcc, v8, v5
	s_addc_u32 s39, s46, s39
	v_xor_b32_e32 v17, v10, v5
	v_mad_u64_u32 v[10:11], s[4:5], v17, s39, 0
	v_mul_hi_u32 v16, v17, s45
	v_addc_co_u32_e32 v15, vcc, v9, v5, vcc
	v_xor_b32_e32 v18, v15, v5
	v_add_co_u32_e32 v19, vcc, v16, v10
	v_addc_co_u32_e32 v20, vcc, 0, v11, vcc
	v_mad_u64_u32 v[10:11], s[4:5], v18, s45, 0
	v_mad_u64_u32 v[15:16], s[4:5], v18, s39, 0
	v_add_co_u32_e32 v10, vcc, v19, v10
	v_addc_co_u32_e32 v10, vcc, v20, v11, vcc
	v_addc_co_u32_e32 v11, vcc, 0, v16, vcc
	v_add_co_u32_e32 v15, vcc, v10, v15
	v_addc_co_u32_e32 v16, vcc, 0, v11, vcc
	v_mul_lo_u32 v19, s41, v15
	v_mul_lo_u32 v20, s40, v16
	v_mad_u64_u32 v[10:11], s[4:5], s40, v15, 0
	v_xor_b32_e32 v5, s38, v5
	v_add3_u32 v11, v11, v20, v19
	v_sub_u32_e32 v19, v18, v11
	v_mov_b32_e32 v20, s41
	v_sub_co_u32_e32 v10, vcc, v17, v10
	v_subb_co_u32_e64 v17, s[4:5], v19, v20, vcc
	v_subrev_co_u32_e64 v19, s[4:5], s40, v10
	v_subbrev_co_u32_e64 v17, s[4:5], 0, v17, s[4:5]
	v_cmp_le_u32_e64 s[4:5], s41, v17
	v_cndmask_b32_e64 v20, 0, -1, s[4:5]
	v_cmp_le_u32_e64 s[4:5], s40, v19
	v_cndmask_b32_e64 v19, 0, -1, s[4:5]
	v_cmp_eq_u32_e64 s[4:5], s41, v17
	v_cndmask_b32_e64 v17, v20, v19, s[4:5]
	v_add_co_u32_e64 v19, s[4:5], 2, v15
	v_subb_co_u32_e32 v11, vcc, v18, v11, vcc
	v_addc_co_u32_e64 v20, s[4:5], 0, v16, s[4:5]
	v_cmp_le_u32_e32 vcc, s41, v11
	v_add_co_u32_e64 v21, s[4:5], 1, v15
	v_cndmask_b32_e64 v18, 0, -1, vcc
	v_cmp_le_u32_e32 vcc, s40, v10
	v_addc_co_u32_e64 v22, s[4:5], 0, v16, s[4:5]
	v_cndmask_b32_e64 v10, 0, -1, vcc
	v_cmp_eq_u32_e32 vcc, s41, v11
	v_cmp_ne_u32_e64 s[4:5], 0, v17
	v_cndmask_b32_e32 v10, v18, v10, vcc
	v_cndmask_b32_e64 v17, v22, v20, s[4:5]
	v_cmp_ne_u32_e32 vcc, 0, v10
	v_cndmask_b32_e64 v11, v21, v19, s[4:5]
	v_cndmask_b32_e32 v10, v16, v17, vcc
	v_cndmask_b32_e32 v11, v15, v11, vcc
	v_xor_b32_e32 v15, v10, v5
	v_xor_b32_e32 v10, v11, v5
	v_sub_co_u32_e32 v10, vcc, v10, v5
	v_subb_co_u32_e32 v11, vcc, v15, v5, vcc
.LBB38_13:                              ;   in Loop: Header=BB38_11 Depth=2
	s_andn2_saveexec_b64 s[4:5], s[36:37]
	s_cbranch_execz .LBB38_15
; %bb.14:                               ;   in Loop: Header=BB38_11 Depth=2
	v_cvt_f32_u32_e32 v5, s34
	s_sub_i32 s36, 0, s34
	v_rcp_iflag_f32_e32 v5, v5
	v_mul_f32_e32 v5, 0x4f7ffffe, v5
	v_cvt_u32_f32_e32 v5, v5
	v_mul_lo_u32 v10, s36, v5
	v_mul_hi_u32 v10, v5, v10
	v_add_u32_e32 v5, v5, v10
	v_mul_hi_u32 v5, v8, v5
	v_mul_lo_u32 v10, v5, s34
	v_add_u32_e32 v11, 1, v5
	v_sub_u32_e32 v10, v8, v10
	v_subrev_u32_e32 v15, s34, v10
	v_cmp_le_u32_e32 vcc, s34, v10
	v_cndmask_b32_e32 v10, v10, v15, vcc
	v_cndmask_b32_e32 v5, v5, v11, vcc
	v_add_u32_e32 v11, 1, v5
	v_cmp_le_u32_e32 vcc, s34, v10
	v_cndmask_b32_e32 v10, v5, v11, vcc
	v_mov_b32_e32 v11, v4
.LBB38_15:                              ;   in Loop: Header=BB38_11 Depth=2
	s_or_b64 exec, exec, s[4:5]
	v_mul_lo_u32 v5, v11, s34
	v_mul_lo_u32 v17, v10, s35
	v_mad_u64_u32 v[15:16], s[4:5], v10, s34, 0
	s_load_dwordx2 s[4:5], s[30:31], 0xc8
	s_add_i32 s44, s44, -1
	v_add3_u32 v5, v16, v17, v5
	v_sub_co_u32_e32 v8, vcc, v8, v15
	v_subb_co_u32_e32 v5, vcc, v9, v5, vcc
	s_waitcnt lgkmcnt(0)
	v_mul_lo_u32 v5, s4, v5
	v_mul_lo_u32 v9, s5, v8
	v_mad_u64_u32 v[6:7], s[4:5], s4, v8, v[6:7]
	s_add_u32 s30, s30, -8
	s_addc_u32 s31, s31, -1
	s_cmp_gt_u32 s44, 2
	v_add3_u32 v7, v9, v7, v5
	s_cbranch_scc0 .LBB38_17
; %bb.16:                               ;   in Loop: Header=BB38_11 Depth=2
	v_mov_b32_e32 v8, v10
	v_mov_b32_e32 v9, v11
	s_branch .LBB38_11
.LBB38_17:                              ;   in Loop: Header=BB38_10 Depth=1
	v_mul_lo_u32 v5, s23, v10
	v_mul_lo_u32 v11, s22, v11
	v_mad_u64_u32 v[8:9], s[4:5], s22, v10, 0
	v_add3_u32 v9, v9, v11, v5
	v_lshlrev_b64 v[8:9], 3, v[8:9]
	v_mov_b32_e32 v5, s25
	v_add_co_u32_e32 v8, vcc, s24, v8
	v_addc_co_u32_e32 v9, vcc, v5, v9, vcc
	v_lshlrev_b64 v[5:6], 3, v[6:7]
	v_add_co_u32_e32 v5, vcc, v8, v5
	v_addc_co_u32_e32 v6, vcc, v9, v6, vcc
	global_load_dwordx2 v[5:6], v[5:6], off
	s_waitcnt vmcnt(0)
	v_cmp_le_i64_e32 vcc, s[10:11], v[5:6]
	v_cmp_ge_i64_e64 s[4:5], s[12:13], v[5:6]
	s_and_b64 s[4:5], vcc, s[4:5]
	s_and_saveexec_b64 s[30:31], s[4:5]
	s_cbranch_execz .LBB38_9
; %bb.18:                               ;   in Loop: Header=BB38_10 Depth=1
	v_mov_b32_e32 v7, s11
	v_subrev_co_u32_e32 v5, vcc, s10, v5
	v_subb_co_u32_e32 v6, vcc, v6, v7, vcc
	v_mul_lo_u32 v8, v6, s8
	v_mul_lo_u32 v9, v5, s9
	v_mad_u64_u32 v[6:7], s[4:5], v5, s8, 0
	v_add3_u32 v7, v7, v9, v8
	v_or_b32_e32 v5, s42, v7
	v_cmp_ne_u64_e32 vcc, 0, v[4:5]
                                        ; implicit-def: $vgpr8_vgpr9
	s_and_saveexec_b64 s[4:5], vcc
	s_xor_b64 s[34:35], exec, s[4:5]
	s_cbranch_execz .LBB38_20
; %bb.19:                               ;   in Loop: Header=BB38_10 Depth=1
	s_ashr_i32 s36, s42, 31
	s_add_u32 s4, s33, s36
	s_mov_b32 s37, s36
	s_addc_u32 s5, s42, s36
	s_xor_b64 s[38:39], s[4:5], s[36:37]
	v_cvt_f32_u32_e32 v5, s38
	v_cvt_f32_u32_e32 v8, s39
	s_sub_u32 s37, 0, s38
	s_subb_u32 s40, 0, s39
	v_ashrrev_i32_e32 v9, 31, v7
	v_mac_f32_e32 v5, 0x4f800000, v8
	v_rcp_f32_e32 v5, v5
	v_mul_f32_e32 v5, 0x5f7ffffc, v5
	v_mul_f32_e32 v8, 0x2f800000, v5
	v_trunc_f32_e32 v8, v8
	v_mac_f32_e32 v5, 0xcf800000, v8
	v_cvt_u32_f32_e32 v8, v8
	v_cvt_u32_f32_e32 v5, v5
	v_readfirstlane_b32 s41, v8
	v_readfirstlane_b32 s4, v5
	s_mul_i32 s5, s37, s41
	s_mul_hi_u32 s45, s37, s4
	s_mul_i32 s44, s40, s4
	s_add_i32 s5, s45, s5
	s_add_i32 s5, s5, s44
	s_mul_i32 s46, s37, s4
	s_mul_i32 s45, s4, s5
	s_mul_hi_u32 s47, s4, s46
	s_mul_hi_u32 s44, s4, s5
	s_add_u32 s45, s47, s45
	s_addc_u32 s44, 0, s44
	s_mul_hi_u32 s48, s41, s46
	s_mul_i32 s46, s41, s46
	s_add_u32 s45, s45, s46
	s_mul_hi_u32 s47, s41, s5
	s_addc_u32 s44, s44, s48
	s_addc_u32 s45, s47, 0
	s_mul_i32 s5, s41, s5
	s_add_u32 s5, s44, s5
	s_addc_u32 s44, 0, s45
	s_add_u32 s45, s4, s5
	s_cselect_b64 s[4:5], -1, 0
	s_cmp_lg_u64 s[4:5], 0
	s_addc_u32 s41, s41, s44
	s_mul_i32 s4, s37, s41
	s_mul_hi_u32 s5, s37, s45
	s_add_i32 s4, s5, s4
	s_mul_i32 s40, s40, s45
	s_add_i32 s4, s4, s40
	s_mul_i32 s37, s37, s45
	s_mul_hi_u32 s40, s41, s37
	s_mul_i32 s44, s41, s37
	s_mul_i32 s47, s45, s4
	s_mul_hi_u32 s37, s45, s37
	s_mul_hi_u32 s46, s45, s4
	s_add_u32 s37, s37, s47
	s_addc_u32 s46, 0, s46
	s_add_u32 s37, s37, s44
	s_mul_hi_u32 s5, s41, s4
	s_addc_u32 s37, s46, s40
	s_addc_u32 s5, s5, 0
	s_mul_i32 s4, s41, s4
	s_add_u32 s4, s37, s4
	s_addc_u32 s37, 0, s5
	s_add_u32 s40, s45, s4
	s_cselect_b64 s[4:5], -1, 0
	s_cmp_lg_u64 s[4:5], 0
	v_add_co_u32_e32 v5, vcc, v6, v9
	s_addc_u32 s37, s41, s37
	v_xor_b32_e32 v10, v5, v9
	v_mad_u64_u32 v[5:6], s[4:5], v10, s37, 0
	v_mul_hi_u32 v8, v10, s40
	v_addc_co_u32_e32 v7, vcc, v7, v9, vcc
	v_xor_b32_e32 v11, v7, v9
	v_add_co_u32_e32 v15, vcc, v8, v5
	v_addc_co_u32_e32 v16, vcc, 0, v6, vcc
	v_mad_u64_u32 v[5:6], s[4:5], v11, s40, 0
	v_mad_u64_u32 v[7:8], s[4:5], v11, s37, 0
	v_add_co_u32_e32 v5, vcc, v15, v5
	v_addc_co_u32_e32 v5, vcc, v16, v6, vcc
	v_addc_co_u32_e32 v6, vcc, 0, v8, vcc
	v_add_co_u32_e32 v7, vcc, v5, v7
	v_addc_co_u32_e32 v5, vcc, 0, v6, vcc
	v_mul_lo_u32 v8, s39, v7
	v_mul_lo_u32 v15, s38, v5
	v_mad_u64_u32 v[5:6], s[4:5], s38, v7, 0
	v_add3_u32 v6, v6, v15, v8
	v_sub_u32_e32 v8, v11, v6
	v_mov_b32_e32 v15, s39
	v_sub_co_u32_e32 v5, vcc, v10, v5
	v_subb_co_u32_e64 v8, s[4:5], v8, v15, vcc
	v_subrev_co_u32_e64 v10, s[4:5], s38, v5
	v_subbrev_co_u32_e64 v8, s[4:5], 0, v8, s[4:5]
	v_cmp_le_u32_e64 s[4:5], s39, v8
	v_subb_co_u32_e32 v6, vcc, v11, v6, vcc
	v_cndmask_b32_e64 v15, 0, -1, s[4:5]
	v_cmp_le_u32_e64 s[4:5], s38, v10
	v_cmp_le_u32_e32 vcc, s39, v6
	v_cndmask_b32_e64 v10, 0, -1, s[4:5]
	v_cmp_eq_u32_e64 s[4:5], s39, v8
	v_cndmask_b32_e64 v11, 0, -1, vcc
	v_cmp_le_u32_e32 vcc, s38, v5
	v_cndmask_b32_e64 v8, v15, v10, s[4:5]
	v_cndmask_b32_e64 v5, 0, -1, vcc
	v_cmp_eq_u32_e32 vcc, s39, v6
	v_add_co_u32_e64 v10, s[4:5], 2, v7
	v_add_co_u32_e64 v15, s[4:5], 1, v7
	v_cndmask_b32_e32 v5, v11, v5, vcc
	v_cmp_ne_u32_e32 vcc, 0, v8
	v_cndmask_b32_e32 v6, v15, v10, vcc
	v_cmp_ne_u32_e32 vcc, 0, v5
	v_cndmask_b32_e32 v5, v7, v6, vcc
	v_xor_b32_e32 v6, s36, v9
	v_xor_b32_e32 v5, v5, v6
	v_sub_co_u32_e32 v8, vcc, v5, v6
                                        ; implicit-def: $vgpr6_vgpr7
.LBB38_20:                              ;   in Loop: Header=BB38_10 Depth=1
	s_andn2_saveexec_b64 s[4:5], s[34:35]
	s_cbranch_execz .LBB38_8
; %bb.21:                               ;   in Loop: Header=BB38_10 Depth=1
	v_cvt_f32_u32_e32 v5, s33
	s_sub_i32 s34, 0, s33
	v_rcp_iflag_f32_e32 v5, v5
	v_mul_f32_e32 v5, 0x4f7ffffe, v5
	v_cvt_u32_f32_e32 v5, v5
	v_mul_lo_u32 v7, s34, v5
	v_mul_hi_u32 v7, v5, v7
	v_add_u32_e32 v5, v5, v7
	v_mul_hi_u32 v5, v6, v5
	v_mul_lo_u32 v7, v5, s33
	v_add_u32_e32 v8, 1, v5
	v_sub_u32_e32 v6, v6, v7
	v_subrev_u32_e32 v7, s33, v6
	v_cmp_le_u32_e32 vcc, s33, v6
	v_cndmask_b32_e32 v6, v6, v7, vcc
	v_cndmask_b32_e32 v5, v5, v8, vcc
	v_add_u32_e32 v7, 1, v5
	v_cmp_le_u32_e32 vcc, s33, v6
	v_cndmask_b32_e32 v8, v5, v7, vcc
	s_branch .LBB38_8
.LBB38_22:
	s_or_b64 exec, exec, s[6:7]
; %bb.23:
	s_waitcnt lgkmcnt(0)
	s_barrier
	s_and_saveexec_b64 s[2:3], s[0:1]
	s_cbranch_execz .LBB38_28
; %bb.24:
	v_and_b32_e32 v6, 0xffff, v12
	s_mov_b64 s[0:1], 0
	v_mov_b32_e32 v7, s17
.LBB38_25:                              ; =>This Loop Header: Depth=1
                                        ;     Child Loop BB38_26 Depth 2
	v_mul_lo_u32 v4, v1, s20
	v_mul_lo_u32 v5, v0, s21
	v_mad_u64_u32 v[2:3], s[2:3], v0, s20, 0
	s_mov_b64 s[2:3], 0
	v_add3_u32 v3, v3, v5, v4
	v_lshlrev_b64 v[2:3], 2, v[2:3]
	v_lshl_add_u32 v4, v0, 2, 0
	v_add_co_u32_e32 v2, vcc, s16, v2
	v_addc_co_u32_e32 v3, vcc, v7, v3, vcc
	global_load_dword v5, v[2:3], off
	ds_read_b32 v8, v4
.LBB38_26:                              ;   Parent Loop BB38_25 Depth=1
                                        ; =>  This Inner Loop Header: Depth=2
	s_waitcnt vmcnt(0) lgkmcnt(0)
	v_add_f32_e32 v4, v5, v8
	global_atomic_cmpswap v4, v[2:3], v[4:5], off glc
	s_waitcnt vmcnt(0)
	v_cmp_eq_u32_e32 vcc, v4, v5
	s_or_b64 s[2:3], vcc, s[2:3]
	v_mov_b32_e32 v5, v4
	s_andn2_b64 exec, exec, s[2:3]
	s_cbranch_execnz .LBB38_26
; %bb.27:                               ;   in Loop: Header=BB38_25 Depth=1
	s_or_b64 exec, exec, s[2:3]
	v_add_co_u32_e32 v0, vcc, v0, v6
	v_addc_co_u32_e32 v1, vcc, 0, v1, vcc
	v_cmp_le_i64_e32 vcc, s[18:19], v[0:1]
	s_or_b64 s[0:1], vcc, s[0:1]
	s_andn2_b64 exec, exec, s[0:1]
	s_cbranch_execnz .LBB38_25
.LBB38_28:
	s_endpgm
	.section	.rodata,"a",@progbits
	.p2align	6, 0x0
	.amdhsa_kernel _ZN2at4cuda17kernelHistogram1DIfllLi1ELi2ELin1ELNS0_23CUDAHistogramMemoryTypeE0EZNS0_21CUDA_tensor_histogramIflLb1EEEbNS_6TensorES4_S4_lNS_14AccumulateTypeIT0_Lb1EE4typeES8_NS0_13TensorArgTypeES9_S9_EUllE0_EEvNS0_6detail10TensorInfoIT_T1_EESF_NSC_IKS6_SE_EElS8_S8_SE_T6_
		.amdhsa_group_segment_fixed_size 0
		.amdhsa_private_segment_fixed_size 0
		.amdhsa_kernarg_size 1544
		.amdhsa_user_sgpr_count 6
		.amdhsa_user_sgpr_private_segment_buffer 1
		.amdhsa_user_sgpr_dispatch_ptr 0
		.amdhsa_user_sgpr_queue_ptr 0
		.amdhsa_user_sgpr_kernarg_segment_ptr 1
		.amdhsa_user_sgpr_dispatch_id 0
		.amdhsa_user_sgpr_flat_scratch_init 0
		.amdhsa_user_sgpr_private_segment_size 0
		.amdhsa_uses_dynamic_stack 0
		.amdhsa_system_sgpr_private_segment_wavefront_offset 0
		.amdhsa_system_sgpr_workgroup_id_x 1
		.amdhsa_system_sgpr_workgroup_id_y 0
		.amdhsa_system_sgpr_workgroup_id_z 0
		.amdhsa_system_sgpr_workgroup_info 0
		.amdhsa_system_vgpr_workitem_id 0
		.amdhsa_next_free_vgpr 23
		.amdhsa_next_free_sgpr 52
		.amdhsa_reserve_vcc 1
		.amdhsa_reserve_flat_scratch 0
		.amdhsa_float_round_mode_32 0
		.amdhsa_float_round_mode_16_64 0
		.amdhsa_float_denorm_mode_32 3
		.amdhsa_float_denorm_mode_16_64 3
		.amdhsa_dx10_clamp 1
		.amdhsa_ieee_mode 1
		.amdhsa_fp16_overflow 0
		.amdhsa_exception_fp_ieee_invalid_op 0
		.amdhsa_exception_fp_denorm_src 0
		.amdhsa_exception_fp_ieee_div_zero 0
		.amdhsa_exception_fp_ieee_overflow 0
		.amdhsa_exception_fp_ieee_underflow 0
		.amdhsa_exception_fp_ieee_inexact 0
		.amdhsa_exception_int_div_zero 0
	.end_amdhsa_kernel
	.section	.text._ZN2at4cuda17kernelHistogram1DIfllLi1ELi2ELin1ELNS0_23CUDAHistogramMemoryTypeE0EZNS0_21CUDA_tensor_histogramIflLb1EEEbNS_6TensorES4_S4_lNS_14AccumulateTypeIT0_Lb1EE4typeES8_NS0_13TensorArgTypeES9_S9_EUllE0_EEvNS0_6detail10TensorInfoIT_T1_EESF_NSC_IKS6_SE_EElS8_S8_SE_T6_,"axG",@progbits,_ZN2at4cuda17kernelHistogram1DIfllLi1ELi2ELin1ELNS0_23CUDAHistogramMemoryTypeE0EZNS0_21CUDA_tensor_histogramIflLb1EEEbNS_6TensorES4_S4_lNS_14AccumulateTypeIT0_Lb1EE4typeES8_NS0_13TensorArgTypeES9_S9_EUllE0_EEvNS0_6detail10TensorInfoIT_T1_EESF_NSC_IKS6_SE_EElS8_S8_SE_T6_,comdat
.Lfunc_end38:
	.size	_ZN2at4cuda17kernelHistogram1DIfllLi1ELi2ELin1ELNS0_23CUDAHistogramMemoryTypeE0EZNS0_21CUDA_tensor_histogramIflLb1EEEbNS_6TensorES4_S4_lNS_14AccumulateTypeIT0_Lb1EE4typeES8_NS0_13TensorArgTypeES9_S9_EUllE0_EEvNS0_6detail10TensorInfoIT_T1_EESF_NSC_IKS6_SE_EElS8_S8_SE_T6_, .Lfunc_end38-_ZN2at4cuda17kernelHistogram1DIfllLi1ELi2ELin1ELNS0_23CUDAHistogramMemoryTypeE0EZNS0_21CUDA_tensor_histogramIflLb1EEEbNS_6TensorES4_S4_lNS_14AccumulateTypeIT0_Lb1EE4typeES8_NS0_13TensorArgTypeES9_S9_EUllE0_EEvNS0_6detail10TensorInfoIT_T1_EESF_NSC_IKS6_SE_EElS8_S8_SE_T6_
                                        ; -- End function
	.set _ZN2at4cuda17kernelHistogram1DIfllLi1ELi2ELin1ELNS0_23CUDAHistogramMemoryTypeE0EZNS0_21CUDA_tensor_histogramIflLb1EEEbNS_6TensorES4_S4_lNS_14AccumulateTypeIT0_Lb1EE4typeES8_NS0_13TensorArgTypeES9_S9_EUllE0_EEvNS0_6detail10TensorInfoIT_T1_EESF_NSC_IKS6_SE_EElS8_S8_SE_T6_.num_vgpr, 23
	.set _ZN2at4cuda17kernelHistogram1DIfllLi1ELi2ELin1ELNS0_23CUDAHistogramMemoryTypeE0EZNS0_21CUDA_tensor_histogramIflLb1EEEbNS_6TensorES4_S4_lNS_14AccumulateTypeIT0_Lb1EE4typeES8_NS0_13TensorArgTypeES9_S9_EUllE0_EEvNS0_6detail10TensorInfoIT_T1_EESF_NSC_IKS6_SE_EElS8_S8_SE_T6_.num_agpr, 0
	.set _ZN2at4cuda17kernelHistogram1DIfllLi1ELi2ELin1ELNS0_23CUDAHistogramMemoryTypeE0EZNS0_21CUDA_tensor_histogramIflLb1EEEbNS_6TensorES4_S4_lNS_14AccumulateTypeIT0_Lb1EE4typeES8_NS0_13TensorArgTypeES9_S9_EUllE0_EEvNS0_6detail10TensorInfoIT_T1_EESF_NSC_IKS6_SE_EElS8_S8_SE_T6_.numbered_sgpr, 52
	.set _ZN2at4cuda17kernelHistogram1DIfllLi1ELi2ELin1ELNS0_23CUDAHistogramMemoryTypeE0EZNS0_21CUDA_tensor_histogramIflLb1EEEbNS_6TensorES4_S4_lNS_14AccumulateTypeIT0_Lb1EE4typeES8_NS0_13TensorArgTypeES9_S9_EUllE0_EEvNS0_6detail10TensorInfoIT_T1_EESF_NSC_IKS6_SE_EElS8_S8_SE_T6_.num_named_barrier, 0
	.set _ZN2at4cuda17kernelHistogram1DIfllLi1ELi2ELin1ELNS0_23CUDAHistogramMemoryTypeE0EZNS0_21CUDA_tensor_histogramIflLb1EEEbNS_6TensorES4_S4_lNS_14AccumulateTypeIT0_Lb1EE4typeES8_NS0_13TensorArgTypeES9_S9_EUllE0_EEvNS0_6detail10TensorInfoIT_T1_EESF_NSC_IKS6_SE_EElS8_S8_SE_T6_.private_seg_size, 0
	.set _ZN2at4cuda17kernelHistogram1DIfllLi1ELi2ELin1ELNS0_23CUDAHistogramMemoryTypeE0EZNS0_21CUDA_tensor_histogramIflLb1EEEbNS_6TensorES4_S4_lNS_14AccumulateTypeIT0_Lb1EE4typeES8_NS0_13TensorArgTypeES9_S9_EUllE0_EEvNS0_6detail10TensorInfoIT_T1_EESF_NSC_IKS6_SE_EElS8_S8_SE_T6_.uses_vcc, 1
	.set _ZN2at4cuda17kernelHistogram1DIfllLi1ELi2ELin1ELNS0_23CUDAHistogramMemoryTypeE0EZNS0_21CUDA_tensor_histogramIflLb1EEEbNS_6TensorES4_S4_lNS_14AccumulateTypeIT0_Lb1EE4typeES8_NS0_13TensorArgTypeES9_S9_EUllE0_EEvNS0_6detail10TensorInfoIT_T1_EESF_NSC_IKS6_SE_EElS8_S8_SE_T6_.uses_flat_scratch, 0
	.set _ZN2at4cuda17kernelHistogram1DIfllLi1ELi2ELin1ELNS0_23CUDAHistogramMemoryTypeE0EZNS0_21CUDA_tensor_histogramIflLb1EEEbNS_6TensorES4_S4_lNS_14AccumulateTypeIT0_Lb1EE4typeES8_NS0_13TensorArgTypeES9_S9_EUllE0_EEvNS0_6detail10TensorInfoIT_T1_EESF_NSC_IKS6_SE_EElS8_S8_SE_T6_.has_dyn_sized_stack, 0
	.set _ZN2at4cuda17kernelHistogram1DIfllLi1ELi2ELin1ELNS0_23CUDAHistogramMemoryTypeE0EZNS0_21CUDA_tensor_histogramIflLb1EEEbNS_6TensorES4_S4_lNS_14AccumulateTypeIT0_Lb1EE4typeES8_NS0_13TensorArgTypeES9_S9_EUllE0_EEvNS0_6detail10TensorInfoIT_T1_EESF_NSC_IKS6_SE_EElS8_S8_SE_T6_.has_recursion, 0
	.set _ZN2at4cuda17kernelHistogram1DIfllLi1ELi2ELin1ELNS0_23CUDAHistogramMemoryTypeE0EZNS0_21CUDA_tensor_histogramIflLb1EEEbNS_6TensorES4_S4_lNS_14AccumulateTypeIT0_Lb1EE4typeES8_NS0_13TensorArgTypeES9_S9_EUllE0_EEvNS0_6detail10TensorInfoIT_T1_EESF_NSC_IKS6_SE_EElS8_S8_SE_T6_.has_indirect_call, 0
	.section	.AMDGPU.csdata,"",@progbits
; Kernel info:
; codeLenInByte = 2360
; TotalNumSgprs: 56
; NumVgprs: 23
; ScratchSize: 0
; MemoryBound: 0
; FloatMode: 240
; IeeeMode: 1
; LDSByteSize: 0 bytes/workgroup (compile time only)
; SGPRBlocks: 6
; VGPRBlocks: 5
; NumSGPRsForWavesPerEU: 56
; NumVGPRsForWavesPerEU: 23
; Occupancy: 10
; WaveLimiterHint : 1
; COMPUTE_PGM_RSRC2:SCRATCH_EN: 0
; COMPUTE_PGM_RSRC2:USER_SGPR: 6
; COMPUTE_PGM_RSRC2:TRAP_HANDLER: 0
; COMPUTE_PGM_RSRC2:TGID_X_EN: 1
; COMPUTE_PGM_RSRC2:TGID_Y_EN: 0
; COMPUTE_PGM_RSRC2:TGID_Z_EN: 0
; COMPUTE_PGM_RSRC2:TIDIG_COMP_CNT: 0
	.section	.text._ZN2at4cuda17kernelHistogram1DIfllLi1ELi2ELin1ELNS0_23CUDAHistogramMemoryTypeE1EZNS0_21CUDA_tensor_histogramIflLb1EEEbNS_6TensorES4_S4_lNS_14AccumulateTypeIT0_Lb1EE4typeES8_NS0_13TensorArgTypeES9_S9_EUllE0_EEvNS0_6detail10TensorInfoIT_T1_EESF_NSC_IKS6_SE_EElS8_S8_SE_T6_,"axG",@progbits,_ZN2at4cuda17kernelHistogram1DIfllLi1ELi2ELin1ELNS0_23CUDAHistogramMemoryTypeE1EZNS0_21CUDA_tensor_histogramIflLb1EEEbNS_6TensorES4_S4_lNS_14AccumulateTypeIT0_Lb1EE4typeES8_NS0_13TensorArgTypeES9_S9_EUllE0_EEvNS0_6detail10TensorInfoIT_T1_EESF_NSC_IKS6_SE_EElS8_S8_SE_T6_,comdat
	.protected	_ZN2at4cuda17kernelHistogram1DIfllLi1ELi2ELin1ELNS0_23CUDAHistogramMemoryTypeE1EZNS0_21CUDA_tensor_histogramIflLb1EEEbNS_6TensorES4_S4_lNS_14AccumulateTypeIT0_Lb1EE4typeES8_NS0_13TensorArgTypeES9_S9_EUllE0_EEvNS0_6detail10TensorInfoIT_T1_EESF_NSC_IKS6_SE_EElS8_S8_SE_T6_ ; -- Begin function _ZN2at4cuda17kernelHistogram1DIfllLi1ELi2ELin1ELNS0_23CUDAHistogramMemoryTypeE1EZNS0_21CUDA_tensor_histogramIflLb1EEEbNS_6TensorES4_S4_lNS_14AccumulateTypeIT0_Lb1EE4typeES8_NS0_13TensorArgTypeES9_S9_EUllE0_EEvNS0_6detail10TensorInfoIT_T1_EESF_NSC_IKS6_SE_EElS8_S8_SE_T6_
	.globl	_ZN2at4cuda17kernelHistogram1DIfllLi1ELi2ELin1ELNS0_23CUDAHistogramMemoryTypeE1EZNS0_21CUDA_tensor_histogramIflLb1EEEbNS_6TensorES4_S4_lNS_14AccumulateTypeIT0_Lb1EE4typeES8_NS0_13TensorArgTypeES9_S9_EUllE0_EEvNS0_6detail10TensorInfoIT_T1_EESF_NSC_IKS6_SE_EElS8_S8_SE_T6_
	.p2align	8
	.type	_ZN2at4cuda17kernelHistogram1DIfllLi1ELi2ELin1ELNS0_23CUDAHistogramMemoryTypeE1EZNS0_21CUDA_tensor_histogramIflLb1EEEbNS_6TensorES4_S4_lNS_14AccumulateTypeIT0_Lb1EE4typeES8_NS0_13TensorArgTypeES9_S9_EUllE0_EEvNS0_6detail10TensorInfoIT_T1_EESF_NSC_IKS6_SE_EElS8_S8_SE_T6_,@function
_ZN2at4cuda17kernelHistogram1DIfllLi1ELi2ELin1ELNS0_23CUDAHistogramMemoryTypeE1EZNS0_21CUDA_tensor_histogramIflLb1EEEbNS_6TensorES4_S4_lNS_14AccumulateTypeIT0_Lb1EE4typeES8_NS0_13TensorArgTypeES9_S9_EUllE0_EEvNS0_6detail10TensorInfoIT_T1_EESF_NSC_IKS6_SE_EElS8_S8_SE_T6_: ; @_ZN2at4cuda17kernelHistogram1DIfllLi1ELi2ELin1ELNS0_23CUDAHistogramMemoryTypeE1EZNS0_21CUDA_tensor_histogramIflLb1EEEbNS_6TensorES4_S4_lNS_14AccumulateTypeIT0_Lb1EE4typeES8_NS0_13TensorArgTypeES9_S9_EUllE0_EEvNS0_6detail10TensorInfoIT_T1_EESF_NSC_IKS6_SE_EElS8_S8_SE_T6_
; %bb.0:
	s_load_dword s2, s[4:5], 0x514
	s_load_dwordx8 s[8:15], s[4:5], 0x4e0
	s_add_u32 s0, s4, 0x508
	s_addc_u32 s1, s5, 0
	v_mov_b32_e32 v2, 0
	s_waitcnt lgkmcnt(0)
	s_and_b32 s2, s2, 0xffff
	s_mul_i32 s6, s6, s2
	v_add_u32_e32 v0, s6, v0
	v_mov_b32_e32 v1, v2
	v_cmp_gt_i64_e32 vcc, s[14:15], v[0:1]
	s_and_saveexec_b64 s[6:7], vcc
	s_cbranch_execz .LBB39_17
; %bb.1:
	s_load_dword s22, s[4:5], 0x4d8
	s_load_dword s3, s[0:1], 0x0
	s_add_u32 s23, s4, 0x340
	s_addc_u32 s24, s5, 0
	s_load_dwordx2 s[6:7], s[4:5], 0x0
	s_load_dwordx2 s[16:17], s[4:5], 0xd0
	;; [unrolled: 1-line block ×4, first 2 shown]
	s_waitcnt lgkmcnt(0)
	s_cmp_gt_i32 s22, 1
	s_cselect_b64 s[0:1], -1, 0
	s_sub_u32 s33, s12, s10
	s_subb_u32 s36, s13, s11
	s_mul_i32 s37, s3, s2
	s_mov_b32 s3, 0
	s_add_i32 s2, s22, -1
	s_add_i32 s38, s22, 1
	s_lshl_b64 s[2:3], s[2:3], 3
	s_add_u32 s2, s23, s2
	s_addc_u32 s3, s24, s3
	s_add_u32 s4, s2, 8
	v_cndmask_b32_e64 v3, 0, 1, s[0:1]
	s_addc_u32 s5, s3, 0
	s_mov_b64 s[22:23], 0
	v_cmp_ne_u32_e64 s[0:1], 1, v3
	s_branch .LBB39_3
.LBB39_2:                               ;   in Loop: Header=BB39_3 Depth=1
	s_or_b64 exec, exec, s[24:25]
	v_add_co_u32_e32 v0, vcc, s37, v0
	v_addc_co_u32_e32 v1, vcc, 0, v1, vcc
	v_cmp_le_i64_e32 vcc, s[14:15], v[0:1]
	s_or_b64 s[22:23], vcc, s[22:23]
	s_andn2_b64 exec, exec, s[22:23]
	s_cbranch_execz .LBB39_17
.LBB39_3:                               ; =>This Loop Header: Depth=1
                                        ;     Child Loop BB39_4 Depth 2
                                        ;     Child Loop BB39_16 Depth 2
	v_mov_b32_e32 v4, 0
	v_mov_b32_e32 v7, v1
	;; [unrolled: 1-line block ×4, first 2 shown]
	s_and_b64 vcc, exec, s[0:1]
	s_mov_b64 s[24:25], s[4:5]
	s_mov_b32 s39, s38
	v_mov_b32_e32 v6, v0
	v_mov_b32_e32 v8, v0
	s_cbranch_vccnz .LBB39_10
.LBB39_4:                               ;   Parent Loop BB39_3 Depth=1
                                        ; =>  This Inner Loop Header: Depth=2
	s_load_dwordx2 s[26:27], s[24:25], 0x0
                                        ; implicit-def: $vgpr8_vgpr9
	s_waitcnt lgkmcnt(0)
	v_or_b32_e32 v3, s27, v7
	v_cmp_ne_u64_e32 vcc, 0, v[2:3]
	s_and_saveexec_b64 s[2:3], vcc
	s_xor_b64 s[28:29], exec, s[2:3]
	s_cbranch_execz .LBB39_6
; %bb.5:                                ;   in Loop: Header=BB39_4 Depth=2
	s_ashr_i32 s30, s27, 31
	s_add_u32 s2, s26, s30
	s_mov_b32 s31, s30
	s_addc_u32 s3, s27, s30
	s_xor_b64 s[34:35], s[2:3], s[30:31]
	v_cvt_f32_u32_e32 v3, s34
	v_cvt_f32_u32_e32 v8, s35
	s_sub_u32 s31, 0, s34
	s_subb_u32 s40, 0, s35
	v_mac_f32_e32 v3, 0x4f800000, v8
	v_rcp_f32_e32 v3, v3
	v_mul_f32_e32 v3, 0x5f7ffffc, v3
	v_mul_f32_e32 v8, 0x2f800000, v3
	v_trunc_f32_e32 v8, v8
	v_mac_f32_e32 v3, 0xcf800000, v8
	v_cvt_u32_f32_e32 v8, v8
	v_cvt_u32_f32_e32 v3, v3
	v_readfirstlane_b32 s41, v8
	v_readfirstlane_b32 s2, v3
	s_mul_i32 s3, s31, s41
	s_mul_hi_u32 s43, s31, s2
	s_mul_i32 s42, s40, s2
	s_add_i32 s3, s43, s3
	s_add_i32 s3, s3, s42
	s_mul_i32 s44, s31, s2
	s_mul_i32 s43, s2, s3
	s_mul_hi_u32 s45, s2, s44
	s_mul_hi_u32 s42, s2, s3
	s_add_u32 s43, s45, s43
	s_addc_u32 s42, 0, s42
	s_mul_hi_u32 s46, s41, s44
	s_mul_i32 s44, s41, s44
	s_add_u32 s43, s43, s44
	s_mul_hi_u32 s45, s41, s3
	s_addc_u32 s42, s42, s46
	s_addc_u32 s43, s45, 0
	s_mul_i32 s3, s41, s3
	s_add_u32 s3, s42, s3
	s_addc_u32 s42, 0, s43
	s_add_u32 s43, s2, s3
	s_cselect_b64 s[2:3], -1, 0
	s_cmp_lg_u64 s[2:3], 0
	s_addc_u32 s41, s41, s42
	s_mul_i32 s2, s31, s41
	s_mul_hi_u32 s3, s31, s43
	s_add_i32 s2, s3, s2
	s_mul_i32 s40, s40, s43
	s_add_i32 s2, s2, s40
	s_mul_i32 s31, s31, s43
	s_mul_hi_u32 s40, s41, s31
	s_mul_i32 s42, s41, s31
	s_mul_i32 s45, s43, s2
	s_mul_hi_u32 s31, s43, s31
	s_mul_hi_u32 s44, s43, s2
	s_add_u32 s31, s31, s45
	s_addc_u32 s44, 0, s44
	s_add_u32 s31, s31, s42
	s_mul_hi_u32 s3, s41, s2
	s_addc_u32 s31, s44, s40
	s_addc_u32 s3, s3, 0
	s_mul_i32 s2, s41, s2
	s_add_u32 s2, s31, s2
	s_addc_u32 s31, 0, s3
	s_add_u32 s40, s43, s2
	s_cselect_b64 s[2:3], -1, 0
	v_ashrrev_i32_e32 v3, 31, v7
	s_cmp_lg_u64 s[2:3], 0
	v_add_co_u32_e32 v8, vcc, v6, v3
	s_addc_u32 s31, s41, s31
	v_xor_b32_e32 v12, v8, v3
	v_mad_u64_u32 v[8:9], s[2:3], v12, s31, 0
	v_mul_hi_u32 v11, v12, s40
	v_addc_co_u32_e32 v10, vcc, v7, v3, vcc
	v_xor_b32_e32 v13, v10, v3
	v_add_co_u32_e32 v14, vcc, v11, v8
	v_addc_co_u32_e32 v15, vcc, 0, v9, vcc
	v_mad_u64_u32 v[8:9], s[2:3], v13, s40, 0
	v_mad_u64_u32 v[10:11], s[2:3], v13, s31, 0
	v_add_co_u32_e32 v8, vcc, v14, v8
	v_addc_co_u32_e32 v8, vcc, v15, v9, vcc
	v_addc_co_u32_e32 v9, vcc, 0, v11, vcc
	v_add_co_u32_e32 v10, vcc, v8, v10
	v_addc_co_u32_e32 v11, vcc, 0, v9, vcc
	v_mul_lo_u32 v14, s35, v10
	v_mul_lo_u32 v15, s34, v11
	v_mad_u64_u32 v[8:9], s[2:3], s34, v10, 0
	v_xor_b32_e32 v3, s30, v3
	v_add3_u32 v9, v9, v15, v14
	v_sub_u32_e32 v14, v13, v9
	v_mov_b32_e32 v15, s35
	v_sub_co_u32_e32 v8, vcc, v12, v8
	v_subb_co_u32_e64 v12, s[2:3], v14, v15, vcc
	v_subrev_co_u32_e64 v14, s[2:3], s34, v8
	v_subbrev_co_u32_e64 v12, s[2:3], 0, v12, s[2:3]
	v_cmp_le_u32_e64 s[2:3], s35, v12
	v_cndmask_b32_e64 v15, 0, -1, s[2:3]
	v_cmp_le_u32_e64 s[2:3], s34, v14
	v_cndmask_b32_e64 v14, 0, -1, s[2:3]
	v_cmp_eq_u32_e64 s[2:3], s35, v12
	v_cndmask_b32_e64 v12, v15, v14, s[2:3]
	v_add_co_u32_e64 v14, s[2:3], 2, v10
	v_subb_co_u32_e32 v9, vcc, v13, v9, vcc
	v_addc_co_u32_e64 v15, s[2:3], 0, v11, s[2:3]
	v_cmp_le_u32_e32 vcc, s35, v9
	v_add_co_u32_e64 v16, s[2:3], 1, v10
	v_cndmask_b32_e64 v13, 0, -1, vcc
	v_cmp_le_u32_e32 vcc, s34, v8
	v_addc_co_u32_e64 v17, s[2:3], 0, v11, s[2:3]
	v_cndmask_b32_e64 v8, 0, -1, vcc
	v_cmp_eq_u32_e32 vcc, s35, v9
	v_cmp_ne_u32_e64 s[2:3], 0, v12
	v_cndmask_b32_e32 v8, v13, v8, vcc
	v_cndmask_b32_e64 v12, v17, v15, s[2:3]
	v_cmp_ne_u32_e32 vcc, 0, v8
	v_cndmask_b32_e64 v9, v16, v14, s[2:3]
	v_cndmask_b32_e32 v8, v11, v12, vcc
	v_cndmask_b32_e32 v9, v10, v9, vcc
	v_xor_b32_e32 v10, v8, v3
	v_xor_b32_e32 v8, v9, v3
	v_sub_co_u32_e32 v8, vcc, v8, v3
	v_subb_co_u32_e32 v9, vcc, v10, v3, vcc
.LBB39_6:                               ;   in Loop: Header=BB39_4 Depth=2
	s_andn2_saveexec_b64 s[2:3], s[28:29]
	s_cbranch_execz .LBB39_8
; %bb.7:                                ;   in Loop: Header=BB39_4 Depth=2
	v_cvt_f32_u32_e32 v3, s26
	s_sub_i32 s28, 0, s26
	v_rcp_iflag_f32_e32 v3, v3
	v_mul_f32_e32 v3, 0x4f7ffffe, v3
	v_cvt_u32_f32_e32 v3, v3
	v_mul_lo_u32 v8, s28, v3
	v_mul_hi_u32 v8, v3, v8
	v_add_u32_e32 v3, v3, v8
	v_mul_hi_u32 v3, v6, v3
	v_mul_lo_u32 v8, v3, s26
	v_add_u32_e32 v9, 1, v3
	v_sub_u32_e32 v8, v6, v8
	v_subrev_u32_e32 v10, s26, v8
	v_cmp_le_u32_e32 vcc, s26, v8
	v_cndmask_b32_e32 v8, v8, v10, vcc
	v_cndmask_b32_e32 v3, v3, v9, vcc
	v_add_u32_e32 v9, 1, v3
	v_cmp_le_u32_e32 vcc, s26, v8
	v_cndmask_b32_e32 v8, v3, v9, vcc
	v_mov_b32_e32 v9, v2
.LBB39_8:                               ;   in Loop: Header=BB39_4 Depth=2
	s_or_b64 exec, exec, s[2:3]
	v_mul_lo_u32 v3, v9, s26
	v_mul_lo_u32 v12, v8, s27
	v_mad_u64_u32 v[10:11], s[2:3], v8, s26, 0
	s_load_dwordx2 s[2:3], s[24:25], 0xc8
	s_add_i32 s39, s39, -1
	v_add3_u32 v3, v11, v12, v3
	v_sub_co_u32_e32 v6, vcc, v6, v10
	v_subb_co_u32_e32 v3, vcc, v7, v3, vcc
	s_waitcnt lgkmcnt(0)
	v_mul_lo_u32 v3, s2, v3
	v_mul_lo_u32 v7, s3, v6
	v_mad_u64_u32 v[4:5], s[2:3], s2, v6, v[4:5]
	s_add_u32 s24, s24, -8
	s_addc_u32 s25, s25, -1
	s_cmp_gt_u32 s39, 2
	v_add3_u32 v5, v7, v5, v3
	s_cbranch_scc0 .LBB39_10
; %bb.9:                                ;   in Loop: Header=BB39_4 Depth=2
	v_mov_b32_e32 v6, v8
	v_mov_b32_e32 v7, v9
	s_branch .LBB39_4
.LBB39_10:                              ;   in Loop: Header=BB39_3 Depth=1
	v_mul_lo_u32 v3, s19, v8
	v_mul_lo_u32 v9, s18, v9
	v_mad_u64_u32 v[6:7], s[2:3], s18, v8, 0
	v_add3_u32 v7, v7, v9, v3
	v_lshlrev_b64 v[6:7], 3, v[6:7]
	v_mov_b32_e32 v3, s21
	v_add_co_u32_e32 v6, vcc, s20, v6
	v_addc_co_u32_e32 v7, vcc, v3, v7, vcc
	v_lshlrev_b64 v[3:4], 3, v[4:5]
	v_add_co_u32_e32 v3, vcc, v6, v3
	v_addc_co_u32_e32 v4, vcc, v7, v4, vcc
	global_load_dwordx2 v[3:4], v[3:4], off
	s_waitcnt vmcnt(0)
	v_cmp_le_i64_e32 vcc, s[10:11], v[3:4]
	v_cmp_ge_i64_e64 s[2:3], s[12:13], v[3:4]
	s_and_b64 s[2:3], vcc, s[2:3]
	s_and_saveexec_b64 s[24:25], s[2:3]
	s_cbranch_execz .LBB39_2
; %bb.11:                               ;   in Loop: Header=BB39_3 Depth=1
	v_mov_b32_e32 v5, s11
	v_subrev_co_u32_e32 v3, vcc, s10, v3
	v_subb_co_u32_e32 v4, vcc, v4, v5, vcc
	v_mul_lo_u32 v6, v4, s8
	v_mul_lo_u32 v7, v3, s9
	v_mad_u64_u32 v[4:5], s[2:3], v3, s8, 0
	v_add3_u32 v5, v5, v7, v6
	v_or_b32_e32 v3, s36, v5
	v_cmp_ne_u64_e32 vcc, 0, v[2:3]
                                        ; implicit-def: $vgpr6_vgpr7
	s_and_saveexec_b64 s[2:3], vcc
	s_xor_b64 s[26:27], exec, s[2:3]
	s_cbranch_execz .LBB39_13
; %bb.12:                               ;   in Loop: Header=BB39_3 Depth=1
	s_ashr_i32 s28, s36, 31
	s_add_u32 s2, s33, s28
	s_mov_b32 s29, s28
	s_addc_u32 s3, s36, s28
	s_xor_b64 s[30:31], s[2:3], s[28:29]
	v_cvt_f32_u32_e32 v3, s30
	v_cvt_f32_u32_e32 v6, s31
	s_sub_u32 s29, 0, s30
	s_subb_u32 s34, 0, s31
	v_ashrrev_i32_e32 v7, 31, v5
	v_mac_f32_e32 v3, 0x4f800000, v6
	v_rcp_f32_e32 v3, v3
	v_mul_f32_e32 v3, 0x5f7ffffc, v3
	v_mul_f32_e32 v6, 0x2f800000, v3
	v_trunc_f32_e32 v6, v6
	v_mac_f32_e32 v3, 0xcf800000, v6
	v_cvt_u32_f32_e32 v6, v6
	v_cvt_u32_f32_e32 v3, v3
	v_readfirstlane_b32 s35, v6
	v_readfirstlane_b32 s2, v3
	s_mul_i32 s3, s29, s35
	s_mul_hi_u32 s40, s29, s2
	s_mul_i32 s39, s34, s2
	s_add_i32 s3, s40, s3
	s_add_i32 s3, s3, s39
	s_mul_i32 s41, s29, s2
	s_mul_i32 s40, s2, s3
	s_mul_hi_u32 s42, s2, s41
	s_mul_hi_u32 s39, s2, s3
	s_add_u32 s40, s42, s40
	s_addc_u32 s39, 0, s39
	s_mul_hi_u32 s43, s35, s41
	s_mul_i32 s41, s35, s41
	s_add_u32 s40, s40, s41
	s_mul_hi_u32 s42, s35, s3
	s_addc_u32 s39, s39, s43
	s_addc_u32 s40, s42, 0
	s_mul_i32 s3, s35, s3
	s_add_u32 s3, s39, s3
	s_addc_u32 s39, 0, s40
	s_add_u32 s40, s2, s3
	s_cselect_b64 s[2:3], -1, 0
	s_cmp_lg_u64 s[2:3], 0
	s_addc_u32 s35, s35, s39
	s_mul_i32 s2, s29, s35
	s_mul_hi_u32 s3, s29, s40
	s_add_i32 s2, s3, s2
	s_mul_i32 s34, s34, s40
	s_add_i32 s2, s2, s34
	s_mul_i32 s29, s29, s40
	s_mul_hi_u32 s34, s35, s29
	s_mul_i32 s39, s35, s29
	s_mul_i32 s42, s40, s2
	s_mul_hi_u32 s29, s40, s29
	s_mul_hi_u32 s41, s40, s2
	s_add_u32 s29, s29, s42
	s_addc_u32 s41, 0, s41
	s_add_u32 s29, s29, s39
	s_mul_hi_u32 s3, s35, s2
	s_addc_u32 s29, s41, s34
	s_addc_u32 s3, s3, 0
	s_mul_i32 s2, s35, s2
	s_add_u32 s2, s29, s2
	s_addc_u32 s29, 0, s3
	s_add_u32 s34, s40, s2
	s_cselect_b64 s[2:3], -1, 0
	s_cmp_lg_u64 s[2:3], 0
	v_add_co_u32_e32 v3, vcc, v4, v7
	s_addc_u32 s29, s35, s29
	v_xor_b32_e32 v8, v3, v7
	v_mad_u64_u32 v[3:4], s[2:3], v8, s29, 0
	v_mul_hi_u32 v6, v8, s34
	v_addc_co_u32_e32 v5, vcc, v5, v7, vcc
	v_xor_b32_e32 v9, v5, v7
	v_add_co_u32_e32 v10, vcc, v6, v3
	v_addc_co_u32_e32 v11, vcc, 0, v4, vcc
	v_mad_u64_u32 v[3:4], s[2:3], v9, s34, 0
	v_mad_u64_u32 v[5:6], s[2:3], v9, s29, 0
	v_add_co_u32_e32 v3, vcc, v10, v3
	v_addc_co_u32_e32 v3, vcc, v11, v4, vcc
	v_addc_co_u32_e32 v4, vcc, 0, v6, vcc
	v_add_co_u32_e32 v5, vcc, v3, v5
	v_addc_co_u32_e32 v3, vcc, 0, v4, vcc
	v_mul_lo_u32 v6, s31, v5
	v_mul_lo_u32 v10, s30, v3
	v_mad_u64_u32 v[3:4], s[2:3], s30, v5, 0
	v_add3_u32 v4, v4, v10, v6
	v_sub_u32_e32 v6, v9, v4
	v_mov_b32_e32 v10, s31
	v_sub_co_u32_e32 v3, vcc, v8, v3
	v_subb_co_u32_e64 v6, s[2:3], v6, v10, vcc
	v_subrev_co_u32_e64 v8, s[2:3], s30, v3
	v_subbrev_co_u32_e64 v6, s[2:3], 0, v6, s[2:3]
	v_cmp_le_u32_e64 s[2:3], s31, v6
	v_subb_co_u32_e32 v4, vcc, v9, v4, vcc
	v_cndmask_b32_e64 v10, 0, -1, s[2:3]
	v_cmp_le_u32_e64 s[2:3], s30, v8
	v_cmp_le_u32_e32 vcc, s31, v4
	v_cndmask_b32_e64 v8, 0, -1, s[2:3]
	v_cmp_eq_u32_e64 s[2:3], s31, v6
	v_cndmask_b32_e64 v9, 0, -1, vcc
	v_cmp_le_u32_e32 vcc, s30, v3
	v_cndmask_b32_e64 v6, v10, v8, s[2:3]
	v_cndmask_b32_e64 v3, 0, -1, vcc
	v_cmp_eq_u32_e32 vcc, s31, v4
	v_add_co_u32_e64 v8, s[2:3], 2, v5
	v_add_co_u32_e64 v10, s[2:3], 1, v5
	v_cndmask_b32_e32 v3, v9, v3, vcc
	v_cmp_ne_u32_e32 vcc, 0, v6
	v_cndmask_b32_e32 v4, v10, v8, vcc
	v_cmp_ne_u32_e32 vcc, 0, v3
	v_cndmask_b32_e32 v3, v5, v4, vcc
	v_xor_b32_e32 v4, s28, v7
	v_xor_b32_e32 v3, v3, v4
	v_sub_co_u32_e32 v6, vcc, v3, v4
                                        ; implicit-def: $vgpr4_vgpr5
.LBB39_13:                              ;   in Loop: Header=BB39_3 Depth=1
	s_andn2_saveexec_b64 s[2:3], s[26:27]
	s_cbranch_execz .LBB39_15
; %bb.14:                               ;   in Loop: Header=BB39_3 Depth=1
	v_cvt_f32_u32_e32 v3, s33
	s_sub_i32 s26, 0, s33
	v_rcp_iflag_f32_e32 v3, v3
	v_mul_f32_e32 v3, 0x4f7ffffe, v3
	v_cvt_u32_f32_e32 v3, v3
	v_mul_lo_u32 v5, s26, v3
	v_mul_hi_u32 v5, v3, v5
	v_add_u32_e32 v3, v3, v5
	v_mul_hi_u32 v3, v4, v3
	v_mul_lo_u32 v5, v3, s33
	v_add_u32_e32 v6, 1, v3
	v_sub_u32_e32 v4, v4, v5
	v_subrev_u32_e32 v5, s33, v4
	v_cmp_le_u32_e32 vcc, s33, v4
	v_cndmask_b32_e32 v4, v4, v5, vcc
	v_cndmask_b32_e32 v3, v3, v6, vcc
	v_add_u32_e32 v5, 1, v3
	v_cmp_le_u32_e32 vcc, s33, v4
	v_cndmask_b32_e32 v6, v3, v5, vcc
.LBB39_15:                              ;   in Loop: Header=BB39_3 Depth=1
	s_or_b64 exec, exec, s[2:3]
	v_ashrrev_i32_e32 v7, 31, v6
	v_cmp_eq_u64_e32 vcc, s[8:9], v[6:7]
	v_cndmask_b32_e64 v3, 0, 1, vcc
	v_sub_co_u32_e32 v3, vcc, v6, v3
	v_subbrev_co_u32_e32 v4, vcc, 0, v7, vcc
	v_mul_lo_u32 v5, v4, s16
	v_mul_lo_u32 v6, v3, s17
	v_mad_u64_u32 v[3:4], s[2:3], v3, s16, 0
	s_mov_b64 s[2:3], 0
	v_add3_u32 v4, v4, v6, v5
	v_lshlrev_b64 v[3:4], 2, v[3:4]
	v_mov_b32_e32 v5, s7
	v_add_co_u32_e32 v3, vcc, s6, v3
	v_addc_co_u32_e32 v4, vcc, v5, v4, vcc
	global_load_dword v6, v[3:4], off
.LBB39_16:                              ;   Parent Loop BB39_3 Depth=1
                                        ; =>  This Inner Loop Header: Depth=2
	s_waitcnt vmcnt(0)
	v_add_f32_e32 v5, 1.0, v6
	global_atomic_cmpswap v5, v[3:4], v[5:6], off glc
	s_waitcnt vmcnt(0)
	v_cmp_eq_u32_e32 vcc, v5, v6
	s_or_b64 s[2:3], vcc, s[2:3]
	v_mov_b32_e32 v6, v5
	s_andn2_b64 exec, exec, s[2:3]
	s_cbranch_execnz .LBB39_16
	s_branch .LBB39_2
.LBB39_17:
	s_endpgm
	.section	.rodata,"a",@progbits
	.p2align	6, 0x0
	.amdhsa_kernel _ZN2at4cuda17kernelHistogram1DIfllLi1ELi2ELin1ELNS0_23CUDAHistogramMemoryTypeE1EZNS0_21CUDA_tensor_histogramIflLb1EEEbNS_6TensorES4_S4_lNS_14AccumulateTypeIT0_Lb1EE4typeES8_NS0_13TensorArgTypeES9_S9_EUllE0_EEvNS0_6detail10TensorInfoIT_T1_EESF_NSC_IKS6_SE_EElS8_S8_SE_T6_
		.amdhsa_group_segment_fixed_size 0
		.amdhsa_private_segment_fixed_size 0
		.amdhsa_kernarg_size 1544
		.amdhsa_user_sgpr_count 6
		.amdhsa_user_sgpr_private_segment_buffer 1
		.amdhsa_user_sgpr_dispatch_ptr 0
		.amdhsa_user_sgpr_queue_ptr 0
		.amdhsa_user_sgpr_kernarg_segment_ptr 1
		.amdhsa_user_sgpr_dispatch_id 0
		.amdhsa_user_sgpr_flat_scratch_init 0
		.amdhsa_user_sgpr_private_segment_size 0
		.amdhsa_uses_dynamic_stack 0
		.amdhsa_system_sgpr_private_segment_wavefront_offset 0
		.amdhsa_system_sgpr_workgroup_id_x 1
		.amdhsa_system_sgpr_workgroup_id_y 0
		.amdhsa_system_sgpr_workgroup_id_z 0
		.amdhsa_system_sgpr_workgroup_info 0
		.amdhsa_system_vgpr_workitem_id 0
		.amdhsa_next_free_vgpr 18
		.amdhsa_next_free_sgpr 47
		.amdhsa_reserve_vcc 1
		.amdhsa_reserve_flat_scratch 0
		.amdhsa_float_round_mode_32 0
		.amdhsa_float_round_mode_16_64 0
		.amdhsa_float_denorm_mode_32 3
		.amdhsa_float_denorm_mode_16_64 3
		.amdhsa_dx10_clamp 1
		.amdhsa_ieee_mode 1
		.amdhsa_fp16_overflow 0
		.amdhsa_exception_fp_ieee_invalid_op 0
		.amdhsa_exception_fp_denorm_src 0
		.amdhsa_exception_fp_ieee_div_zero 0
		.amdhsa_exception_fp_ieee_overflow 0
		.amdhsa_exception_fp_ieee_underflow 0
		.amdhsa_exception_fp_ieee_inexact 0
		.amdhsa_exception_int_div_zero 0
	.end_amdhsa_kernel
	.section	.text._ZN2at4cuda17kernelHistogram1DIfllLi1ELi2ELin1ELNS0_23CUDAHistogramMemoryTypeE1EZNS0_21CUDA_tensor_histogramIflLb1EEEbNS_6TensorES4_S4_lNS_14AccumulateTypeIT0_Lb1EE4typeES8_NS0_13TensorArgTypeES9_S9_EUllE0_EEvNS0_6detail10TensorInfoIT_T1_EESF_NSC_IKS6_SE_EElS8_S8_SE_T6_,"axG",@progbits,_ZN2at4cuda17kernelHistogram1DIfllLi1ELi2ELin1ELNS0_23CUDAHistogramMemoryTypeE1EZNS0_21CUDA_tensor_histogramIflLb1EEEbNS_6TensorES4_S4_lNS_14AccumulateTypeIT0_Lb1EE4typeES8_NS0_13TensorArgTypeES9_S9_EUllE0_EEvNS0_6detail10TensorInfoIT_T1_EESF_NSC_IKS6_SE_EElS8_S8_SE_T6_,comdat
.Lfunc_end39:
	.size	_ZN2at4cuda17kernelHistogram1DIfllLi1ELi2ELin1ELNS0_23CUDAHistogramMemoryTypeE1EZNS0_21CUDA_tensor_histogramIflLb1EEEbNS_6TensorES4_S4_lNS_14AccumulateTypeIT0_Lb1EE4typeES8_NS0_13TensorArgTypeES9_S9_EUllE0_EEvNS0_6detail10TensorInfoIT_T1_EESF_NSC_IKS6_SE_EElS8_S8_SE_T6_, .Lfunc_end39-_ZN2at4cuda17kernelHistogram1DIfllLi1ELi2ELin1ELNS0_23CUDAHistogramMemoryTypeE1EZNS0_21CUDA_tensor_histogramIflLb1EEEbNS_6TensorES4_S4_lNS_14AccumulateTypeIT0_Lb1EE4typeES8_NS0_13TensorArgTypeES9_S9_EUllE0_EEvNS0_6detail10TensorInfoIT_T1_EESF_NSC_IKS6_SE_EElS8_S8_SE_T6_
                                        ; -- End function
	.set _ZN2at4cuda17kernelHistogram1DIfllLi1ELi2ELin1ELNS0_23CUDAHistogramMemoryTypeE1EZNS0_21CUDA_tensor_histogramIflLb1EEEbNS_6TensorES4_S4_lNS_14AccumulateTypeIT0_Lb1EE4typeES8_NS0_13TensorArgTypeES9_S9_EUllE0_EEvNS0_6detail10TensorInfoIT_T1_EESF_NSC_IKS6_SE_EElS8_S8_SE_T6_.num_vgpr, 18
	.set _ZN2at4cuda17kernelHistogram1DIfllLi1ELi2ELin1ELNS0_23CUDAHistogramMemoryTypeE1EZNS0_21CUDA_tensor_histogramIflLb1EEEbNS_6TensorES4_S4_lNS_14AccumulateTypeIT0_Lb1EE4typeES8_NS0_13TensorArgTypeES9_S9_EUllE0_EEvNS0_6detail10TensorInfoIT_T1_EESF_NSC_IKS6_SE_EElS8_S8_SE_T6_.num_agpr, 0
	.set _ZN2at4cuda17kernelHistogram1DIfllLi1ELi2ELin1ELNS0_23CUDAHistogramMemoryTypeE1EZNS0_21CUDA_tensor_histogramIflLb1EEEbNS_6TensorES4_S4_lNS_14AccumulateTypeIT0_Lb1EE4typeES8_NS0_13TensorArgTypeES9_S9_EUllE0_EEvNS0_6detail10TensorInfoIT_T1_EESF_NSC_IKS6_SE_EElS8_S8_SE_T6_.numbered_sgpr, 47
	.set _ZN2at4cuda17kernelHistogram1DIfllLi1ELi2ELin1ELNS0_23CUDAHistogramMemoryTypeE1EZNS0_21CUDA_tensor_histogramIflLb1EEEbNS_6TensorES4_S4_lNS_14AccumulateTypeIT0_Lb1EE4typeES8_NS0_13TensorArgTypeES9_S9_EUllE0_EEvNS0_6detail10TensorInfoIT_T1_EESF_NSC_IKS6_SE_EElS8_S8_SE_T6_.num_named_barrier, 0
	.set _ZN2at4cuda17kernelHistogram1DIfllLi1ELi2ELin1ELNS0_23CUDAHistogramMemoryTypeE1EZNS0_21CUDA_tensor_histogramIflLb1EEEbNS_6TensorES4_S4_lNS_14AccumulateTypeIT0_Lb1EE4typeES8_NS0_13TensorArgTypeES9_S9_EUllE0_EEvNS0_6detail10TensorInfoIT_T1_EESF_NSC_IKS6_SE_EElS8_S8_SE_T6_.private_seg_size, 0
	.set _ZN2at4cuda17kernelHistogram1DIfllLi1ELi2ELin1ELNS0_23CUDAHistogramMemoryTypeE1EZNS0_21CUDA_tensor_histogramIflLb1EEEbNS_6TensorES4_S4_lNS_14AccumulateTypeIT0_Lb1EE4typeES8_NS0_13TensorArgTypeES9_S9_EUllE0_EEvNS0_6detail10TensorInfoIT_T1_EESF_NSC_IKS6_SE_EElS8_S8_SE_T6_.uses_vcc, 1
	.set _ZN2at4cuda17kernelHistogram1DIfllLi1ELi2ELin1ELNS0_23CUDAHistogramMemoryTypeE1EZNS0_21CUDA_tensor_histogramIflLb1EEEbNS_6TensorES4_S4_lNS_14AccumulateTypeIT0_Lb1EE4typeES8_NS0_13TensorArgTypeES9_S9_EUllE0_EEvNS0_6detail10TensorInfoIT_T1_EESF_NSC_IKS6_SE_EElS8_S8_SE_T6_.uses_flat_scratch, 0
	.set _ZN2at4cuda17kernelHistogram1DIfllLi1ELi2ELin1ELNS0_23CUDAHistogramMemoryTypeE1EZNS0_21CUDA_tensor_histogramIflLb1EEEbNS_6TensorES4_S4_lNS_14AccumulateTypeIT0_Lb1EE4typeES8_NS0_13TensorArgTypeES9_S9_EUllE0_EEvNS0_6detail10TensorInfoIT_T1_EESF_NSC_IKS6_SE_EElS8_S8_SE_T6_.has_dyn_sized_stack, 0
	.set _ZN2at4cuda17kernelHistogram1DIfllLi1ELi2ELin1ELNS0_23CUDAHistogramMemoryTypeE1EZNS0_21CUDA_tensor_histogramIflLb1EEEbNS_6TensorES4_S4_lNS_14AccumulateTypeIT0_Lb1EE4typeES8_NS0_13TensorArgTypeES9_S9_EUllE0_EEvNS0_6detail10TensorInfoIT_T1_EESF_NSC_IKS6_SE_EElS8_S8_SE_T6_.has_recursion, 0
	.set _ZN2at4cuda17kernelHistogram1DIfllLi1ELi2ELin1ELNS0_23CUDAHistogramMemoryTypeE1EZNS0_21CUDA_tensor_histogramIflLb1EEEbNS_6TensorES4_S4_lNS_14AccumulateTypeIT0_Lb1EE4typeES8_NS0_13TensorArgTypeES9_S9_EUllE0_EEvNS0_6detail10TensorInfoIT_T1_EESF_NSC_IKS6_SE_EElS8_S8_SE_T6_.has_indirect_call, 0
	.section	.AMDGPU.csdata,"",@progbits
; Kernel info:
; codeLenInByte = 2112
; TotalNumSgprs: 51
; NumVgprs: 18
; ScratchSize: 0
; MemoryBound: 0
; FloatMode: 240
; IeeeMode: 1
; LDSByteSize: 0 bytes/workgroup (compile time only)
; SGPRBlocks: 6
; VGPRBlocks: 4
; NumSGPRsForWavesPerEU: 51
; NumVGPRsForWavesPerEU: 18
; Occupancy: 10
; WaveLimiterHint : 1
; COMPUTE_PGM_RSRC2:SCRATCH_EN: 0
; COMPUTE_PGM_RSRC2:USER_SGPR: 6
; COMPUTE_PGM_RSRC2:TRAP_HANDLER: 0
; COMPUTE_PGM_RSRC2:TGID_X_EN: 1
; COMPUTE_PGM_RSRC2:TGID_Y_EN: 0
; COMPUTE_PGM_RSRC2:TGID_Z_EN: 0
; COMPUTE_PGM_RSRC2:TIDIG_COMP_CNT: 0
	.section	.text._ZN2at4cuda17kernelHistogram1DIlllLi1ELi2ELin1ELNS0_23CUDAHistogramMemoryTypeE0EZNS0_21CUDA_tensor_histogramIllLb0EEEbNS_6TensorES4_S4_lNS_14AccumulateTypeIT0_Lb1EE4typeES8_NS0_13TensorArgTypeES9_S9_EUllE_EEvNS0_6detail10TensorInfoIT_T1_EESF_NSC_IKS6_SE_EElS8_S8_SE_T6_,"axG",@progbits,_ZN2at4cuda17kernelHistogram1DIlllLi1ELi2ELin1ELNS0_23CUDAHistogramMemoryTypeE0EZNS0_21CUDA_tensor_histogramIllLb0EEEbNS_6TensorES4_S4_lNS_14AccumulateTypeIT0_Lb1EE4typeES8_NS0_13TensorArgTypeES9_S9_EUllE_EEvNS0_6detail10TensorInfoIT_T1_EESF_NSC_IKS6_SE_EElS8_S8_SE_T6_,comdat
	.protected	_ZN2at4cuda17kernelHistogram1DIlllLi1ELi2ELin1ELNS0_23CUDAHistogramMemoryTypeE0EZNS0_21CUDA_tensor_histogramIllLb0EEEbNS_6TensorES4_S4_lNS_14AccumulateTypeIT0_Lb1EE4typeES8_NS0_13TensorArgTypeES9_S9_EUllE_EEvNS0_6detail10TensorInfoIT_T1_EESF_NSC_IKS6_SE_EElS8_S8_SE_T6_ ; -- Begin function _ZN2at4cuda17kernelHistogram1DIlllLi1ELi2ELin1ELNS0_23CUDAHistogramMemoryTypeE0EZNS0_21CUDA_tensor_histogramIllLb0EEEbNS_6TensorES4_S4_lNS_14AccumulateTypeIT0_Lb1EE4typeES8_NS0_13TensorArgTypeES9_S9_EUllE_EEvNS0_6detail10TensorInfoIT_T1_EESF_NSC_IKS6_SE_EElS8_S8_SE_T6_
	.globl	_ZN2at4cuda17kernelHistogram1DIlllLi1ELi2ELin1ELNS0_23CUDAHistogramMemoryTypeE0EZNS0_21CUDA_tensor_histogramIllLb0EEEbNS_6TensorES4_S4_lNS_14AccumulateTypeIT0_Lb1EE4typeES8_NS0_13TensorArgTypeES9_S9_EUllE_EEvNS0_6detail10TensorInfoIT_T1_EESF_NSC_IKS6_SE_EElS8_S8_SE_T6_
	.p2align	8
	.type	_ZN2at4cuda17kernelHistogram1DIlllLi1ELi2ELin1ELNS0_23CUDAHistogramMemoryTypeE0EZNS0_21CUDA_tensor_histogramIllLb0EEEbNS_6TensorES4_S4_lNS_14AccumulateTypeIT0_Lb1EE4typeES8_NS0_13TensorArgTypeES9_S9_EUllE_EEvNS0_6detail10TensorInfoIT_T1_EESF_NSC_IKS6_SE_EElS8_S8_SE_T6_,@function
_ZN2at4cuda17kernelHistogram1DIlllLi1ELi2ELin1ELNS0_23CUDAHistogramMemoryTypeE0EZNS0_21CUDA_tensor_histogramIllLb0EEEbNS_6TensorES4_S4_lNS_14AccumulateTypeIT0_Lb1EE4typeES8_NS0_13TensorArgTypeES9_S9_EUllE_EEvNS0_6detail10TensorInfoIT_T1_EESF_NSC_IKS6_SE_EElS8_S8_SE_T6_: ; @_ZN2at4cuda17kernelHistogram1DIlllLi1ELi2ELin1ELNS0_23CUDAHistogramMemoryTypeE0EZNS0_21CUDA_tensor_histogramIllLb0EEEbNS_6TensorES4_S4_lNS_14AccumulateTypeIT0_Lb1EE4typeES8_NS0_13TensorArgTypeES9_S9_EUllE_EEvNS0_6detail10TensorInfoIT_T1_EESF_NSC_IKS6_SE_EElS8_S8_SE_T6_
; %bb.0:
	s_load_dwordx4 s[16:19], s[4:5], 0x0
	s_load_dwordx2 s[20:21], s[4:5], 0x500
	s_load_dwordx8 s[8:15], s[4:5], 0x4e0
	v_mov_b32_e32 v1, 0
	s_add_u32 s2, s4, 0x6a0
	s_waitcnt lgkmcnt(0)
	v_cmp_gt_i64_e64 s[0:1], s[18:19], v[0:1]
	v_cmp_le_i64_e32 vcc, s[18:19], v[0:1]
	s_addc_u32 s3, s5, 0
                                        ; implicit-def: $sgpr7
                                        ; implicit-def: $sgpr28
	s_and_saveexec_b64 s[22:23], vcc
	s_xor_b64 s[22:23], exec, s[22:23]
	s_cbranch_execz .LBB40_2
; %bb.1:
	s_load_dword s7, s[2:3], 0xc
	s_waitcnt lgkmcnt(0)
	s_and_b32 s28, s7, 0xffff
.LBB40_2:
	s_or_saveexec_b64 s[26:27], s[22:23]
	s_load_dwordx2 s[22:23], s[4:5], 0xd0
	s_load_dwordx2 s[24:25], s[4:5], 0x5d0
	v_mov_b32_e32 v14, s7
	v_mov_b32_e32 v13, s28
	v_lshl_add_u32 v12, v0, 3, 0
	s_xor_b64 exec, exec, s[26:27]
	s_cbranch_execz .LBB40_6
; %bb.3:
	s_load_dword s7, s[2:3], 0xc
	v_mov_b32_e32 v2, 0
	v_mov_b32_e32 v5, v1
	v_lshl_add_u32 v6, v0, 3, 0
	s_mov_b64 s[28:29], 0
	s_waitcnt lgkmcnt(0)
	s_and_b32 s30, s7, 0xffff
	v_mov_b32_e32 v3, v2
	s_lshl_b32 s31, s30, 3
	v_mov_b32_e32 v4, v0
.LBB40_4:                               ; =>This Inner Loop Header: Depth=1
	v_add_co_u32_e32 v4, vcc, s30, v4
	v_addc_co_u32_e32 v5, vcc, 0, v5, vcc
	v_cmp_le_i64_e32 vcc, s[18:19], v[4:5]
	ds_write_b64 v6, v[2:3]
	s_or_b64 s[28:29], vcc, s[28:29]
	v_add_u32_e32 v6, s31, v6
	s_andn2_b64 exec, exec, s[28:29]
	s_cbranch_execnz .LBB40_4
; %bb.5:
	s_or_b64 exec, exec, s[28:29]
	v_mov_b32_e32 v14, s7
	v_mov_b32_e32 v13, s30
.LBB40_6:
	s_or_b64 exec, exec, s[26:27]
	v_mad_u64_u32 v[2:3], s[6:7], s6, v13, v[0:1]
	v_mov_b32_e32 v4, 0
	v_mov_b32_e32 v3, v4
	v_cmp_gt_i64_e32 vcc, s[14:15], v[2:3]
	s_waitcnt lgkmcnt(0)
	s_barrier
	s_and_saveexec_b64 s[6:7], vcc
	s_cbranch_execz .LBB40_22
; %bb.7:
	s_load_dword s30, s[4:5], 0x4d8
	s_load_dwordx2 s[28:29], s[4:5], 0x340
	s_add_u32 s31, s4, 0x340
	s_addc_u32 s35, s5, 0
	s_load_dword s34, s[2:3], 0x0
	s_load_dwordx2 s[26:27], s[4:5], 0x410
	s_waitcnt lgkmcnt(0)
	s_cmp_gt_i32 s30, 1
	s_cselect_b64 s[2:3], -1, 0
	s_sub_u32 s33, s12, s10
	s_subb_u32 s46, s13, s11
	s_mov_b32 s5, 0
	s_add_i32 s4, s30, -1
	s_add_i32 s47, s30, 1
	s_lshl_b64 s[4:5], s[4:5], 3
	v_mul_lo_u32 v15, s34, v13
	s_add_u32 s4, s31, s4
	s_addc_u32 s5, s35, s5
	s_add_u32 s30, s4, 8
	v_cndmask_b32_e64 v5, 0, 1, s[2:3]
	s_addc_u32 s31, s5, 0
	s_mov_b64 s[34:35], 0
	v_cmp_ne_u32_e64 s[2:3], 1, v5
	s_branch .LBB40_10
.LBB40_8:                               ;   in Loop: Header=BB40_10 Depth=1
	s_or_b64 exec, exec, s[4:5]
	v_mul_lo_u32 v7, v3, s24
	v_mul_lo_u32 v9, v2, s25
	v_mad_u64_u32 v[5:6], s[4:5], v2, s24, 0
	v_add3_u32 v6, v6, v9, v7
	v_lshlrev_b64 v[5:6], 3, v[5:6]
	v_mov_b32_e32 v7, s21
	v_add_co_u32_e32 v5, vcc, s20, v5
	v_addc_co_u32_e32 v6, vcc, v7, v6, vcc
	global_load_dwordx2 v[5:6], v[5:6], off
	v_ashrrev_i32_e32 v9, 31, v8
	v_cmp_eq_u64_e32 vcc, s[8:9], v[8:9]
	v_subbrev_co_u32_e32 v7, vcc, 0, v8, vcc
	v_lshl_add_u32 v7, v7, 3, 0
	s_waitcnt vmcnt(0)
	ds_add_u64 v7, v[5:6]
.LBB40_9:                               ;   in Loop: Header=BB40_10 Depth=1
	s_or_b64 exec, exec, s[36:37]
	v_add_co_u32_e32 v2, vcc, v2, v15
	v_addc_co_u32_e32 v3, vcc, 0, v3, vcc
	v_cmp_le_i64_e32 vcc, s[14:15], v[2:3]
	s_or_b64 s[34:35], vcc, s[34:35]
	s_andn2_b64 exec, exec, s[34:35]
	s_cbranch_execz .LBB40_22
.LBB40_10:                              ; =>This Loop Header: Depth=1
                                        ;     Child Loop BB40_11 Depth 2
	v_mov_b32_e32 v6, 0
	v_mov_b32_e32 v9, v3
	;; [unrolled: 1-line block ×4, first 2 shown]
	s_and_b64 vcc, exec, s[2:3]
	s_mov_b64 s[36:37], s[30:31]
	s_mov_b32 s48, s47
	v_mov_b32_e32 v8, v2
	v_mov_b32_e32 v10, v2
	s_cbranch_vccnz .LBB40_17
.LBB40_11:                              ;   Parent Loop BB40_10 Depth=1
                                        ; =>  This Inner Loop Header: Depth=2
	s_load_dwordx2 s[38:39], s[36:37], 0x0
                                        ; implicit-def: $vgpr10_vgpr11
	s_waitcnt lgkmcnt(0)
	v_or_b32_e32 v5, s39, v9
	v_cmp_ne_u64_e32 vcc, 0, v[4:5]
	s_and_saveexec_b64 s[4:5], vcc
	s_xor_b64 s[40:41], exec, s[4:5]
	s_cbranch_execz .LBB40_13
; %bb.12:                               ;   in Loop: Header=BB40_11 Depth=2
	s_ashr_i32 s42, s39, 31
	s_add_u32 s4, s38, s42
	s_mov_b32 s43, s42
	s_addc_u32 s5, s39, s42
	s_xor_b64 s[44:45], s[4:5], s[42:43]
	v_cvt_f32_u32_e32 v5, s44
	v_cvt_f32_u32_e32 v10, s45
	s_sub_u32 s43, 0, s44
	s_subb_u32 s49, 0, s45
	v_mac_f32_e32 v5, 0x4f800000, v10
	v_rcp_f32_e32 v5, v5
	v_mul_f32_e32 v5, 0x5f7ffffc, v5
	v_mul_f32_e32 v10, 0x2f800000, v5
	v_trunc_f32_e32 v10, v10
	v_mac_f32_e32 v5, 0xcf800000, v10
	v_cvt_u32_f32_e32 v10, v10
	v_cvt_u32_f32_e32 v5, v5
	v_readfirstlane_b32 s50, v10
	v_readfirstlane_b32 s4, v5
	s_mul_i32 s5, s43, s50
	s_mul_hi_u32 s52, s43, s4
	s_mul_i32 s51, s49, s4
	s_add_i32 s5, s52, s5
	s_add_i32 s5, s5, s51
	s_mul_i32 s53, s43, s4
	s_mul_i32 s52, s4, s5
	s_mul_hi_u32 s54, s4, s53
	s_mul_hi_u32 s51, s4, s5
	s_add_u32 s52, s54, s52
	s_addc_u32 s51, 0, s51
	s_mul_hi_u32 s55, s50, s53
	s_mul_i32 s53, s50, s53
	s_add_u32 s52, s52, s53
	s_mul_hi_u32 s54, s50, s5
	s_addc_u32 s51, s51, s55
	s_addc_u32 s52, s54, 0
	s_mul_i32 s5, s50, s5
	s_add_u32 s5, s51, s5
	s_addc_u32 s51, 0, s52
	s_add_u32 s52, s4, s5
	s_cselect_b64 s[4:5], -1, 0
	s_cmp_lg_u64 s[4:5], 0
	s_addc_u32 s50, s50, s51
	s_mul_i32 s4, s43, s50
	s_mul_hi_u32 s5, s43, s52
	s_add_i32 s4, s5, s4
	s_mul_i32 s49, s49, s52
	s_add_i32 s4, s4, s49
	s_mul_i32 s43, s43, s52
	s_mul_hi_u32 s49, s50, s43
	s_mul_i32 s51, s50, s43
	s_mul_i32 s54, s52, s4
	s_mul_hi_u32 s43, s52, s43
	s_mul_hi_u32 s53, s52, s4
	s_add_u32 s43, s43, s54
	s_addc_u32 s53, 0, s53
	s_add_u32 s43, s43, s51
	s_mul_hi_u32 s5, s50, s4
	s_addc_u32 s43, s53, s49
	s_addc_u32 s5, s5, 0
	s_mul_i32 s4, s50, s4
	s_add_u32 s4, s43, s4
	s_addc_u32 s43, 0, s5
	s_add_u32 s49, s52, s4
	s_cselect_b64 s[4:5], -1, 0
	v_ashrrev_i32_e32 v5, 31, v9
	s_cmp_lg_u64 s[4:5], 0
	v_add_co_u32_e32 v10, vcc, v8, v5
	s_addc_u32 s43, s50, s43
	v_xor_b32_e32 v18, v10, v5
	v_mad_u64_u32 v[10:11], s[4:5], v18, s43, 0
	v_mul_hi_u32 v17, v18, s49
	v_addc_co_u32_e32 v16, vcc, v9, v5, vcc
	v_xor_b32_e32 v19, v16, v5
	v_add_co_u32_e32 v20, vcc, v17, v10
	v_addc_co_u32_e32 v21, vcc, 0, v11, vcc
	v_mad_u64_u32 v[10:11], s[4:5], v19, s49, 0
	v_mad_u64_u32 v[16:17], s[4:5], v19, s43, 0
	v_add_co_u32_e32 v10, vcc, v20, v10
	v_addc_co_u32_e32 v10, vcc, v21, v11, vcc
	v_addc_co_u32_e32 v11, vcc, 0, v17, vcc
	v_add_co_u32_e32 v16, vcc, v10, v16
	v_addc_co_u32_e32 v17, vcc, 0, v11, vcc
	v_mul_lo_u32 v20, s45, v16
	v_mul_lo_u32 v21, s44, v17
	v_mad_u64_u32 v[10:11], s[4:5], s44, v16, 0
	v_xor_b32_e32 v5, s42, v5
	v_add3_u32 v11, v11, v21, v20
	v_sub_u32_e32 v20, v19, v11
	v_mov_b32_e32 v21, s45
	v_sub_co_u32_e32 v10, vcc, v18, v10
	v_subb_co_u32_e64 v18, s[4:5], v20, v21, vcc
	v_subrev_co_u32_e64 v20, s[4:5], s44, v10
	v_subbrev_co_u32_e64 v18, s[4:5], 0, v18, s[4:5]
	v_cmp_le_u32_e64 s[4:5], s45, v18
	v_cndmask_b32_e64 v21, 0, -1, s[4:5]
	v_cmp_le_u32_e64 s[4:5], s44, v20
	v_cndmask_b32_e64 v20, 0, -1, s[4:5]
	v_cmp_eq_u32_e64 s[4:5], s45, v18
	v_cndmask_b32_e64 v18, v21, v20, s[4:5]
	v_add_co_u32_e64 v20, s[4:5], 2, v16
	v_subb_co_u32_e32 v11, vcc, v19, v11, vcc
	v_addc_co_u32_e64 v21, s[4:5], 0, v17, s[4:5]
	v_cmp_le_u32_e32 vcc, s45, v11
	v_add_co_u32_e64 v22, s[4:5], 1, v16
	v_cndmask_b32_e64 v19, 0, -1, vcc
	v_cmp_le_u32_e32 vcc, s44, v10
	v_addc_co_u32_e64 v23, s[4:5], 0, v17, s[4:5]
	v_cndmask_b32_e64 v10, 0, -1, vcc
	v_cmp_eq_u32_e32 vcc, s45, v11
	v_cmp_ne_u32_e64 s[4:5], 0, v18
	v_cndmask_b32_e32 v10, v19, v10, vcc
	v_cndmask_b32_e64 v18, v23, v21, s[4:5]
	v_cmp_ne_u32_e32 vcc, 0, v10
	v_cndmask_b32_e64 v11, v22, v20, s[4:5]
	v_cndmask_b32_e32 v10, v17, v18, vcc
	v_cndmask_b32_e32 v11, v16, v11, vcc
	v_xor_b32_e32 v16, v10, v5
	v_xor_b32_e32 v10, v11, v5
	v_sub_co_u32_e32 v10, vcc, v10, v5
	v_subb_co_u32_e32 v11, vcc, v16, v5, vcc
.LBB40_13:                              ;   in Loop: Header=BB40_11 Depth=2
	s_andn2_saveexec_b64 s[4:5], s[40:41]
	s_cbranch_execz .LBB40_15
; %bb.14:                               ;   in Loop: Header=BB40_11 Depth=2
	v_cvt_f32_u32_e32 v5, s38
	s_sub_i32 s40, 0, s38
	v_rcp_iflag_f32_e32 v5, v5
	v_mul_f32_e32 v5, 0x4f7ffffe, v5
	v_cvt_u32_f32_e32 v5, v5
	v_mul_lo_u32 v10, s40, v5
	v_mul_hi_u32 v10, v5, v10
	v_add_u32_e32 v5, v5, v10
	v_mul_hi_u32 v5, v8, v5
	v_mul_lo_u32 v10, v5, s38
	v_add_u32_e32 v11, 1, v5
	v_sub_u32_e32 v10, v8, v10
	v_subrev_u32_e32 v16, s38, v10
	v_cmp_le_u32_e32 vcc, s38, v10
	v_cndmask_b32_e32 v10, v10, v16, vcc
	v_cndmask_b32_e32 v5, v5, v11, vcc
	v_add_u32_e32 v11, 1, v5
	v_cmp_le_u32_e32 vcc, s38, v10
	v_cndmask_b32_e32 v10, v5, v11, vcc
	v_mov_b32_e32 v11, v4
.LBB40_15:                              ;   in Loop: Header=BB40_11 Depth=2
	s_or_b64 exec, exec, s[4:5]
	v_mul_lo_u32 v5, v11, s38
	v_mul_lo_u32 v18, v10, s39
	v_mad_u64_u32 v[16:17], s[4:5], v10, s38, 0
	s_load_dwordx2 s[4:5], s[36:37], 0xc8
	s_add_i32 s48, s48, -1
	v_add3_u32 v5, v17, v18, v5
	v_sub_co_u32_e32 v8, vcc, v8, v16
	v_subb_co_u32_e32 v5, vcc, v9, v5, vcc
	s_waitcnt lgkmcnt(0)
	v_mul_lo_u32 v5, s4, v5
	v_mul_lo_u32 v9, s5, v8
	v_mad_u64_u32 v[6:7], s[4:5], s4, v8, v[6:7]
	s_add_u32 s36, s36, -8
	s_addc_u32 s37, s37, -1
	s_cmp_gt_u32 s48, 2
	v_add3_u32 v7, v9, v7, v5
	s_cbranch_scc0 .LBB40_17
; %bb.16:                               ;   in Loop: Header=BB40_11 Depth=2
	v_mov_b32_e32 v8, v10
	v_mov_b32_e32 v9, v11
	s_branch .LBB40_11
.LBB40_17:                              ;   in Loop: Header=BB40_10 Depth=1
	v_mul_lo_u32 v5, s27, v10
	v_mul_lo_u32 v11, s26, v11
	v_mad_u64_u32 v[8:9], s[4:5], s26, v10, 0
	v_add3_u32 v9, v9, v11, v5
	v_lshlrev_b64 v[8:9], 3, v[8:9]
	v_mov_b32_e32 v5, s29
	v_add_co_u32_e32 v8, vcc, s28, v8
	v_addc_co_u32_e32 v9, vcc, v5, v9, vcc
	v_lshlrev_b64 v[5:6], 3, v[6:7]
	v_add_co_u32_e32 v5, vcc, v8, v5
	v_addc_co_u32_e32 v6, vcc, v9, v6, vcc
	global_load_dwordx2 v[5:6], v[5:6], off
	s_waitcnt vmcnt(0)
	v_cmp_le_i64_e32 vcc, s[10:11], v[5:6]
	v_cmp_ge_i64_e64 s[4:5], s[12:13], v[5:6]
	s_and_b64 s[4:5], vcc, s[4:5]
	s_and_saveexec_b64 s[36:37], s[4:5]
	s_cbranch_execz .LBB40_9
; %bb.18:                               ;   in Loop: Header=BB40_10 Depth=1
	v_mov_b32_e32 v7, s11
	v_subrev_co_u32_e32 v5, vcc, s10, v5
	v_subb_co_u32_e32 v6, vcc, v6, v7, vcc
	v_mul_lo_u32 v8, v6, s8
	v_mul_lo_u32 v9, v5, s9
	v_mad_u64_u32 v[6:7], s[4:5], v5, s8, 0
	v_add3_u32 v7, v7, v9, v8
	v_or_b32_e32 v5, s46, v7
	v_cmp_ne_u64_e32 vcc, 0, v[4:5]
                                        ; implicit-def: $vgpr8_vgpr9
	s_and_saveexec_b64 s[4:5], vcc
	s_xor_b64 s[38:39], exec, s[4:5]
	s_cbranch_execz .LBB40_20
; %bb.19:                               ;   in Loop: Header=BB40_10 Depth=1
	s_ashr_i32 s40, s46, 31
	s_add_u32 s4, s33, s40
	s_mov_b32 s41, s40
	s_addc_u32 s5, s46, s40
	s_xor_b64 s[42:43], s[4:5], s[40:41]
	v_cvt_f32_u32_e32 v5, s42
	v_cvt_f32_u32_e32 v8, s43
	s_sub_u32 s41, 0, s42
	s_subb_u32 s44, 0, s43
	v_ashrrev_i32_e32 v9, 31, v7
	v_mac_f32_e32 v5, 0x4f800000, v8
	v_rcp_f32_e32 v5, v5
	v_mul_f32_e32 v5, 0x5f7ffffc, v5
	v_mul_f32_e32 v8, 0x2f800000, v5
	v_trunc_f32_e32 v8, v8
	v_mac_f32_e32 v5, 0xcf800000, v8
	v_cvt_u32_f32_e32 v8, v8
	v_cvt_u32_f32_e32 v5, v5
	v_readfirstlane_b32 s45, v8
	v_readfirstlane_b32 s4, v5
	s_mul_i32 s5, s41, s45
	s_mul_hi_u32 s49, s41, s4
	s_mul_i32 s48, s44, s4
	s_add_i32 s5, s49, s5
	s_add_i32 s5, s5, s48
	s_mul_i32 s50, s41, s4
	s_mul_i32 s49, s4, s5
	s_mul_hi_u32 s51, s4, s50
	s_mul_hi_u32 s48, s4, s5
	s_add_u32 s49, s51, s49
	s_addc_u32 s48, 0, s48
	s_mul_hi_u32 s52, s45, s50
	s_mul_i32 s50, s45, s50
	s_add_u32 s49, s49, s50
	s_mul_hi_u32 s51, s45, s5
	s_addc_u32 s48, s48, s52
	s_addc_u32 s49, s51, 0
	s_mul_i32 s5, s45, s5
	s_add_u32 s5, s48, s5
	s_addc_u32 s48, 0, s49
	s_add_u32 s49, s4, s5
	s_cselect_b64 s[4:5], -1, 0
	s_cmp_lg_u64 s[4:5], 0
	s_addc_u32 s45, s45, s48
	s_mul_i32 s4, s41, s45
	s_mul_hi_u32 s5, s41, s49
	s_add_i32 s4, s5, s4
	s_mul_i32 s44, s44, s49
	s_add_i32 s4, s4, s44
	s_mul_i32 s41, s41, s49
	s_mul_hi_u32 s44, s45, s41
	s_mul_i32 s48, s45, s41
	s_mul_i32 s51, s49, s4
	s_mul_hi_u32 s41, s49, s41
	s_mul_hi_u32 s50, s49, s4
	s_add_u32 s41, s41, s51
	s_addc_u32 s50, 0, s50
	s_add_u32 s41, s41, s48
	s_mul_hi_u32 s5, s45, s4
	s_addc_u32 s41, s50, s44
	s_addc_u32 s5, s5, 0
	s_mul_i32 s4, s45, s4
	s_add_u32 s4, s41, s4
	s_addc_u32 s41, 0, s5
	s_add_u32 s44, s49, s4
	s_cselect_b64 s[4:5], -1, 0
	s_cmp_lg_u64 s[4:5], 0
	v_add_co_u32_e32 v5, vcc, v6, v9
	s_addc_u32 s41, s45, s41
	v_xor_b32_e32 v10, v5, v9
	v_mad_u64_u32 v[5:6], s[4:5], v10, s41, 0
	v_mul_hi_u32 v8, v10, s44
	v_addc_co_u32_e32 v7, vcc, v7, v9, vcc
	v_xor_b32_e32 v11, v7, v9
	v_add_co_u32_e32 v16, vcc, v8, v5
	v_addc_co_u32_e32 v17, vcc, 0, v6, vcc
	v_mad_u64_u32 v[5:6], s[4:5], v11, s44, 0
	v_mad_u64_u32 v[7:8], s[4:5], v11, s41, 0
	v_add_co_u32_e32 v5, vcc, v16, v5
	v_addc_co_u32_e32 v5, vcc, v17, v6, vcc
	v_addc_co_u32_e32 v6, vcc, 0, v8, vcc
	v_add_co_u32_e32 v7, vcc, v5, v7
	v_addc_co_u32_e32 v5, vcc, 0, v6, vcc
	v_mul_lo_u32 v8, s43, v7
	v_mul_lo_u32 v16, s42, v5
	v_mad_u64_u32 v[5:6], s[4:5], s42, v7, 0
	v_add3_u32 v6, v6, v16, v8
	v_sub_u32_e32 v8, v11, v6
	v_mov_b32_e32 v16, s43
	v_sub_co_u32_e32 v5, vcc, v10, v5
	v_subb_co_u32_e64 v8, s[4:5], v8, v16, vcc
	v_subrev_co_u32_e64 v10, s[4:5], s42, v5
	v_subbrev_co_u32_e64 v8, s[4:5], 0, v8, s[4:5]
	v_cmp_le_u32_e64 s[4:5], s43, v8
	v_subb_co_u32_e32 v6, vcc, v11, v6, vcc
	v_cndmask_b32_e64 v16, 0, -1, s[4:5]
	v_cmp_le_u32_e64 s[4:5], s42, v10
	v_cmp_le_u32_e32 vcc, s43, v6
	v_cndmask_b32_e64 v10, 0, -1, s[4:5]
	v_cmp_eq_u32_e64 s[4:5], s43, v8
	v_cndmask_b32_e64 v11, 0, -1, vcc
	v_cmp_le_u32_e32 vcc, s42, v5
	v_cndmask_b32_e64 v8, v16, v10, s[4:5]
	v_cndmask_b32_e64 v5, 0, -1, vcc
	v_cmp_eq_u32_e32 vcc, s43, v6
	v_add_co_u32_e64 v10, s[4:5], 2, v7
	v_add_co_u32_e64 v16, s[4:5], 1, v7
	v_cndmask_b32_e32 v5, v11, v5, vcc
	v_cmp_ne_u32_e32 vcc, 0, v8
	v_cndmask_b32_e32 v6, v16, v10, vcc
	v_cmp_ne_u32_e32 vcc, 0, v5
	v_cndmask_b32_e32 v5, v7, v6, vcc
	v_xor_b32_e32 v6, s40, v9
	v_xor_b32_e32 v5, v5, v6
	v_sub_co_u32_e32 v8, vcc, v5, v6
                                        ; implicit-def: $vgpr6_vgpr7
.LBB40_20:                              ;   in Loop: Header=BB40_10 Depth=1
	s_andn2_saveexec_b64 s[4:5], s[38:39]
	s_cbranch_execz .LBB40_8
; %bb.21:                               ;   in Loop: Header=BB40_10 Depth=1
	v_cvt_f32_u32_e32 v5, s33
	s_sub_i32 s38, 0, s33
	v_rcp_iflag_f32_e32 v5, v5
	v_mul_f32_e32 v5, 0x4f7ffffe, v5
	v_cvt_u32_f32_e32 v5, v5
	v_mul_lo_u32 v7, s38, v5
	v_mul_hi_u32 v7, v5, v7
	v_add_u32_e32 v5, v5, v7
	v_mul_hi_u32 v5, v6, v5
	v_mul_lo_u32 v7, v5, s33
	v_add_u32_e32 v8, 1, v5
	v_sub_u32_e32 v6, v6, v7
	v_subrev_u32_e32 v7, s33, v6
	v_cmp_le_u32_e32 vcc, s33, v6
	v_cndmask_b32_e32 v6, v6, v7, vcc
	v_cndmask_b32_e32 v5, v5, v8, vcc
	v_add_u32_e32 v7, 1, v5
	v_cmp_le_u32_e32 vcc, s33, v6
	v_cndmask_b32_e32 v8, v5, v7, vcc
	s_branch .LBB40_8
.LBB40_22:
	s_or_b64 exec, exec, s[6:7]
; %bb.23:
	s_waitcnt lgkmcnt(0)
	s_barrier
	s_and_saveexec_b64 s[2:3], s[0:1]
	s_cbranch_execz .LBB40_26
; %bb.24:
	v_mad_u64_u32 v[2:3], s[0:1], s22, v0, 0
	v_and_b32_e32 v6, 0xffff, v14
	v_mov_b32_e32 v9, s17
	v_mad_u64_u32 v[3:4], s[0:1], s23, v0, v[3:4]
	v_mad_u64_u32 v[4:5], s[0:1], s22, v6, 0
	v_lshlrev_b64 v[2:3], 3, v[2:3]
	v_mad_u64_u32 v[7:8], s[0:1], s23, v6, v[5:6]
	v_add_co_u32_e32 v2, vcc, s16, v2
	v_mov_b32_e32 v5, v7
	v_lshlrev_b64 v[4:5], 3, v[4:5]
	v_addc_co_u32_e32 v3, vcc, v9, v3, vcc
	v_lshlrev_b32_e32 v7, 3, v13
	s_mov_b64 s[0:1], 0
.LBB40_25:                              ; =>This Inner Loop Header: Depth=1
	ds_read_b64 v[8:9], v12
	v_add_co_u32_e32 v0, vcc, v0, v6
	v_addc_co_u32_e32 v1, vcc, 0, v1, vcc
	s_waitcnt lgkmcnt(0)
	global_atomic_add_x2 v[2:3], v[8:9], off
	v_cmp_le_i64_e32 vcc, s[18:19], v[0:1]
	v_add_u32_e32 v12, v12, v7
	s_or_b64 s[0:1], vcc, s[0:1]
	v_add_co_u32_e32 v2, vcc, v2, v4
	v_addc_co_u32_e32 v3, vcc, v3, v5, vcc
	s_andn2_b64 exec, exec, s[0:1]
	s_cbranch_execnz .LBB40_25
.LBB40_26:
	s_endpgm
	.section	.rodata,"a",@progbits
	.p2align	6, 0x0
	.amdhsa_kernel _ZN2at4cuda17kernelHistogram1DIlllLi1ELi2ELin1ELNS0_23CUDAHistogramMemoryTypeE0EZNS0_21CUDA_tensor_histogramIllLb0EEEbNS_6TensorES4_S4_lNS_14AccumulateTypeIT0_Lb1EE4typeES8_NS0_13TensorArgTypeES9_S9_EUllE_EEvNS0_6detail10TensorInfoIT_T1_EESF_NSC_IKS6_SE_EElS8_S8_SE_T6_
		.amdhsa_group_segment_fixed_size 0
		.amdhsa_private_segment_fixed_size 0
		.amdhsa_kernarg_size 1952
		.amdhsa_user_sgpr_count 6
		.amdhsa_user_sgpr_private_segment_buffer 1
		.amdhsa_user_sgpr_dispatch_ptr 0
		.amdhsa_user_sgpr_queue_ptr 0
		.amdhsa_user_sgpr_kernarg_segment_ptr 1
		.amdhsa_user_sgpr_dispatch_id 0
		.amdhsa_user_sgpr_flat_scratch_init 0
		.amdhsa_user_sgpr_private_segment_size 0
		.amdhsa_uses_dynamic_stack 0
		.amdhsa_system_sgpr_private_segment_wavefront_offset 0
		.amdhsa_system_sgpr_workgroup_id_x 1
		.amdhsa_system_sgpr_workgroup_id_y 0
		.amdhsa_system_sgpr_workgroup_id_z 0
		.amdhsa_system_sgpr_workgroup_info 0
		.amdhsa_system_vgpr_workitem_id 0
		.amdhsa_next_free_vgpr 24
		.amdhsa_next_free_sgpr 56
		.amdhsa_reserve_vcc 1
		.amdhsa_reserve_flat_scratch 0
		.amdhsa_float_round_mode_32 0
		.amdhsa_float_round_mode_16_64 0
		.amdhsa_float_denorm_mode_32 3
		.amdhsa_float_denorm_mode_16_64 3
		.amdhsa_dx10_clamp 1
		.amdhsa_ieee_mode 1
		.amdhsa_fp16_overflow 0
		.amdhsa_exception_fp_ieee_invalid_op 0
		.amdhsa_exception_fp_denorm_src 0
		.amdhsa_exception_fp_ieee_div_zero 0
		.amdhsa_exception_fp_ieee_overflow 0
		.amdhsa_exception_fp_ieee_underflow 0
		.amdhsa_exception_fp_ieee_inexact 0
		.amdhsa_exception_int_div_zero 0
	.end_amdhsa_kernel
	.section	.text._ZN2at4cuda17kernelHistogram1DIlllLi1ELi2ELin1ELNS0_23CUDAHistogramMemoryTypeE0EZNS0_21CUDA_tensor_histogramIllLb0EEEbNS_6TensorES4_S4_lNS_14AccumulateTypeIT0_Lb1EE4typeES8_NS0_13TensorArgTypeES9_S9_EUllE_EEvNS0_6detail10TensorInfoIT_T1_EESF_NSC_IKS6_SE_EElS8_S8_SE_T6_,"axG",@progbits,_ZN2at4cuda17kernelHistogram1DIlllLi1ELi2ELin1ELNS0_23CUDAHistogramMemoryTypeE0EZNS0_21CUDA_tensor_histogramIllLb0EEEbNS_6TensorES4_S4_lNS_14AccumulateTypeIT0_Lb1EE4typeES8_NS0_13TensorArgTypeES9_S9_EUllE_EEvNS0_6detail10TensorInfoIT_T1_EESF_NSC_IKS6_SE_EElS8_S8_SE_T6_,comdat
.Lfunc_end40:
	.size	_ZN2at4cuda17kernelHistogram1DIlllLi1ELi2ELin1ELNS0_23CUDAHistogramMemoryTypeE0EZNS0_21CUDA_tensor_histogramIllLb0EEEbNS_6TensorES4_S4_lNS_14AccumulateTypeIT0_Lb1EE4typeES8_NS0_13TensorArgTypeES9_S9_EUllE_EEvNS0_6detail10TensorInfoIT_T1_EESF_NSC_IKS6_SE_EElS8_S8_SE_T6_, .Lfunc_end40-_ZN2at4cuda17kernelHistogram1DIlllLi1ELi2ELin1ELNS0_23CUDAHistogramMemoryTypeE0EZNS0_21CUDA_tensor_histogramIllLb0EEEbNS_6TensorES4_S4_lNS_14AccumulateTypeIT0_Lb1EE4typeES8_NS0_13TensorArgTypeES9_S9_EUllE_EEvNS0_6detail10TensorInfoIT_T1_EESF_NSC_IKS6_SE_EElS8_S8_SE_T6_
                                        ; -- End function
	.set _ZN2at4cuda17kernelHistogram1DIlllLi1ELi2ELin1ELNS0_23CUDAHistogramMemoryTypeE0EZNS0_21CUDA_tensor_histogramIllLb0EEEbNS_6TensorES4_S4_lNS_14AccumulateTypeIT0_Lb1EE4typeES8_NS0_13TensorArgTypeES9_S9_EUllE_EEvNS0_6detail10TensorInfoIT_T1_EESF_NSC_IKS6_SE_EElS8_S8_SE_T6_.num_vgpr, 24
	.set _ZN2at4cuda17kernelHistogram1DIlllLi1ELi2ELin1ELNS0_23CUDAHistogramMemoryTypeE0EZNS0_21CUDA_tensor_histogramIllLb0EEEbNS_6TensorES4_S4_lNS_14AccumulateTypeIT0_Lb1EE4typeES8_NS0_13TensorArgTypeES9_S9_EUllE_EEvNS0_6detail10TensorInfoIT_T1_EESF_NSC_IKS6_SE_EElS8_S8_SE_T6_.num_agpr, 0
	.set _ZN2at4cuda17kernelHistogram1DIlllLi1ELi2ELin1ELNS0_23CUDAHistogramMemoryTypeE0EZNS0_21CUDA_tensor_histogramIllLb0EEEbNS_6TensorES4_S4_lNS_14AccumulateTypeIT0_Lb1EE4typeES8_NS0_13TensorArgTypeES9_S9_EUllE_EEvNS0_6detail10TensorInfoIT_T1_EESF_NSC_IKS6_SE_EElS8_S8_SE_T6_.numbered_sgpr, 56
	.set _ZN2at4cuda17kernelHistogram1DIlllLi1ELi2ELin1ELNS0_23CUDAHistogramMemoryTypeE0EZNS0_21CUDA_tensor_histogramIllLb0EEEbNS_6TensorES4_S4_lNS_14AccumulateTypeIT0_Lb1EE4typeES8_NS0_13TensorArgTypeES9_S9_EUllE_EEvNS0_6detail10TensorInfoIT_T1_EESF_NSC_IKS6_SE_EElS8_S8_SE_T6_.num_named_barrier, 0
	.set _ZN2at4cuda17kernelHistogram1DIlllLi1ELi2ELin1ELNS0_23CUDAHistogramMemoryTypeE0EZNS0_21CUDA_tensor_histogramIllLb0EEEbNS_6TensorES4_S4_lNS_14AccumulateTypeIT0_Lb1EE4typeES8_NS0_13TensorArgTypeES9_S9_EUllE_EEvNS0_6detail10TensorInfoIT_T1_EESF_NSC_IKS6_SE_EElS8_S8_SE_T6_.private_seg_size, 0
	.set _ZN2at4cuda17kernelHistogram1DIlllLi1ELi2ELin1ELNS0_23CUDAHistogramMemoryTypeE0EZNS0_21CUDA_tensor_histogramIllLb0EEEbNS_6TensorES4_S4_lNS_14AccumulateTypeIT0_Lb1EE4typeES8_NS0_13TensorArgTypeES9_S9_EUllE_EEvNS0_6detail10TensorInfoIT_T1_EESF_NSC_IKS6_SE_EElS8_S8_SE_T6_.uses_vcc, 1
	.set _ZN2at4cuda17kernelHistogram1DIlllLi1ELi2ELin1ELNS0_23CUDAHistogramMemoryTypeE0EZNS0_21CUDA_tensor_histogramIllLb0EEEbNS_6TensorES4_S4_lNS_14AccumulateTypeIT0_Lb1EE4typeES8_NS0_13TensorArgTypeES9_S9_EUllE_EEvNS0_6detail10TensorInfoIT_T1_EESF_NSC_IKS6_SE_EElS8_S8_SE_T6_.uses_flat_scratch, 0
	.set _ZN2at4cuda17kernelHistogram1DIlllLi1ELi2ELin1ELNS0_23CUDAHistogramMemoryTypeE0EZNS0_21CUDA_tensor_histogramIllLb0EEEbNS_6TensorES4_S4_lNS_14AccumulateTypeIT0_Lb1EE4typeES8_NS0_13TensorArgTypeES9_S9_EUllE_EEvNS0_6detail10TensorInfoIT_T1_EESF_NSC_IKS6_SE_EElS8_S8_SE_T6_.has_dyn_sized_stack, 0
	.set _ZN2at4cuda17kernelHistogram1DIlllLi1ELi2ELin1ELNS0_23CUDAHistogramMemoryTypeE0EZNS0_21CUDA_tensor_histogramIllLb0EEEbNS_6TensorES4_S4_lNS_14AccumulateTypeIT0_Lb1EE4typeES8_NS0_13TensorArgTypeES9_S9_EUllE_EEvNS0_6detail10TensorInfoIT_T1_EESF_NSC_IKS6_SE_EElS8_S8_SE_T6_.has_recursion, 0
	.set _ZN2at4cuda17kernelHistogram1DIlllLi1ELi2ELin1ELNS0_23CUDAHistogramMemoryTypeE0EZNS0_21CUDA_tensor_histogramIllLb0EEEbNS_6TensorES4_S4_lNS_14AccumulateTypeIT0_Lb1EE4typeES8_NS0_13TensorArgTypeES9_S9_EUllE_EEvNS0_6detail10TensorInfoIT_T1_EESF_NSC_IKS6_SE_EElS8_S8_SE_T6_.has_indirect_call, 0
	.section	.AMDGPU.csdata,"",@progbits
; Kernel info:
; codeLenInByte = 2424
; TotalNumSgprs: 60
; NumVgprs: 24
; ScratchSize: 0
; MemoryBound: 0
; FloatMode: 240
; IeeeMode: 1
; LDSByteSize: 0 bytes/workgroup (compile time only)
; SGPRBlocks: 7
; VGPRBlocks: 5
; NumSGPRsForWavesPerEU: 60
; NumVGPRsForWavesPerEU: 24
; Occupancy: 10
; WaveLimiterHint : 1
; COMPUTE_PGM_RSRC2:SCRATCH_EN: 0
; COMPUTE_PGM_RSRC2:USER_SGPR: 6
; COMPUTE_PGM_RSRC2:TRAP_HANDLER: 0
; COMPUTE_PGM_RSRC2:TGID_X_EN: 1
; COMPUTE_PGM_RSRC2:TGID_Y_EN: 0
; COMPUTE_PGM_RSRC2:TGID_Z_EN: 0
; COMPUTE_PGM_RSRC2:TIDIG_COMP_CNT: 0
	.section	.text._ZN2at4cuda17kernelHistogram1DIlllLi1ELi2ELin1ELNS0_23CUDAHistogramMemoryTypeE1EZNS0_21CUDA_tensor_histogramIllLb0EEEbNS_6TensorES4_S4_lNS_14AccumulateTypeIT0_Lb1EE4typeES8_NS0_13TensorArgTypeES9_S9_EUllE_EEvNS0_6detail10TensorInfoIT_T1_EESF_NSC_IKS6_SE_EElS8_S8_SE_T6_,"axG",@progbits,_ZN2at4cuda17kernelHistogram1DIlllLi1ELi2ELin1ELNS0_23CUDAHistogramMemoryTypeE1EZNS0_21CUDA_tensor_histogramIllLb0EEEbNS_6TensorES4_S4_lNS_14AccumulateTypeIT0_Lb1EE4typeES8_NS0_13TensorArgTypeES9_S9_EUllE_EEvNS0_6detail10TensorInfoIT_T1_EESF_NSC_IKS6_SE_EElS8_S8_SE_T6_,comdat
	.protected	_ZN2at4cuda17kernelHistogram1DIlllLi1ELi2ELin1ELNS0_23CUDAHistogramMemoryTypeE1EZNS0_21CUDA_tensor_histogramIllLb0EEEbNS_6TensorES4_S4_lNS_14AccumulateTypeIT0_Lb1EE4typeES8_NS0_13TensorArgTypeES9_S9_EUllE_EEvNS0_6detail10TensorInfoIT_T1_EESF_NSC_IKS6_SE_EElS8_S8_SE_T6_ ; -- Begin function _ZN2at4cuda17kernelHistogram1DIlllLi1ELi2ELin1ELNS0_23CUDAHistogramMemoryTypeE1EZNS0_21CUDA_tensor_histogramIllLb0EEEbNS_6TensorES4_S4_lNS_14AccumulateTypeIT0_Lb1EE4typeES8_NS0_13TensorArgTypeES9_S9_EUllE_EEvNS0_6detail10TensorInfoIT_T1_EESF_NSC_IKS6_SE_EElS8_S8_SE_T6_
	.globl	_ZN2at4cuda17kernelHistogram1DIlllLi1ELi2ELin1ELNS0_23CUDAHistogramMemoryTypeE1EZNS0_21CUDA_tensor_histogramIllLb0EEEbNS_6TensorES4_S4_lNS_14AccumulateTypeIT0_Lb1EE4typeES8_NS0_13TensorArgTypeES9_S9_EUllE_EEvNS0_6detail10TensorInfoIT_T1_EESF_NSC_IKS6_SE_EElS8_S8_SE_T6_
	.p2align	8
	.type	_ZN2at4cuda17kernelHistogram1DIlllLi1ELi2ELin1ELNS0_23CUDAHistogramMemoryTypeE1EZNS0_21CUDA_tensor_histogramIllLb0EEEbNS_6TensorES4_S4_lNS_14AccumulateTypeIT0_Lb1EE4typeES8_NS0_13TensorArgTypeES9_S9_EUllE_EEvNS0_6detail10TensorInfoIT_T1_EESF_NSC_IKS6_SE_EElS8_S8_SE_T6_,@function
_ZN2at4cuda17kernelHistogram1DIlllLi1ELi2ELin1ELNS0_23CUDAHistogramMemoryTypeE1EZNS0_21CUDA_tensor_histogramIllLb0EEEbNS_6TensorES4_S4_lNS_14AccumulateTypeIT0_Lb1EE4typeES8_NS0_13TensorArgTypeES9_S9_EUllE_EEvNS0_6detail10TensorInfoIT_T1_EESF_NSC_IKS6_SE_EElS8_S8_SE_T6_: ; @_ZN2at4cuda17kernelHistogram1DIlllLi1ELi2ELin1ELNS0_23CUDAHistogramMemoryTypeE1EZNS0_21CUDA_tensor_histogramIllLb0EEEbNS_6TensorES4_S4_lNS_14AccumulateTypeIT0_Lb1EE4typeES8_NS0_13TensorArgTypeES9_S9_EUllE_EEvNS0_6detail10TensorInfoIT_T1_EESF_NSC_IKS6_SE_EElS8_S8_SE_T6_
; %bb.0:
	s_load_dword s2, s[4:5], 0x6ac
	s_load_dwordx8 s[8:15], s[4:5], 0x4e0
	s_add_u32 s0, s4, 0x6a0
	s_addc_u32 s1, s5, 0
	v_mov_b32_e32 v2, 0
	s_waitcnt lgkmcnt(0)
	s_and_b32 s2, s2, 0xffff
	s_mul_i32 s6, s6, s2
	v_add_u32_e32 v0, s6, v0
	v_mov_b32_e32 v1, v2
	v_cmp_gt_i64_e32 vcc, s[14:15], v[0:1]
	s_and_saveexec_b64 s[6:7], vcc
	s_cbranch_execz .LBB41_16
; %bb.1:
	s_load_dwordx2 s[6:7], s[4:5], 0x5d0
	s_load_dword s26, s[4:5], 0x4d8
	s_load_dwordx2 s[16:17], s[4:5], 0x500
	s_load_dword s3, s[0:1], 0x0
	s_add_u32 s27, s4, 0x340
	s_addc_u32 s28, s5, 0
	s_waitcnt lgkmcnt(0)
	s_cmp_gt_i32 s26, 1
	s_cselect_b64 s[0:1], -1, 0
	s_load_dwordx2 s[18:19], s[4:5], 0x0
	s_load_dwordx2 s[20:21], s[4:5], 0xd0
	;; [unrolled: 1-line block ×4, first 2 shown]
	s_sub_u32 s33, s12, s10
	s_subb_u32 s40, s13, s11
	s_mul_i32 s41, s3, s2
	s_mov_b32 s3, 0
	s_add_i32 s2, s26, -1
	s_add_i32 s42, s26, 1
	s_lshl_b64 s[2:3], s[2:3], 3
	s_add_u32 s2, s27, s2
	s_addc_u32 s3, s28, s3
	s_add_u32 s4, s2, 8
	v_cndmask_b32_e64 v3, 0, 1, s[0:1]
	s_addc_u32 s5, s3, 0
	s_mov_b64 s[26:27], 0
	v_cmp_ne_u32_e64 s[0:1], 1, v3
	s_branch .LBB41_4
.LBB41_2:                               ;   in Loop: Header=BB41_4 Depth=1
	s_or_b64 exec, exec, s[2:3]
	v_mul_lo_u32 v5, v1, s6
	v_mul_lo_u32 v7, v0, s7
	v_mad_u64_u32 v[3:4], s[2:3], v0, s6, 0
	v_add3_u32 v4, v4, v7, v5
	v_lshlrev_b64 v[3:4], 3, v[3:4]
	v_mov_b32_e32 v5, s17
	v_add_co_u32_e32 v3, vcc, s16, v3
	v_addc_co_u32_e32 v4, vcc, v5, v4, vcc
	global_load_dwordx2 v[3:4], v[3:4], off
	v_ashrrev_i32_e32 v7, 31, v6
	v_cmp_eq_u64_e32 vcc, s[8:9], v[6:7]
	v_cndmask_b32_e64 v5, 0, 1, vcc
	v_sub_co_u32_e32 v5, vcc, v6, v5
	v_subbrev_co_u32_e32 v6, vcc, 0, v7, vcc
	v_mul_lo_u32 v7, v6, s20
	v_mul_lo_u32 v8, v5, s21
	v_mad_u64_u32 v[5:6], s[2:3], v5, s20, 0
	v_add3_u32 v6, v6, v8, v7
	v_lshlrev_b64 v[5:6], 3, v[5:6]
	v_mov_b32_e32 v7, s19
	v_add_co_u32_e32 v5, vcc, s18, v5
	v_addc_co_u32_e32 v6, vcc, v7, v6, vcc
	s_waitcnt vmcnt(0)
	global_atomic_add_x2 v[5:6], v[3:4], off
.LBB41_3:                               ;   in Loop: Header=BB41_4 Depth=1
	s_or_b64 exec, exec, s[28:29]
	v_add_co_u32_e32 v0, vcc, s41, v0
	v_addc_co_u32_e32 v1, vcc, 0, v1, vcc
	v_cmp_le_i64_e32 vcc, s[14:15], v[0:1]
	s_or_b64 s[26:27], vcc, s[26:27]
	s_andn2_b64 exec, exec, s[26:27]
	s_cbranch_execz .LBB41_16
.LBB41_4:                               ; =>This Loop Header: Depth=1
                                        ;     Child Loop BB41_5 Depth 2
	v_mov_b32_e32 v4, 0
	v_mov_b32_e32 v7, v1
	;; [unrolled: 1-line block ×4, first 2 shown]
	s_and_b64 vcc, exec, s[0:1]
	s_mov_b64 s[28:29], s[4:5]
	s_mov_b32 s43, s42
	v_mov_b32_e32 v6, v0
	v_mov_b32_e32 v8, v0
	s_cbranch_vccnz .LBB41_11
.LBB41_5:                               ;   Parent Loop BB41_4 Depth=1
                                        ; =>  This Inner Loop Header: Depth=2
	s_load_dwordx2 s[30:31], s[28:29], 0x0
                                        ; implicit-def: $vgpr8_vgpr9
	s_waitcnt lgkmcnt(0)
	v_or_b32_e32 v3, s31, v7
	v_cmp_ne_u64_e32 vcc, 0, v[2:3]
	s_and_saveexec_b64 s[2:3], vcc
	s_xor_b64 s[34:35], exec, s[2:3]
	s_cbranch_execz .LBB41_7
; %bb.6:                                ;   in Loop: Header=BB41_5 Depth=2
	s_ashr_i32 s36, s31, 31
	s_add_u32 s2, s30, s36
	s_mov_b32 s37, s36
	s_addc_u32 s3, s31, s36
	s_xor_b64 s[38:39], s[2:3], s[36:37]
	v_cvt_f32_u32_e32 v3, s38
	v_cvt_f32_u32_e32 v8, s39
	s_sub_u32 s37, 0, s38
	s_subb_u32 s44, 0, s39
	v_mac_f32_e32 v3, 0x4f800000, v8
	v_rcp_f32_e32 v3, v3
	v_mul_f32_e32 v3, 0x5f7ffffc, v3
	v_mul_f32_e32 v8, 0x2f800000, v3
	v_trunc_f32_e32 v8, v8
	v_mac_f32_e32 v3, 0xcf800000, v8
	v_cvt_u32_f32_e32 v8, v8
	v_cvt_u32_f32_e32 v3, v3
	v_readfirstlane_b32 s45, v8
	v_readfirstlane_b32 s2, v3
	s_mul_i32 s3, s37, s45
	s_mul_hi_u32 s47, s37, s2
	s_mul_i32 s46, s44, s2
	s_add_i32 s3, s47, s3
	s_add_i32 s3, s3, s46
	s_mul_i32 s48, s37, s2
	s_mul_i32 s47, s2, s3
	s_mul_hi_u32 s49, s2, s48
	s_mul_hi_u32 s46, s2, s3
	s_add_u32 s47, s49, s47
	s_addc_u32 s46, 0, s46
	s_mul_hi_u32 s50, s45, s48
	s_mul_i32 s48, s45, s48
	s_add_u32 s47, s47, s48
	s_mul_hi_u32 s49, s45, s3
	s_addc_u32 s46, s46, s50
	s_addc_u32 s47, s49, 0
	s_mul_i32 s3, s45, s3
	s_add_u32 s3, s46, s3
	s_addc_u32 s46, 0, s47
	s_add_u32 s47, s2, s3
	s_cselect_b64 s[2:3], -1, 0
	s_cmp_lg_u64 s[2:3], 0
	s_addc_u32 s45, s45, s46
	s_mul_i32 s2, s37, s45
	s_mul_hi_u32 s3, s37, s47
	s_add_i32 s2, s3, s2
	s_mul_i32 s44, s44, s47
	s_add_i32 s2, s2, s44
	s_mul_i32 s37, s37, s47
	s_mul_hi_u32 s44, s45, s37
	s_mul_i32 s46, s45, s37
	s_mul_i32 s49, s47, s2
	s_mul_hi_u32 s37, s47, s37
	s_mul_hi_u32 s48, s47, s2
	s_add_u32 s37, s37, s49
	s_addc_u32 s48, 0, s48
	s_add_u32 s37, s37, s46
	s_mul_hi_u32 s3, s45, s2
	s_addc_u32 s37, s48, s44
	s_addc_u32 s3, s3, 0
	s_mul_i32 s2, s45, s2
	s_add_u32 s2, s37, s2
	s_addc_u32 s37, 0, s3
	s_add_u32 s44, s47, s2
	s_cselect_b64 s[2:3], -1, 0
	v_ashrrev_i32_e32 v3, 31, v7
	s_cmp_lg_u64 s[2:3], 0
	v_add_co_u32_e32 v8, vcc, v6, v3
	s_addc_u32 s37, s45, s37
	v_xor_b32_e32 v12, v8, v3
	v_mad_u64_u32 v[8:9], s[2:3], v12, s37, 0
	v_mul_hi_u32 v11, v12, s44
	v_addc_co_u32_e32 v10, vcc, v7, v3, vcc
	v_xor_b32_e32 v13, v10, v3
	v_add_co_u32_e32 v14, vcc, v11, v8
	v_addc_co_u32_e32 v15, vcc, 0, v9, vcc
	v_mad_u64_u32 v[8:9], s[2:3], v13, s44, 0
	v_mad_u64_u32 v[10:11], s[2:3], v13, s37, 0
	v_add_co_u32_e32 v8, vcc, v14, v8
	v_addc_co_u32_e32 v8, vcc, v15, v9, vcc
	v_addc_co_u32_e32 v9, vcc, 0, v11, vcc
	v_add_co_u32_e32 v10, vcc, v8, v10
	v_addc_co_u32_e32 v11, vcc, 0, v9, vcc
	v_mul_lo_u32 v14, s39, v10
	v_mul_lo_u32 v15, s38, v11
	v_mad_u64_u32 v[8:9], s[2:3], s38, v10, 0
	v_xor_b32_e32 v3, s36, v3
	v_add3_u32 v9, v9, v15, v14
	v_sub_u32_e32 v14, v13, v9
	v_mov_b32_e32 v15, s39
	v_sub_co_u32_e32 v8, vcc, v12, v8
	v_subb_co_u32_e64 v12, s[2:3], v14, v15, vcc
	v_subrev_co_u32_e64 v14, s[2:3], s38, v8
	v_subbrev_co_u32_e64 v12, s[2:3], 0, v12, s[2:3]
	v_cmp_le_u32_e64 s[2:3], s39, v12
	v_cndmask_b32_e64 v15, 0, -1, s[2:3]
	v_cmp_le_u32_e64 s[2:3], s38, v14
	v_cndmask_b32_e64 v14, 0, -1, s[2:3]
	v_cmp_eq_u32_e64 s[2:3], s39, v12
	v_cndmask_b32_e64 v12, v15, v14, s[2:3]
	v_add_co_u32_e64 v14, s[2:3], 2, v10
	v_subb_co_u32_e32 v9, vcc, v13, v9, vcc
	v_addc_co_u32_e64 v15, s[2:3], 0, v11, s[2:3]
	v_cmp_le_u32_e32 vcc, s39, v9
	v_add_co_u32_e64 v16, s[2:3], 1, v10
	v_cndmask_b32_e64 v13, 0, -1, vcc
	v_cmp_le_u32_e32 vcc, s38, v8
	v_addc_co_u32_e64 v17, s[2:3], 0, v11, s[2:3]
	v_cndmask_b32_e64 v8, 0, -1, vcc
	v_cmp_eq_u32_e32 vcc, s39, v9
	v_cmp_ne_u32_e64 s[2:3], 0, v12
	v_cndmask_b32_e32 v8, v13, v8, vcc
	v_cndmask_b32_e64 v12, v17, v15, s[2:3]
	v_cmp_ne_u32_e32 vcc, 0, v8
	v_cndmask_b32_e64 v9, v16, v14, s[2:3]
	v_cndmask_b32_e32 v8, v11, v12, vcc
	v_cndmask_b32_e32 v9, v10, v9, vcc
	v_xor_b32_e32 v10, v8, v3
	v_xor_b32_e32 v8, v9, v3
	v_sub_co_u32_e32 v8, vcc, v8, v3
	v_subb_co_u32_e32 v9, vcc, v10, v3, vcc
.LBB41_7:                               ;   in Loop: Header=BB41_5 Depth=2
	s_andn2_saveexec_b64 s[2:3], s[34:35]
	s_cbranch_execz .LBB41_9
; %bb.8:                                ;   in Loop: Header=BB41_5 Depth=2
	v_cvt_f32_u32_e32 v3, s30
	s_sub_i32 s34, 0, s30
	v_rcp_iflag_f32_e32 v3, v3
	v_mul_f32_e32 v3, 0x4f7ffffe, v3
	v_cvt_u32_f32_e32 v3, v3
	v_mul_lo_u32 v8, s34, v3
	v_mul_hi_u32 v8, v3, v8
	v_add_u32_e32 v3, v3, v8
	v_mul_hi_u32 v3, v6, v3
	v_mul_lo_u32 v8, v3, s30
	v_add_u32_e32 v9, 1, v3
	v_sub_u32_e32 v8, v6, v8
	v_subrev_u32_e32 v10, s30, v8
	v_cmp_le_u32_e32 vcc, s30, v8
	v_cndmask_b32_e32 v8, v8, v10, vcc
	v_cndmask_b32_e32 v3, v3, v9, vcc
	v_add_u32_e32 v9, 1, v3
	v_cmp_le_u32_e32 vcc, s30, v8
	v_cndmask_b32_e32 v8, v3, v9, vcc
	v_mov_b32_e32 v9, v2
.LBB41_9:                               ;   in Loop: Header=BB41_5 Depth=2
	s_or_b64 exec, exec, s[2:3]
	v_mul_lo_u32 v3, v9, s30
	v_mul_lo_u32 v12, v8, s31
	v_mad_u64_u32 v[10:11], s[2:3], v8, s30, 0
	s_load_dwordx2 s[2:3], s[28:29], 0xc8
	s_add_i32 s43, s43, -1
	v_add3_u32 v3, v11, v12, v3
	v_sub_co_u32_e32 v6, vcc, v6, v10
	v_subb_co_u32_e32 v3, vcc, v7, v3, vcc
	s_waitcnt lgkmcnt(0)
	v_mul_lo_u32 v3, s2, v3
	v_mul_lo_u32 v7, s3, v6
	v_mad_u64_u32 v[4:5], s[2:3], s2, v6, v[4:5]
	s_add_u32 s28, s28, -8
	s_addc_u32 s29, s29, -1
	s_cmp_gt_u32 s43, 2
	v_add3_u32 v5, v7, v5, v3
	s_cbranch_scc0 .LBB41_11
; %bb.10:                               ;   in Loop: Header=BB41_5 Depth=2
	v_mov_b32_e32 v6, v8
	v_mov_b32_e32 v7, v9
	s_branch .LBB41_5
.LBB41_11:                              ;   in Loop: Header=BB41_4 Depth=1
	s_waitcnt lgkmcnt(0)
	v_mul_lo_u32 v3, s23, v8
	v_mul_lo_u32 v9, s22, v9
	v_mad_u64_u32 v[6:7], s[2:3], s22, v8, 0
	v_add3_u32 v7, v7, v9, v3
	v_lshlrev_b64 v[6:7], 3, v[6:7]
	v_mov_b32_e32 v3, s25
	v_add_co_u32_e32 v6, vcc, s24, v6
	v_addc_co_u32_e32 v7, vcc, v3, v7, vcc
	v_lshlrev_b64 v[3:4], 3, v[4:5]
	v_add_co_u32_e32 v3, vcc, v6, v3
	v_addc_co_u32_e32 v4, vcc, v7, v4, vcc
	global_load_dwordx2 v[3:4], v[3:4], off
	s_waitcnt vmcnt(0)
	v_cmp_le_i64_e32 vcc, s[10:11], v[3:4]
	v_cmp_ge_i64_e64 s[2:3], s[12:13], v[3:4]
	s_and_b64 s[2:3], vcc, s[2:3]
	s_and_saveexec_b64 s[28:29], s[2:3]
	s_cbranch_execz .LBB41_3
; %bb.12:                               ;   in Loop: Header=BB41_4 Depth=1
	v_mov_b32_e32 v5, s11
	v_subrev_co_u32_e32 v3, vcc, s10, v3
	v_subb_co_u32_e32 v4, vcc, v4, v5, vcc
	v_mul_lo_u32 v6, v4, s8
	v_mul_lo_u32 v7, v3, s9
	v_mad_u64_u32 v[4:5], s[2:3], v3, s8, 0
	v_add3_u32 v5, v5, v7, v6
	v_or_b32_e32 v3, s40, v5
	v_cmp_ne_u64_e32 vcc, 0, v[2:3]
                                        ; implicit-def: $vgpr6_vgpr7
	s_and_saveexec_b64 s[2:3], vcc
	s_xor_b64 s[30:31], exec, s[2:3]
	s_cbranch_execz .LBB41_14
; %bb.13:                               ;   in Loop: Header=BB41_4 Depth=1
	s_ashr_i32 s34, s40, 31
	s_add_u32 s2, s33, s34
	s_mov_b32 s35, s34
	s_addc_u32 s3, s40, s34
	s_xor_b64 s[36:37], s[2:3], s[34:35]
	v_cvt_f32_u32_e32 v3, s36
	v_cvt_f32_u32_e32 v6, s37
	s_sub_u32 s35, 0, s36
	s_subb_u32 s38, 0, s37
	v_ashrrev_i32_e32 v7, 31, v5
	v_mac_f32_e32 v3, 0x4f800000, v6
	v_rcp_f32_e32 v3, v3
	v_mul_f32_e32 v3, 0x5f7ffffc, v3
	v_mul_f32_e32 v6, 0x2f800000, v3
	v_trunc_f32_e32 v6, v6
	v_mac_f32_e32 v3, 0xcf800000, v6
	v_cvt_u32_f32_e32 v6, v6
	v_cvt_u32_f32_e32 v3, v3
	v_readfirstlane_b32 s39, v6
	v_readfirstlane_b32 s2, v3
	s_mul_i32 s3, s35, s39
	s_mul_hi_u32 s44, s35, s2
	s_mul_i32 s43, s38, s2
	s_add_i32 s3, s44, s3
	s_add_i32 s3, s3, s43
	s_mul_i32 s45, s35, s2
	s_mul_i32 s44, s2, s3
	s_mul_hi_u32 s46, s2, s45
	s_mul_hi_u32 s43, s2, s3
	s_add_u32 s44, s46, s44
	s_addc_u32 s43, 0, s43
	s_mul_hi_u32 s47, s39, s45
	s_mul_i32 s45, s39, s45
	s_add_u32 s44, s44, s45
	s_mul_hi_u32 s46, s39, s3
	s_addc_u32 s43, s43, s47
	s_addc_u32 s44, s46, 0
	s_mul_i32 s3, s39, s3
	s_add_u32 s3, s43, s3
	s_addc_u32 s43, 0, s44
	s_add_u32 s44, s2, s3
	s_cselect_b64 s[2:3], -1, 0
	s_cmp_lg_u64 s[2:3], 0
	s_addc_u32 s39, s39, s43
	s_mul_i32 s2, s35, s39
	s_mul_hi_u32 s3, s35, s44
	s_add_i32 s2, s3, s2
	s_mul_i32 s38, s38, s44
	s_add_i32 s2, s2, s38
	s_mul_i32 s35, s35, s44
	s_mul_hi_u32 s38, s39, s35
	s_mul_i32 s43, s39, s35
	s_mul_i32 s46, s44, s2
	s_mul_hi_u32 s35, s44, s35
	s_mul_hi_u32 s45, s44, s2
	s_add_u32 s35, s35, s46
	s_addc_u32 s45, 0, s45
	s_add_u32 s35, s35, s43
	s_mul_hi_u32 s3, s39, s2
	s_addc_u32 s35, s45, s38
	s_addc_u32 s3, s3, 0
	s_mul_i32 s2, s39, s2
	s_add_u32 s2, s35, s2
	s_addc_u32 s35, 0, s3
	s_add_u32 s38, s44, s2
	s_cselect_b64 s[2:3], -1, 0
	s_cmp_lg_u64 s[2:3], 0
	v_add_co_u32_e32 v3, vcc, v4, v7
	s_addc_u32 s35, s39, s35
	v_xor_b32_e32 v8, v3, v7
	v_mad_u64_u32 v[3:4], s[2:3], v8, s35, 0
	v_mul_hi_u32 v6, v8, s38
	v_addc_co_u32_e32 v5, vcc, v5, v7, vcc
	v_xor_b32_e32 v9, v5, v7
	v_add_co_u32_e32 v10, vcc, v6, v3
	v_addc_co_u32_e32 v11, vcc, 0, v4, vcc
	v_mad_u64_u32 v[3:4], s[2:3], v9, s38, 0
	v_mad_u64_u32 v[5:6], s[2:3], v9, s35, 0
	v_add_co_u32_e32 v3, vcc, v10, v3
	v_addc_co_u32_e32 v3, vcc, v11, v4, vcc
	v_addc_co_u32_e32 v4, vcc, 0, v6, vcc
	v_add_co_u32_e32 v5, vcc, v3, v5
	v_addc_co_u32_e32 v3, vcc, 0, v4, vcc
	v_mul_lo_u32 v6, s37, v5
	v_mul_lo_u32 v10, s36, v3
	v_mad_u64_u32 v[3:4], s[2:3], s36, v5, 0
	v_add3_u32 v4, v4, v10, v6
	v_sub_u32_e32 v6, v9, v4
	v_mov_b32_e32 v10, s37
	v_sub_co_u32_e32 v3, vcc, v8, v3
	v_subb_co_u32_e64 v6, s[2:3], v6, v10, vcc
	v_subrev_co_u32_e64 v8, s[2:3], s36, v3
	v_subbrev_co_u32_e64 v6, s[2:3], 0, v6, s[2:3]
	v_cmp_le_u32_e64 s[2:3], s37, v6
	v_subb_co_u32_e32 v4, vcc, v9, v4, vcc
	v_cndmask_b32_e64 v10, 0, -1, s[2:3]
	v_cmp_le_u32_e64 s[2:3], s36, v8
	v_cmp_le_u32_e32 vcc, s37, v4
	v_cndmask_b32_e64 v8, 0, -1, s[2:3]
	v_cmp_eq_u32_e64 s[2:3], s37, v6
	v_cndmask_b32_e64 v9, 0, -1, vcc
	v_cmp_le_u32_e32 vcc, s36, v3
	v_cndmask_b32_e64 v6, v10, v8, s[2:3]
	v_cndmask_b32_e64 v3, 0, -1, vcc
	v_cmp_eq_u32_e32 vcc, s37, v4
	v_add_co_u32_e64 v8, s[2:3], 2, v5
	v_add_co_u32_e64 v10, s[2:3], 1, v5
	v_cndmask_b32_e32 v3, v9, v3, vcc
	v_cmp_ne_u32_e32 vcc, 0, v6
	v_cndmask_b32_e32 v4, v10, v8, vcc
	v_cmp_ne_u32_e32 vcc, 0, v3
	v_cndmask_b32_e32 v3, v5, v4, vcc
	v_xor_b32_e32 v4, s34, v7
	v_xor_b32_e32 v3, v3, v4
	v_sub_co_u32_e32 v6, vcc, v3, v4
                                        ; implicit-def: $vgpr4_vgpr5
.LBB41_14:                              ;   in Loop: Header=BB41_4 Depth=1
	s_andn2_saveexec_b64 s[2:3], s[30:31]
	s_cbranch_execz .LBB41_2
; %bb.15:                               ;   in Loop: Header=BB41_4 Depth=1
	v_cvt_f32_u32_e32 v3, s33
	s_sub_i32 s30, 0, s33
	v_rcp_iflag_f32_e32 v3, v3
	v_mul_f32_e32 v3, 0x4f7ffffe, v3
	v_cvt_u32_f32_e32 v3, v3
	v_mul_lo_u32 v5, s30, v3
	v_mul_hi_u32 v5, v3, v5
	v_add_u32_e32 v3, v3, v5
	v_mul_hi_u32 v3, v4, v3
	v_mul_lo_u32 v5, v3, s33
	v_add_u32_e32 v6, 1, v3
	v_sub_u32_e32 v4, v4, v5
	v_subrev_u32_e32 v5, s33, v4
	v_cmp_le_u32_e32 vcc, s33, v4
	v_cndmask_b32_e32 v4, v4, v5, vcc
	v_cndmask_b32_e32 v3, v3, v6, vcc
	v_add_u32_e32 v5, 1, v3
	v_cmp_le_u32_e32 vcc, s33, v4
	v_cndmask_b32_e32 v6, v3, v5, vcc
	s_branch .LBB41_2
.LBB41_16:
	s_endpgm
	.section	.rodata,"a",@progbits
	.p2align	6, 0x0
	.amdhsa_kernel _ZN2at4cuda17kernelHistogram1DIlllLi1ELi2ELin1ELNS0_23CUDAHistogramMemoryTypeE1EZNS0_21CUDA_tensor_histogramIllLb0EEEbNS_6TensorES4_S4_lNS_14AccumulateTypeIT0_Lb1EE4typeES8_NS0_13TensorArgTypeES9_S9_EUllE_EEvNS0_6detail10TensorInfoIT_T1_EESF_NSC_IKS6_SE_EElS8_S8_SE_T6_
		.amdhsa_group_segment_fixed_size 0
		.amdhsa_private_segment_fixed_size 0
		.amdhsa_kernarg_size 1952
		.amdhsa_user_sgpr_count 6
		.amdhsa_user_sgpr_private_segment_buffer 1
		.amdhsa_user_sgpr_dispatch_ptr 0
		.amdhsa_user_sgpr_queue_ptr 0
		.amdhsa_user_sgpr_kernarg_segment_ptr 1
		.amdhsa_user_sgpr_dispatch_id 0
		.amdhsa_user_sgpr_flat_scratch_init 0
		.amdhsa_user_sgpr_private_segment_size 0
		.amdhsa_uses_dynamic_stack 0
		.amdhsa_system_sgpr_private_segment_wavefront_offset 0
		.amdhsa_system_sgpr_workgroup_id_x 1
		.amdhsa_system_sgpr_workgroup_id_y 0
		.amdhsa_system_sgpr_workgroup_id_z 0
		.amdhsa_system_sgpr_workgroup_info 0
		.amdhsa_system_vgpr_workitem_id 0
		.amdhsa_next_free_vgpr 18
		.amdhsa_next_free_sgpr 51
		.amdhsa_reserve_vcc 1
		.amdhsa_reserve_flat_scratch 0
		.amdhsa_float_round_mode_32 0
		.amdhsa_float_round_mode_16_64 0
		.amdhsa_float_denorm_mode_32 3
		.amdhsa_float_denorm_mode_16_64 3
		.amdhsa_dx10_clamp 1
		.amdhsa_ieee_mode 1
		.amdhsa_fp16_overflow 0
		.amdhsa_exception_fp_ieee_invalid_op 0
		.amdhsa_exception_fp_denorm_src 0
		.amdhsa_exception_fp_ieee_div_zero 0
		.amdhsa_exception_fp_ieee_overflow 0
		.amdhsa_exception_fp_ieee_underflow 0
		.amdhsa_exception_fp_ieee_inexact 0
		.amdhsa_exception_int_div_zero 0
	.end_amdhsa_kernel
	.section	.text._ZN2at4cuda17kernelHistogram1DIlllLi1ELi2ELin1ELNS0_23CUDAHistogramMemoryTypeE1EZNS0_21CUDA_tensor_histogramIllLb0EEEbNS_6TensorES4_S4_lNS_14AccumulateTypeIT0_Lb1EE4typeES8_NS0_13TensorArgTypeES9_S9_EUllE_EEvNS0_6detail10TensorInfoIT_T1_EESF_NSC_IKS6_SE_EElS8_S8_SE_T6_,"axG",@progbits,_ZN2at4cuda17kernelHistogram1DIlllLi1ELi2ELin1ELNS0_23CUDAHistogramMemoryTypeE1EZNS0_21CUDA_tensor_histogramIllLb0EEEbNS_6TensorES4_S4_lNS_14AccumulateTypeIT0_Lb1EE4typeES8_NS0_13TensorArgTypeES9_S9_EUllE_EEvNS0_6detail10TensorInfoIT_T1_EESF_NSC_IKS6_SE_EElS8_S8_SE_T6_,comdat
.Lfunc_end41:
	.size	_ZN2at4cuda17kernelHistogram1DIlllLi1ELi2ELin1ELNS0_23CUDAHistogramMemoryTypeE1EZNS0_21CUDA_tensor_histogramIllLb0EEEbNS_6TensorES4_S4_lNS_14AccumulateTypeIT0_Lb1EE4typeES8_NS0_13TensorArgTypeES9_S9_EUllE_EEvNS0_6detail10TensorInfoIT_T1_EESF_NSC_IKS6_SE_EElS8_S8_SE_T6_, .Lfunc_end41-_ZN2at4cuda17kernelHistogram1DIlllLi1ELi2ELin1ELNS0_23CUDAHistogramMemoryTypeE1EZNS0_21CUDA_tensor_histogramIllLb0EEEbNS_6TensorES4_S4_lNS_14AccumulateTypeIT0_Lb1EE4typeES8_NS0_13TensorArgTypeES9_S9_EUllE_EEvNS0_6detail10TensorInfoIT_T1_EESF_NSC_IKS6_SE_EElS8_S8_SE_T6_
                                        ; -- End function
	.set _ZN2at4cuda17kernelHistogram1DIlllLi1ELi2ELin1ELNS0_23CUDAHistogramMemoryTypeE1EZNS0_21CUDA_tensor_histogramIllLb0EEEbNS_6TensorES4_S4_lNS_14AccumulateTypeIT0_Lb1EE4typeES8_NS0_13TensorArgTypeES9_S9_EUllE_EEvNS0_6detail10TensorInfoIT_T1_EESF_NSC_IKS6_SE_EElS8_S8_SE_T6_.num_vgpr, 18
	.set _ZN2at4cuda17kernelHistogram1DIlllLi1ELi2ELin1ELNS0_23CUDAHistogramMemoryTypeE1EZNS0_21CUDA_tensor_histogramIllLb0EEEbNS_6TensorES4_S4_lNS_14AccumulateTypeIT0_Lb1EE4typeES8_NS0_13TensorArgTypeES9_S9_EUllE_EEvNS0_6detail10TensorInfoIT_T1_EESF_NSC_IKS6_SE_EElS8_S8_SE_T6_.num_agpr, 0
	.set _ZN2at4cuda17kernelHistogram1DIlllLi1ELi2ELin1ELNS0_23CUDAHistogramMemoryTypeE1EZNS0_21CUDA_tensor_histogramIllLb0EEEbNS_6TensorES4_S4_lNS_14AccumulateTypeIT0_Lb1EE4typeES8_NS0_13TensorArgTypeES9_S9_EUllE_EEvNS0_6detail10TensorInfoIT_T1_EESF_NSC_IKS6_SE_EElS8_S8_SE_T6_.numbered_sgpr, 51
	.set _ZN2at4cuda17kernelHistogram1DIlllLi1ELi2ELin1ELNS0_23CUDAHistogramMemoryTypeE1EZNS0_21CUDA_tensor_histogramIllLb0EEEbNS_6TensorES4_S4_lNS_14AccumulateTypeIT0_Lb1EE4typeES8_NS0_13TensorArgTypeES9_S9_EUllE_EEvNS0_6detail10TensorInfoIT_T1_EESF_NSC_IKS6_SE_EElS8_S8_SE_T6_.num_named_barrier, 0
	.set _ZN2at4cuda17kernelHistogram1DIlllLi1ELi2ELin1ELNS0_23CUDAHistogramMemoryTypeE1EZNS0_21CUDA_tensor_histogramIllLb0EEEbNS_6TensorES4_S4_lNS_14AccumulateTypeIT0_Lb1EE4typeES8_NS0_13TensorArgTypeES9_S9_EUllE_EEvNS0_6detail10TensorInfoIT_T1_EESF_NSC_IKS6_SE_EElS8_S8_SE_T6_.private_seg_size, 0
	.set _ZN2at4cuda17kernelHistogram1DIlllLi1ELi2ELin1ELNS0_23CUDAHistogramMemoryTypeE1EZNS0_21CUDA_tensor_histogramIllLb0EEEbNS_6TensorES4_S4_lNS_14AccumulateTypeIT0_Lb1EE4typeES8_NS0_13TensorArgTypeES9_S9_EUllE_EEvNS0_6detail10TensorInfoIT_T1_EESF_NSC_IKS6_SE_EElS8_S8_SE_T6_.uses_vcc, 1
	.set _ZN2at4cuda17kernelHistogram1DIlllLi1ELi2ELin1ELNS0_23CUDAHistogramMemoryTypeE1EZNS0_21CUDA_tensor_histogramIllLb0EEEbNS_6TensorES4_S4_lNS_14AccumulateTypeIT0_Lb1EE4typeES8_NS0_13TensorArgTypeES9_S9_EUllE_EEvNS0_6detail10TensorInfoIT_T1_EESF_NSC_IKS6_SE_EElS8_S8_SE_T6_.uses_flat_scratch, 0
	.set _ZN2at4cuda17kernelHistogram1DIlllLi1ELi2ELin1ELNS0_23CUDAHistogramMemoryTypeE1EZNS0_21CUDA_tensor_histogramIllLb0EEEbNS_6TensorES4_S4_lNS_14AccumulateTypeIT0_Lb1EE4typeES8_NS0_13TensorArgTypeES9_S9_EUllE_EEvNS0_6detail10TensorInfoIT_T1_EESF_NSC_IKS6_SE_EElS8_S8_SE_T6_.has_dyn_sized_stack, 0
	.set _ZN2at4cuda17kernelHistogram1DIlllLi1ELi2ELin1ELNS0_23CUDAHistogramMemoryTypeE1EZNS0_21CUDA_tensor_histogramIllLb0EEEbNS_6TensorES4_S4_lNS_14AccumulateTypeIT0_Lb1EE4typeES8_NS0_13TensorArgTypeES9_S9_EUllE_EEvNS0_6detail10TensorInfoIT_T1_EESF_NSC_IKS6_SE_EElS8_S8_SE_T6_.has_recursion, 0
	.set _ZN2at4cuda17kernelHistogram1DIlllLi1ELi2ELin1ELNS0_23CUDAHistogramMemoryTypeE1EZNS0_21CUDA_tensor_histogramIllLb0EEEbNS_6TensorES4_S4_lNS_14AccumulateTypeIT0_Lb1EE4typeES8_NS0_13TensorArgTypeES9_S9_EUllE_EEvNS0_6detail10TensorInfoIT_T1_EESF_NSC_IKS6_SE_EElS8_S8_SE_T6_.has_indirect_call, 0
	.section	.AMDGPU.csdata,"",@progbits
; Kernel info:
; codeLenInByte = 2152
; TotalNumSgprs: 55
; NumVgprs: 18
; ScratchSize: 0
; MemoryBound: 0
; FloatMode: 240
; IeeeMode: 1
; LDSByteSize: 0 bytes/workgroup (compile time only)
; SGPRBlocks: 6
; VGPRBlocks: 4
; NumSGPRsForWavesPerEU: 55
; NumVGPRsForWavesPerEU: 18
; Occupancy: 10
; WaveLimiterHint : 1
; COMPUTE_PGM_RSRC2:SCRATCH_EN: 0
; COMPUTE_PGM_RSRC2:USER_SGPR: 6
; COMPUTE_PGM_RSRC2:TRAP_HANDLER: 0
; COMPUTE_PGM_RSRC2:TGID_X_EN: 1
; COMPUTE_PGM_RSRC2:TGID_Y_EN: 0
; COMPUTE_PGM_RSRC2:TGID_Z_EN: 0
; COMPUTE_PGM_RSRC2:TIDIG_COMP_CNT: 0
	.section	.text._ZN2at4cuda17kernelHistogram1DIlllLi1ELi2ELin1ELNS0_23CUDAHistogramMemoryTypeE0EZNS0_21CUDA_tensor_histogramIllLb0EEEbNS_6TensorES4_S4_lNS_14AccumulateTypeIT0_Lb1EE4typeES8_NS0_13TensorArgTypeES9_S9_EUllE0_EEvNS0_6detail10TensorInfoIT_T1_EESF_NSC_IKS6_SE_EElS8_S8_SE_T6_,"axG",@progbits,_ZN2at4cuda17kernelHistogram1DIlllLi1ELi2ELin1ELNS0_23CUDAHistogramMemoryTypeE0EZNS0_21CUDA_tensor_histogramIllLb0EEEbNS_6TensorES4_S4_lNS_14AccumulateTypeIT0_Lb1EE4typeES8_NS0_13TensorArgTypeES9_S9_EUllE0_EEvNS0_6detail10TensorInfoIT_T1_EESF_NSC_IKS6_SE_EElS8_S8_SE_T6_,comdat
	.protected	_ZN2at4cuda17kernelHistogram1DIlllLi1ELi2ELin1ELNS0_23CUDAHistogramMemoryTypeE0EZNS0_21CUDA_tensor_histogramIllLb0EEEbNS_6TensorES4_S4_lNS_14AccumulateTypeIT0_Lb1EE4typeES8_NS0_13TensorArgTypeES9_S9_EUllE0_EEvNS0_6detail10TensorInfoIT_T1_EESF_NSC_IKS6_SE_EElS8_S8_SE_T6_ ; -- Begin function _ZN2at4cuda17kernelHistogram1DIlllLi1ELi2ELin1ELNS0_23CUDAHistogramMemoryTypeE0EZNS0_21CUDA_tensor_histogramIllLb0EEEbNS_6TensorES4_S4_lNS_14AccumulateTypeIT0_Lb1EE4typeES8_NS0_13TensorArgTypeES9_S9_EUllE0_EEvNS0_6detail10TensorInfoIT_T1_EESF_NSC_IKS6_SE_EElS8_S8_SE_T6_
	.globl	_ZN2at4cuda17kernelHistogram1DIlllLi1ELi2ELin1ELNS0_23CUDAHistogramMemoryTypeE0EZNS0_21CUDA_tensor_histogramIllLb0EEEbNS_6TensorES4_S4_lNS_14AccumulateTypeIT0_Lb1EE4typeES8_NS0_13TensorArgTypeES9_S9_EUllE0_EEvNS0_6detail10TensorInfoIT_T1_EESF_NSC_IKS6_SE_EElS8_S8_SE_T6_
	.p2align	8
	.type	_ZN2at4cuda17kernelHistogram1DIlllLi1ELi2ELin1ELNS0_23CUDAHistogramMemoryTypeE0EZNS0_21CUDA_tensor_histogramIllLb0EEEbNS_6TensorES4_S4_lNS_14AccumulateTypeIT0_Lb1EE4typeES8_NS0_13TensorArgTypeES9_S9_EUllE0_EEvNS0_6detail10TensorInfoIT_T1_EESF_NSC_IKS6_SE_EElS8_S8_SE_T6_,@function
_ZN2at4cuda17kernelHistogram1DIlllLi1ELi2ELin1ELNS0_23CUDAHistogramMemoryTypeE0EZNS0_21CUDA_tensor_histogramIllLb0EEEbNS_6TensorES4_S4_lNS_14AccumulateTypeIT0_Lb1EE4typeES8_NS0_13TensorArgTypeES9_S9_EUllE0_EEvNS0_6detail10TensorInfoIT_T1_EESF_NSC_IKS6_SE_EElS8_S8_SE_T6_: ; @_ZN2at4cuda17kernelHistogram1DIlllLi1ELi2ELin1ELNS0_23CUDAHistogramMemoryTypeE0EZNS0_21CUDA_tensor_histogramIllLb0EEEbNS_6TensorES4_S4_lNS_14AccumulateTypeIT0_Lb1EE4typeES8_NS0_13TensorArgTypeES9_S9_EUllE0_EEvNS0_6detail10TensorInfoIT_T1_EESF_NSC_IKS6_SE_EElS8_S8_SE_T6_
; %bb.0:
	s_load_dwordx4 s[16:19], s[4:5], 0x0
	v_mov_b32_e32 v1, 0
	s_add_u32 s2, s4, 0x508
	s_addc_u32 s3, s5, 0
                                        ; implicit-def: $sgpr7
                                        ; implicit-def: $sgpr10
	s_waitcnt lgkmcnt(0)
	v_cmp_gt_i64_e64 s[0:1], s[18:19], v[0:1]
	v_cmp_le_i64_e32 vcc, s[18:19], v[0:1]
	s_and_saveexec_b64 s[8:9], vcc
	s_xor_b64 s[8:9], exec, s[8:9]
	s_cbranch_execz .LBB42_2
; %bb.1:
	s_load_dword s7, s[2:3], 0xc
	s_waitcnt lgkmcnt(0)
	s_and_b32 s10, s7, 0xffff
.LBB42_2:
	s_or_saveexec_b64 s[8:9], s[8:9]
	s_load_dwordx2 s[20:21], s[4:5], 0xd0
	v_mov_b32_e32 v14, s7
	v_mov_b32_e32 v13, s10
	v_lshl_add_u32 v12, v0, 3, 0
	s_xor_b64 exec, exec, s[8:9]
	s_cbranch_execz .LBB42_6
; %bb.3:
	s_load_dword s7, s[2:3], 0xc
	v_mov_b32_e32 v2, 0
	v_mov_b32_e32 v5, v1
	v_lshl_add_u32 v6, v0, 3, 0
	s_mov_b64 s[10:11], 0
	s_waitcnt lgkmcnt(0)
	s_and_b32 s12, s7, 0xffff
	v_mov_b32_e32 v3, v2
	s_lshl_b32 s13, s12, 3
	v_mov_b32_e32 v4, v0
.LBB42_4:                               ; =>This Inner Loop Header: Depth=1
	v_add_co_u32_e32 v4, vcc, s12, v4
	v_addc_co_u32_e32 v5, vcc, 0, v5, vcc
	v_cmp_le_i64_e32 vcc, s[18:19], v[4:5]
	ds_write_b64 v6, v[2:3]
	s_or_b64 s[10:11], vcc, s[10:11]
	v_add_u32_e32 v6, s13, v6
	s_andn2_b64 exec, exec, s[10:11]
	s_cbranch_execnz .LBB42_4
; %bb.5:
	s_or_b64 exec, exec, s[10:11]
	v_mov_b32_e32 v14, s7
	v_mov_b32_e32 v13, s12
.LBB42_6:
	s_or_b64 exec, exec, s[8:9]
	s_load_dwordx8 s[8:15], s[4:5], 0x4e0
	v_mad_u64_u32 v[2:3], s[6:7], s6, v13, v[0:1]
	v_mov_b32_e32 v4, 0
	v_mov_b32_e32 v3, v4
	s_waitcnt lgkmcnt(0)
	v_cmp_gt_i64_e32 vcc, s[14:15], v[2:3]
	s_barrier
	s_and_saveexec_b64 s[6:7], vcc
	s_cbranch_execz .LBB42_22
; %bb.7:
	s_load_dword s26, s[4:5], 0x4d8
	s_load_dwordx2 s[24:25], s[4:5], 0x340
	s_add_u32 s27, s4, 0x340
	s_addc_u32 s29, s5, 0
	s_load_dword s28, s[2:3], 0x0
	s_load_dwordx2 s[22:23], s[4:5], 0x410
	s_waitcnt lgkmcnt(0)
	s_cmp_gt_i32 s26, 1
	s_cselect_b64 s[2:3], -1, 0
	s_sub_u32 s33, s12, s10
	s_subb_u32 s42, s13, s11
	s_mov_b32 s5, 0
	s_add_i32 s4, s26, -1
	s_add_i32 s43, s26, 1
	s_lshl_b64 s[4:5], s[4:5], 3
	v_mul_lo_u32 v15, s28, v13
	s_add_u32 s4, s27, s4
	s_addc_u32 s5, s29, s5
	s_add_u32 s26, s4, 8
	v_cndmask_b32_e64 v5, 0, 1, s[2:3]
	s_addc_u32 s27, s5, 0
	s_mov_b64 s[28:29], 0
	v_cmp_ne_u32_e64 s[2:3], 1, v5
	s_branch .LBB42_10
.LBB42_8:                               ;   in Loop: Header=BB42_10 Depth=1
	s_or_b64 exec, exec, s[4:5]
	v_ashrrev_i32_e32 v9, 31, v8
	v_cmp_eq_u64_e32 vcc, s[8:9], v[8:9]
	v_subbrev_co_u32_e32 v5, vcc, 0, v8, vcc
	v_lshl_add_u32 v7, v5, 3, 0
	v_mov_b32_e32 v5, 1
	v_mov_b32_e32 v6, 0
	ds_add_u64 v7, v[5:6]
.LBB42_9:                               ;   in Loop: Header=BB42_10 Depth=1
	s_or_b64 exec, exec, s[30:31]
	v_add_co_u32_e32 v2, vcc, v2, v15
	v_addc_co_u32_e32 v3, vcc, 0, v3, vcc
	v_cmp_le_i64_e32 vcc, s[14:15], v[2:3]
	s_or_b64 s[28:29], vcc, s[28:29]
	s_andn2_b64 exec, exec, s[28:29]
	s_cbranch_execz .LBB42_22
.LBB42_10:                              ; =>This Loop Header: Depth=1
                                        ;     Child Loop BB42_11 Depth 2
	v_mov_b32_e32 v6, 0
	v_mov_b32_e32 v9, v3
	;; [unrolled: 1-line block ×4, first 2 shown]
	s_and_b64 vcc, exec, s[2:3]
	s_mov_b64 s[30:31], s[26:27]
	s_mov_b32 s44, s43
	v_mov_b32_e32 v8, v2
	v_mov_b32_e32 v10, v2
	s_cbranch_vccnz .LBB42_17
.LBB42_11:                              ;   Parent Loop BB42_10 Depth=1
                                        ; =>  This Inner Loop Header: Depth=2
	s_load_dwordx2 s[34:35], s[30:31], 0x0
                                        ; implicit-def: $vgpr10_vgpr11
	s_waitcnt lgkmcnt(0)
	v_or_b32_e32 v5, s35, v9
	v_cmp_ne_u64_e32 vcc, 0, v[4:5]
	s_and_saveexec_b64 s[4:5], vcc
	s_xor_b64 s[36:37], exec, s[4:5]
	s_cbranch_execz .LBB42_13
; %bb.12:                               ;   in Loop: Header=BB42_11 Depth=2
	s_ashr_i32 s38, s35, 31
	s_add_u32 s4, s34, s38
	s_mov_b32 s39, s38
	s_addc_u32 s5, s35, s38
	s_xor_b64 s[40:41], s[4:5], s[38:39]
	v_cvt_f32_u32_e32 v5, s40
	v_cvt_f32_u32_e32 v10, s41
	s_sub_u32 s39, 0, s40
	s_subb_u32 s45, 0, s41
	v_mac_f32_e32 v5, 0x4f800000, v10
	v_rcp_f32_e32 v5, v5
	v_mul_f32_e32 v5, 0x5f7ffffc, v5
	v_mul_f32_e32 v10, 0x2f800000, v5
	v_trunc_f32_e32 v10, v10
	v_mac_f32_e32 v5, 0xcf800000, v10
	v_cvt_u32_f32_e32 v10, v10
	v_cvt_u32_f32_e32 v5, v5
	v_readfirstlane_b32 s46, v10
	v_readfirstlane_b32 s4, v5
	s_mul_i32 s5, s39, s46
	s_mul_hi_u32 s48, s39, s4
	s_mul_i32 s47, s45, s4
	s_add_i32 s5, s48, s5
	s_add_i32 s5, s5, s47
	s_mul_i32 s49, s39, s4
	s_mul_i32 s48, s4, s5
	s_mul_hi_u32 s50, s4, s49
	s_mul_hi_u32 s47, s4, s5
	s_add_u32 s48, s50, s48
	s_addc_u32 s47, 0, s47
	s_mul_hi_u32 s51, s46, s49
	s_mul_i32 s49, s46, s49
	s_add_u32 s48, s48, s49
	s_mul_hi_u32 s50, s46, s5
	s_addc_u32 s47, s47, s51
	s_addc_u32 s48, s50, 0
	s_mul_i32 s5, s46, s5
	s_add_u32 s5, s47, s5
	s_addc_u32 s47, 0, s48
	s_add_u32 s48, s4, s5
	s_cselect_b64 s[4:5], -1, 0
	s_cmp_lg_u64 s[4:5], 0
	s_addc_u32 s46, s46, s47
	s_mul_i32 s4, s39, s46
	s_mul_hi_u32 s5, s39, s48
	s_add_i32 s4, s5, s4
	s_mul_i32 s45, s45, s48
	s_add_i32 s4, s4, s45
	s_mul_i32 s39, s39, s48
	s_mul_hi_u32 s45, s46, s39
	s_mul_i32 s47, s46, s39
	s_mul_i32 s50, s48, s4
	s_mul_hi_u32 s39, s48, s39
	s_mul_hi_u32 s49, s48, s4
	s_add_u32 s39, s39, s50
	s_addc_u32 s49, 0, s49
	s_add_u32 s39, s39, s47
	s_mul_hi_u32 s5, s46, s4
	s_addc_u32 s39, s49, s45
	s_addc_u32 s5, s5, 0
	s_mul_i32 s4, s46, s4
	s_add_u32 s4, s39, s4
	s_addc_u32 s39, 0, s5
	s_add_u32 s45, s48, s4
	s_cselect_b64 s[4:5], -1, 0
	v_ashrrev_i32_e32 v5, 31, v9
	s_cmp_lg_u64 s[4:5], 0
	v_add_co_u32_e32 v10, vcc, v8, v5
	s_addc_u32 s39, s46, s39
	v_xor_b32_e32 v18, v10, v5
	v_mad_u64_u32 v[10:11], s[4:5], v18, s39, 0
	v_mul_hi_u32 v17, v18, s45
	v_addc_co_u32_e32 v16, vcc, v9, v5, vcc
	v_xor_b32_e32 v19, v16, v5
	v_add_co_u32_e32 v20, vcc, v17, v10
	v_addc_co_u32_e32 v21, vcc, 0, v11, vcc
	v_mad_u64_u32 v[10:11], s[4:5], v19, s45, 0
	v_mad_u64_u32 v[16:17], s[4:5], v19, s39, 0
	v_add_co_u32_e32 v10, vcc, v20, v10
	v_addc_co_u32_e32 v10, vcc, v21, v11, vcc
	v_addc_co_u32_e32 v11, vcc, 0, v17, vcc
	v_add_co_u32_e32 v16, vcc, v10, v16
	v_addc_co_u32_e32 v17, vcc, 0, v11, vcc
	v_mul_lo_u32 v20, s41, v16
	v_mul_lo_u32 v21, s40, v17
	v_mad_u64_u32 v[10:11], s[4:5], s40, v16, 0
	v_xor_b32_e32 v5, s38, v5
	v_add3_u32 v11, v11, v21, v20
	v_sub_u32_e32 v20, v19, v11
	v_mov_b32_e32 v21, s41
	v_sub_co_u32_e32 v10, vcc, v18, v10
	v_subb_co_u32_e64 v18, s[4:5], v20, v21, vcc
	v_subrev_co_u32_e64 v20, s[4:5], s40, v10
	v_subbrev_co_u32_e64 v18, s[4:5], 0, v18, s[4:5]
	v_cmp_le_u32_e64 s[4:5], s41, v18
	v_cndmask_b32_e64 v21, 0, -1, s[4:5]
	v_cmp_le_u32_e64 s[4:5], s40, v20
	v_cndmask_b32_e64 v20, 0, -1, s[4:5]
	v_cmp_eq_u32_e64 s[4:5], s41, v18
	v_cndmask_b32_e64 v18, v21, v20, s[4:5]
	v_add_co_u32_e64 v20, s[4:5], 2, v16
	v_subb_co_u32_e32 v11, vcc, v19, v11, vcc
	v_addc_co_u32_e64 v21, s[4:5], 0, v17, s[4:5]
	v_cmp_le_u32_e32 vcc, s41, v11
	v_add_co_u32_e64 v22, s[4:5], 1, v16
	v_cndmask_b32_e64 v19, 0, -1, vcc
	v_cmp_le_u32_e32 vcc, s40, v10
	v_addc_co_u32_e64 v23, s[4:5], 0, v17, s[4:5]
	v_cndmask_b32_e64 v10, 0, -1, vcc
	v_cmp_eq_u32_e32 vcc, s41, v11
	v_cmp_ne_u32_e64 s[4:5], 0, v18
	v_cndmask_b32_e32 v10, v19, v10, vcc
	v_cndmask_b32_e64 v18, v23, v21, s[4:5]
	v_cmp_ne_u32_e32 vcc, 0, v10
	v_cndmask_b32_e64 v11, v22, v20, s[4:5]
	v_cndmask_b32_e32 v10, v17, v18, vcc
	v_cndmask_b32_e32 v11, v16, v11, vcc
	v_xor_b32_e32 v16, v10, v5
	v_xor_b32_e32 v10, v11, v5
	v_sub_co_u32_e32 v10, vcc, v10, v5
	v_subb_co_u32_e32 v11, vcc, v16, v5, vcc
.LBB42_13:                              ;   in Loop: Header=BB42_11 Depth=2
	s_andn2_saveexec_b64 s[4:5], s[36:37]
	s_cbranch_execz .LBB42_15
; %bb.14:                               ;   in Loop: Header=BB42_11 Depth=2
	v_cvt_f32_u32_e32 v5, s34
	s_sub_i32 s36, 0, s34
	v_rcp_iflag_f32_e32 v5, v5
	v_mul_f32_e32 v5, 0x4f7ffffe, v5
	v_cvt_u32_f32_e32 v5, v5
	v_mul_lo_u32 v10, s36, v5
	v_mul_hi_u32 v10, v5, v10
	v_add_u32_e32 v5, v5, v10
	v_mul_hi_u32 v5, v8, v5
	v_mul_lo_u32 v10, v5, s34
	v_add_u32_e32 v11, 1, v5
	v_sub_u32_e32 v10, v8, v10
	v_subrev_u32_e32 v16, s34, v10
	v_cmp_le_u32_e32 vcc, s34, v10
	v_cndmask_b32_e32 v10, v10, v16, vcc
	v_cndmask_b32_e32 v5, v5, v11, vcc
	v_add_u32_e32 v11, 1, v5
	v_cmp_le_u32_e32 vcc, s34, v10
	v_cndmask_b32_e32 v10, v5, v11, vcc
	v_mov_b32_e32 v11, v4
.LBB42_15:                              ;   in Loop: Header=BB42_11 Depth=2
	s_or_b64 exec, exec, s[4:5]
	v_mul_lo_u32 v5, v11, s34
	v_mul_lo_u32 v18, v10, s35
	v_mad_u64_u32 v[16:17], s[4:5], v10, s34, 0
	s_load_dwordx2 s[4:5], s[30:31], 0xc8
	s_add_i32 s44, s44, -1
	v_add3_u32 v5, v17, v18, v5
	v_sub_co_u32_e32 v8, vcc, v8, v16
	v_subb_co_u32_e32 v5, vcc, v9, v5, vcc
	s_waitcnt lgkmcnt(0)
	v_mul_lo_u32 v5, s4, v5
	v_mul_lo_u32 v9, s5, v8
	v_mad_u64_u32 v[6:7], s[4:5], s4, v8, v[6:7]
	s_add_u32 s30, s30, -8
	s_addc_u32 s31, s31, -1
	s_cmp_gt_u32 s44, 2
	v_add3_u32 v7, v9, v7, v5
	s_cbranch_scc0 .LBB42_17
; %bb.16:                               ;   in Loop: Header=BB42_11 Depth=2
	v_mov_b32_e32 v8, v10
	v_mov_b32_e32 v9, v11
	s_branch .LBB42_11
.LBB42_17:                              ;   in Loop: Header=BB42_10 Depth=1
	v_mul_lo_u32 v5, s23, v10
	v_mul_lo_u32 v11, s22, v11
	v_mad_u64_u32 v[8:9], s[4:5], s22, v10, 0
	v_add3_u32 v9, v9, v11, v5
	v_lshlrev_b64 v[8:9], 3, v[8:9]
	v_mov_b32_e32 v5, s25
	v_add_co_u32_e32 v8, vcc, s24, v8
	v_addc_co_u32_e32 v9, vcc, v5, v9, vcc
	v_lshlrev_b64 v[5:6], 3, v[6:7]
	v_add_co_u32_e32 v5, vcc, v8, v5
	v_addc_co_u32_e32 v6, vcc, v9, v6, vcc
	global_load_dwordx2 v[5:6], v[5:6], off
	s_waitcnt vmcnt(0)
	v_cmp_le_i64_e32 vcc, s[10:11], v[5:6]
	v_cmp_ge_i64_e64 s[4:5], s[12:13], v[5:6]
	s_and_b64 s[4:5], vcc, s[4:5]
	s_and_saveexec_b64 s[30:31], s[4:5]
	s_cbranch_execz .LBB42_9
; %bb.18:                               ;   in Loop: Header=BB42_10 Depth=1
	v_mov_b32_e32 v7, s11
	v_subrev_co_u32_e32 v5, vcc, s10, v5
	v_subb_co_u32_e32 v6, vcc, v6, v7, vcc
	v_mul_lo_u32 v8, v6, s8
	v_mul_lo_u32 v9, v5, s9
	v_mad_u64_u32 v[6:7], s[4:5], v5, s8, 0
	v_add3_u32 v7, v7, v9, v8
	v_or_b32_e32 v5, s42, v7
	v_cmp_ne_u64_e32 vcc, 0, v[4:5]
                                        ; implicit-def: $vgpr8_vgpr9
	s_and_saveexec_b64 s[4:5], vcc
	s_xor_b64 s[34:35], exec, s[4:5]
	s_cbranch_execz .LBB42_20
; %bb.19:                               ;   in Loop: Header=BB42_10 Depth=1
	s_ashr_i32 s36, s42, 31
	s_add_u32 s4, s33, s36
	s_mov_b32 s37, s36
	s_addc_u32 s5, s42, s36
	s_xor_b64 s[38:39], s[4:5], s[36:37]
	v_cvt_f32_u32_e32 v5, s38
	v_cvt_f32_u32_e32 v8, s39
	s_sub_u32 s37, 0, s38
	s_subb_u32 s40, 0, s39
	v_ashrrev_i32_e32 v9, 31, v7
	v_mac_f32_e32 v5, 0x4f800000, v8
	v_rcp_f32_e32 v5, v5
	v_mul_f32_e32 v5, 0x5f7ffffc, v5
	v_mul_f32_e32 v8, 0x2f800000, v5
	v_trunc_f32_e32 v8, v8
	v_mac_f32_e32 v5, 0xcf800000, v8
	v_cvt_u32_f32_e32 v8, v8
	v_cvt_u32_f32_e32 v5, v5
	v_readfirstlane_b32 s41, v8
	v_readfirstlane_b32 s4, v5
	s_mul_i32 s5, s37, s41
	s_mul_hi_u32 s45, s37, s4
	s_mul_i32 s44, s40, s4
	s_add_i32 s5, s45, s5
	s_add_i32 s5, s5, s44
	s_mul_i32 s46, s37, s4
	s_mul_i32 s45, s4, s5
	s_mul_hi_u32 s47, s4, s46
	s_mul_hi_u32 s44, s4, s5
	s_add_u32 s45, s47, s45
	s_addc_u32 s44, 0, s44
	s_mul_hi_u32 s48, s41, s46
	s_mul_i32 s46, s41, s46
	s_add_u32 s45, s45, s46
	s_mul_hi_u32 s47, s41, s5
	s_addc_u32 s44, s44, s48
	s_addc_u32 s45, s47, 0
	s_mul_i32 s5, s41, s5
	s_add_u32 s5, s44, s5
	s_addc_u32 s44, 0, s45
	s_add_u32 s45, s4, s5
	s_cselect_b64 s[4:5], -1, 0
	s_cmp_lg_u64 s[4:5], 0
	s_addc_u32 s41, s41, s44
	s_mul_i32 s4, s37, s41
	s_mul_hi_u32 s5, s37, s45
	s_add_i32 s4, s5, s4
	s_mul_i32 s40, s40, s45
	s_add_i32 s4, s4, s40
	s_mul_i32 s37, s37, s45
	s_mul_hi_u32 s40, s41, s37
	s_mul_i32 s44, s41, s37
	s_mul_i32 s47, s45, s4
	s_mul_hi_u32 s37, s45, s37
	s_mul_hi_u32 s46, s45, s4
	s_add_u32 s37, s37, s47
	s_addc_u32 s46, 0, s46
	s_add_u32 s37, s37, s44
	s_mul_hi_u32 s5, s41, s4
	s_addc_u32 s37, s46, s40
	s_addc_u32 s5, s5, 0
	s_mul_i32 s4, s41, s4
	s_add_u32 s4, s37, s4
	s_addc_u32 s37, 0, s5
	s_add_u32 s40, s45, s4
	s_cselect_b64 s[4:5], -1, 0
	s_cmp_lg_u64 s[4:5], 0
	v_add_co_u32_e32 v5, vcc, v6, v9
	s_addc_u32 s37, s41, s37
	v_xor_b32_e32 v10, v5, v9
	v_mad_u64_u32 v[5:6], s[4:5], v10, s37, 0
	v_mul_hi_u32 v8, v10, s40
	v_addc_co_u32_e32 v7, vcc, v7, v9, vcc
	v_xor_b32_e32 v11, v7, v9
	v_add_co_u32_e32 v16, vcc, v8, v5
	v_addc_co_u32_e32 v17, vcc, 0, v6, vcc
	v_mad_u64_u32 v[5:6], s[4:5], v11, s40, 0
	v_mad_u64_u32 v[7:8], s[4:5], v11, s37, 0
	v_add_co_u32_e32 v5, vcc, v16, v5
	v_addc_co_u32_e32 v5, vcc, v17, v6, vcc
	v_addc_co_u32_e32 v6, vcc, 0, v8, vcc
	v_add_co_u32_e32 v7, vcc, v5, v7
	v_addc_co_u32_e32 v5, vcc, 0, v6, vcc
	v_mul_lo_u32 v8, s39, v7
	v_mul_lo_u32 v16, s38, v5
	v_mad_u64_u32 v[5:6], s[4:5], s38, v7, 0
	v_add3_u32 v6, v6, v16, v8
	v_sub_u32_e32 v8, v11, v6
	v_mov_b32_e32 v16, s39
	v_sub_co_u32_e32 v5, vcc, v10, v5
	v_subb_co_u32_e64 v8, s[4:5], v8, v16, vcc
	v_subrev_co_u32_e64 v10, s[4:5], s38, v5
	v_subbrev_co_u32_e64 v8, s[4:5], 0, v8, s[4:5]
	v_cmp_le_u32_e64 s[4:5], s39, v8
	v_subb_co_u32_e32 v6, vcc, v11, v6, vcc
	v_cndmask_b32_e64 v16, 0, -1, s[4:5]
	v_cmp_le_u32_e64 s[4:5], s38, v10
	v_cmp_le_u32_e32 vcc, s39, v6
	v_cndmask_b32_e64 v10, 0, -1, s[4:5]
	v_cmp_eq_u32_e64 s[4:5], s39, v8
	v_cndmask_b32_e64 v11, 0, -1, vcc
	v_cmp_le_u32_e32 vcc, s38, v5
	v_cndmask_b32_e64 v8, v16, v10, s[4:5]
	v_cndmask_b32_e64 v5, 0, -1, vcc
	v_cmp_eq_u32_e32 vcc, s39, v6
	v_add_co_u32_e64 v10, s[4:5], 2, v7
	v_add_co_u32_e64 v16, s[4:5], 1, v7
	v_cndmask_b32_e32 v5, v11, v5, vcc
	v_cmp_ne_u32_e32 vcc, 0, v8
	v_cndmask_b32_e32 v6, v16, v10, vcc
	v_cmp_ne_u32_e32 vcc, 0, v5
	v_cndmask_b32_e32 v5, v7, v6, vcc
	v_xor_b32_e32 v6, s36, v9
	v_xor_b32_e32 v5, v5, v6
	v_sub_co_u32_e32 v8, vcc, v5, v6
                                        ; implicit-def: $vgpr6_vgpr7
.LBB42_20:                              ;   in Loop: Header=BB42_10 Depth=1
	s_andn2_saveexec_b64 s[4:5], s[34:35]
	s_cbranch_execz .LBB42_8
; %bb.21:                               ;   in Loop: Header=BB42_10 Depth=1
	v_cvt_f32_u32_e32 v5, s33
	s_sub_i32 s34, 0, s33
	v_rcp_iflag_f32_e32 v5, v5
	v_mul_f32_e32 v5, 0x4f7ffffe, v5
	v_cvt_u32_f32_e32 v5, v5
	v_mul_lo_u32 v7, s34, v5
	v_mul_hi_u32 v7, v5, v7
	v_add_u32_e32 v5, v5, v7
	v_mul_hi_u32 v5, v6, v5
	v_mul_lo_u32 v7, v5, s33
	v_add_u32_e32 v8, 1, v5
	v_sub_u32_e32 v6, v6, v7
	v_subrev_u32_e32 v7, s33, v6
	v_cmp_le_u32_e32 vcc, s33, v6
	v_cndmask_b32_e32 v6, v6, v7, vcc
	v_cndmask_b32_e32 v5, v5, v8, vcc
	v_add_u32_e32 v7, 1, v5
	v_cmp_le_u32_e32 vcc, s33, v6
	v_cndmask_b32_e32 v8, v5, v7, vcc
	s_branch .LBB42_8
.LBB42_22:
	s_or_b64 exec, exec, s[6:7]
; %bb.23:
	s_waitcnt lgkmcnt(0)
	s_barrier
	s_and_saveexec_b64 s[2:3], s[0:1]
	s_cbranch_execz .LBB42_26
; %bb.24:
	v_mad_u64_u32 v[2:3], s[0:1], s20, v0, 0
	v_and_b32_e32 v6, 0xffff, v14
	v_mov_b32_e32 v9, s17
	v_mad_u64_u32 v[3:4], s[0:1], s21, v0, v[3:4]
	v_mad_u64_u32 v[4:5], s[0:1], s20, v6, 0
	v_lshlrev_b64 v[2:3], 3, v[2:3]
	v_mad_u64_u32 v[7:8], s[0:1], s21, v6, v[5:6]
	v_add_co_u32_e32 v2, vcc, s16, v2
	v_mov_b32_e32 v5, v7
	v_lshlrev_b64 v[4:5], 3, v[4:5]
	v_addc_co_u32_e32 v3, vcc, v9, v3, vcc
	v_lshlrev_b32_e32 v7, 3, v13
	s_mov_b64 s[0:1], 0
.LBB42_25:                              ; =>This Inner Loop Header: Depth=1
	ds_read_b64 v[8:9], v12
	v_add_co_u32_e32 v0, vcc, v0, v6
	v_addc_co_u32_e32 v1, vcc, 0, v1, vcc
	s_waitcnt lgkmcnt(0)
	global_atomic_add_x2 v[2:3], v[8:9], off
	v_cmp_le_i64_e32 vcc, s[18:19], v[0:1]
	v_add_u32_e32 v12, v12, v7
	s_or_b64 s[0:1], vcc, s[0:1]
	v_add_co_u32_e32 v2, vcc, v2, v4
	v_addc_co_u32_e32 v3, vcc, v3, v5, vcc
	s_andn2_b64 exec, exec, s[0:1]
	s_cbranch_execnz .LBB42_25
.LBB42_26:
	s_endpgm
	.section	.rodata,"a",@progbits
	.p2align	6, 0x0
	.amdhsa_kernel _ZN2at4cuda17kernelHistogram1DIlllLi1ELi2ELin1ELNS0_23CUDAHistogramMemoryTypeE0EZNS0_21CUDA_tensor_histogramIllLb0EEEbNS_6TensorES4_S4_lNS_14AccumulateTypeIT0_Lb1EE4typeES8_NS0_13TensorArgTypeES9_S9_EUllE0_EEvNS0_6detail10TensorInfoIT_T1_EESF_NSC_IKS6_SE_EElS8_S8_SE_T6_
		.amdhsa_group_segment_fixed_size 0
		.amdhsa_private_segment_fixed_size 0
		.amdhsa_kernarg_size 1544
		.amdhsa_user_sgpr_count 6
		.amdhsa_user_sgpr_private_segment_buffer 1
		.amdhsa_user_sgpr_dispatch_ptr 0
		.amdhsa_user_sgpr_queue_ptr 0
		.amdhsa_user_sgpr_kernarg_segment_ptr 1
		.amdhsa_user_sgpr_dispatch_id 0
		.amdhsa_user_sgpr_flat_scratch_init 0
		.amdhsa_user_sgpr_private_segment_size 0
		.amdhsa_uses_dynamic_stack 0
		.amdhsa_system_sgpr_private_segment_wavefront_offset 0
		.amdhsa_system_sgpr_workgroup_id_x 1
		.amdhsa_system_sgpr_workgroup_id_y 0
		.amdhsa_system_sgpr_workgroup_id_z 0
		.amdhsa_system_sgpr_workgroup_info 0
		.amdhsa_system_vgpr_workitem_id 0
		.amdhsa_next_free_vgpr 24
		.amdhsa_next_free_sgpr 52
		.amdhsa_reserve_vcc 1
		.amdhsa_reserve_flat_scratch 0
		.amdhsa_float_round_mode_32 0
		.amdhsa_float_round_mode_16_64 0
		.amdhsa_float_denorm_mode_32 3
		.amdhsa_float_denorm_mode_16_64 3
		.amdhsa_dx10_clamp 1
		.amdhsa_ieee_mode 1
		.amdhsa_fp16_overflow 0
		.amdhsa_exception_fp_ieee_invalid_op 0
		.amdhsa_exception_fp_denorm_src 0
		.amdhsa_exception_fp_ieee_div_zero 0
		.amdhsa_exception_fp_ieee_overflow 0
		.amdhsa_exception_fp_ieee_underflow 0
		.amdhsa_exception_fp_ieee_inexact 0
		.amdhsa_exception_int_div_zero 0
	.end_amdhsa_kernel
	.section	.text._ZN2at4cuda17kernelHistogram1DIlllLi1ELi2ELin1ELNS0_23CUDAHistogramMemoryTypeE0EZNS0_21CUDA_tensor_histogramIllLb0EEEbNS_6TensorES4_S4_lNS_14AccumulateTypeIT0_Lb1EE4typeES8_NS0_13TensorArgTypeES9_S9_EUllE0_EEvNS0_6detail10TensorInfoIT_T1_EESF_NSC_IKS6_SE_EElS8_S8_SE_T6_,"axG",@progbits,_ZN2at4cuda17kernelHistogram1DIlllLi1ELi2ELin1ELNS0_23CUDAHistogramMemoryTypeE0EZNS0_21CUDA_tensor_histogramIllLb0EEEbNS_6TensorES4_S4_lNS_14AccumulateTypeIT0_Lb1EE4typeES8_NS0_13TensorArgTypeES9_S9_EUllE0_EEvNS0_6detail10TensorInfoIT_T1_EESF_NSC_IKS6_SE_EElS8_S8_SE_T6_,comdat
.Lfunc_end42:
	.size	_ZN2at4cuda17kernelHistogram1DIlllLi1ELi2ELin1ELNS0_23CUDAHistogramMemoryTypeE0EZNS0_21CUDA_tensor_histogramIllLb0EEEbNS_6TensorES4_S4_lNS_14AccumulateTypeIT0_Lb1EE4typeES8_NS0_13TensorArgTypeES9_S9_EUllE0_EEvNS0_6detail10TensorInfoIT_T1_EESF_NSC_IKS6_SE_EElS8_S8_SE_T6_, .Lfunc_end42-_ZN2at4cuda17kernelHistogram1DIlllLi1ELi2ELin1ELNS0_23CUDAHistogramMemoryTypeE0EZNS0_21CUDA_tensor_histogramIllLb0EEEbNS_6TensorES4_S4_lNS_14AccumulateTypeIT0_Lb1EE4typeES8_NS0_13TensorArgTypeES9_S9_EUllE0_EEvNS0_6detail10TensorInfoIT_T1_EESF_NSC_IKS6_SE_EElS8_S8_SE_T6_
                                        ; -- End function
	.set _ZN2at4cuda17kernelHistogram1DIlllLi1ELi2ELin1ELNS0_23CUDAHistogramMemoryTypeE0EZNS0_21CUDA_tensor_histogramIllLb0EEEbNS_6TensorES4_S4_lNS_14AccumulateTypeIT0_Lb1EE4typeES8_NS0_13TensorArgTypeES9_S9_EUllE0_EEvNS0_6detail10TensorInfoIT_T1_EESF_NSC_IKS6_SE_EElS8_S8_SE_T6_.num_vgpr, 24
	.set _ZN2at4cuda17kernelHistogram1DIlllLi1ELi2ELin1ELNS0_23CUDAHistogramMemoryTypeE0EZNS0_21CUDA_tensor_histogramIllLb0EEEbNS_6TensorES4_S4_lNS_14AccumulateTypeIT0_Lb1EE4typeES8_NS0_13TensorArgTypeES9_S9_EUllE0_EEvNS0_6detail10TensorInfoIT_T1_EESF_NSC_IKS6_SE_EElS8_S8_SE_T6_.num_agpr, 0
	.set _ZN2at4cuda17kernelHistogram1DIlllLi1ELi2ELin1ELNS0_23CUDAHistogramMemoryTypeE0EZNS0_21CUDA_tensor_histogramIllLb0EEEbNS_6TensorES4_S4_lNS_14AccumulateTypeIT0_Lb1EE4typeES8_NS0_13TensorArgTypeES9_S9_EUllE0_EEvNS0_6detail10TensorInfoIT_T1_EESF_NSC_IKS6_SE_EElS8_S8_SE_T6_.numbered_sgpr, 52
	.set _ZN2at4cuda17kernelHistogram1DIlllLi1ELi2ELin1ELNS0_23CUDAHistogramMemoryTypeE0EZNS0_21CUDA_tensor_histogramIllLb0EEEbNS_6TensorES4_S4_lNS_14AccumulateTypeIT0_Lb1EE4typeES8_NS0_13TensorArgTypeES9_S9_EUllE0_EEvNS0_6detail10TensorInfoIT_T1_EESF_NSC_IKS6_SE_EElS8_S8_SE_T6_.num_named_barrier, 0
	.set _ZN2at4cuda17kernelHistogram1DIlllLi1ELi2ELin1ELNS0_23CUDAHistogramMemoryTypeE0EZNS0_21CUDA_tensor_histogramIllLb0EEEbNS_6TensorES4_S4_lNS_14AccumulateTypeIT0_Lb1EE4typeES8_NS0_13TensorArgTypeES9_S9_EUllE0_EEvNS0_6detail10TensorInfoIT_T1_EESF_NSC_IKS6_SE_EElS8_S8_SE_T6_.private_seg_size, 0
	.set _ZN2at4cuda17kernelHistogram1DIlllLi1ELi2ELin1ELNS0_23CUDAHistogramMemoryTypeE0EZNS0_21CUDA_tensor_histogramIllLb0EEEbNS_6TensorES4_S4_lNS_14AccumulateTypeIT0_Lb1EE4typeES8_NS0_13TensorArgTypeES9_S9_EUllE0_EEvNS0_6detail10TensorInfoIT_T1_EESF_NSC_IKS6_SE_EElS8_S8_SE_T6_.uses_vcc, 1
	.set _ZN2at4cuda17kernelHistogram1DIlllLi1ELi2ELin1ELNS0_23CUDAHistogramMemoryTypeE0EZNS0_21CUDA_tensor_histogramIllLb0EEEbNS_6TensorES4_S4_lNS_14AccumulateTypeIT0_Lb1EE4typeES8_NS0_13TensorArgTypeES9_S9_EUllE0_EEvNS0_6detail10TensorInfoIT_T1_EESF_NSC_IKS6_SE_EElS8_S8_SE_T6_.uses_flat_scratch, 0
	.set _ZN2at4cuda17kernelHistogram1DIlllLi1ELi2ELin1ELNS0_23CUDAHistogramMemoryTypeE0EZNS0_21CUDA_tensor_histogramIllLb0EEEbNS_6TensorES4_S4_lNS_14AccumulateTypeIT0_Lb1EE4typeES8_NS0_13TensorArgTypeES9_S9_EUllE0_EEvNS0_6detail10TensorInfoIT_T1_EESF_NSC_IKS6_SE_EElS8_S8_SE_T6_.has_dyn_sized_stack, 0
	.set _ZN2at4cuda17kernelHistogram1DIlllLi1ELi2ELin1ELNS0_23CUDAHistogramMemoryTypeE0EZNS0_21CUDA_tensor_histogramIllLb0EEEbNS_6TensorES4_S4_lNS_14AccumulateTypeIT0_Lb1EE4typeES8_NS0_13TensorArgTypeES9_S9_EUllE0_EEvNS0_6detail10TensorInfoIT_T1_EESF_NSC_IKS6_SE_EElS8_S8_SE_T6_.has_recursion, 0
	.set _ZN2at4cuda17kernelHistogram1DIlllLi1ELi2ELin1ELNS0_23CUDAHistogramMemoryTypeE0EZNS0_21CUDA_tensor_histogramIllLb0EEEbNS_6TensorES4_S4_lNS_14AccumulateTypeIT0_Lb1EE4typeES8_NS0_13TensorArgTypeES9_S9_EUllE0_EEvNS0_6detail10TensorInfoIT_T1_EESF_NSC_IKS6_SE_EElS8_S8_SE_T6_.has_indirect_call, 0
	.section	.AMDGPU.csdata,"",@progbits
; Kernel info:
; codeLenInByte = 2352
; TotalNumSgprs: 56
; NumVgprs: 24
; ScratchSize: 0
; MemoryBound: 0
; FloatMode: 240
; IeeeMode: 1
; LDSByteSize: 0 bytes/workgroup (compile time only)
; SGPRBlocks: 6
; VGPRBlocks: 5
; NumSGPRsForWavesPerEU: 56
; NumVGPRsForWavesPerEU: 24
; Occupancy: 10
; WaveLimiterHint : 1
; COMPUTE_PGM_RSRC2:SCRATCH_EN: 0
; COMPUTE_PGM_RSRC2:USER_SGPR: 6
; COMPUTE_PGM_RSRC2:TRAP_HANDLER: 0
; COMPUTE_PGM_RSRC2:TGID_X_EN: 1
; COMPUTE_PGM_RSRC2:TGID_Y_EN: 0
; COMPUTE_PGM_RSRC2:TGID_Z_EN: 0
; COMPUTE_PGM_RSRC2:TIDIG_COMP_CNT: 0
	.section	.text._ZN2at4cuda17kernelHistogram1DIlllLi1ELi2ELin1ELNS0_23CUDAHistogramMemoryTypeE1EZNS0_21CUDA_tensor_histogramIllLb0EEEbNS_6TensorES4_S4_lNS_14AccumulateTypeIT0_Lb1EE4typeES8_NS0_13TensorArgTypeES9_S9_EUllE0_EEvNS0_6detail10TensorInfoIT_T1_EESF_NSC_IKS6_SE_EElS8_S8_SE_T6_,"axG",@progbits,_ZN2at4cuda17kernelHistogram1DIlllLi1ELi2ELin1ELNS0_23CUDAHistogramMemoryTypeE1EZNS0_21CUDA_tensor_histogramIllLb0EEEbNS_6TensorES4_S4_lNS_14AccumulateTypeIT0_Lb1EE4typeES8_NS0_13TensorArgTypeES9_S9_EUllE0_EEvNS0_6detail10TensorInfoIT_T1_EESF_NSC_IKS6_SE_EElS8_S8_SE_T6_,comdat
	.protected	_ZN2at4cuda17kernelHistogram1DIlllLi1ELi2ELin1ELNS0_23CUDAHistogramMemoryTypeE1EZNS0_21CUDA_tensor_histogramIllLb0EEEbNS_6TensorES4_S4_lNS_14AccumulateTypeIT0_Lb1EE4typeES8_NS0_13TensorArgTypeES9_S9_EUllE0_EEvNS0_6detail10TensorInfoIT_T1_EESF_NSC_IKS6_SE_EElS8_S8_SE_T6_ ; -- Begin function _ZN2at4cuda17kernelHistogram1DIlllLi1ELi2ELin1ELNS0_23CUDAHistogramMemoryTypeE1EZNS0_21CUDA_tensor_histogramIllLb0EEEbNS_6TensorES4_S4_lNS_14AccumulateTypeIT0_Lb1EE4typeES8_NS0_13TensorArgTypeES9_S9_EUllE0_EEvNS0_6detail10TensorInfoIT_T1_EESF_NSC_IKS6_SE_EElS8_S8_SE_T6_
	.globl	_ZN2at4cuda17kernelHistogram1DIlllLi1ELi2ELin1ELNS0_23CUDAHistogramMemoryTypeE1EZNS0_21CUDA_tensor_histogramIllLb0EEEbNS_6TensorES4_S4_lNS_14AccumulateTypeIT0_Lb1EE4typeES8_NS0_13TensorArgTypeES9_S9_EUllE0_EEvNS0_6detail10TensorInfoIT_T1_EESF_NSC_IKS6_SE_EElS8_S8_SE_T6_
	.p2align	8
	.type	_ZN2at4cuda17kernelHistogram1DIlllLi1ELi2ELin1ELNS0_23CUDAHistogramMemoryTypeE1EZNS0_21CUDA_tensor_histogramIllLb0EEEbNS_6TensorES4_S4_lNS_14AccumulateTypeIT0_Lb1EE4typeES8_NS0_13TensorArgTypeES9_S9_EUllE0_EEvNS0_6detail10TensorInfoIT_T1_EESF_NSC_IKS6_SE_EElS8_S8_SE_T6_,@function
_ZN2at4cuda17kernelHistogram1DIlllLi1ELi2ELin1ELNS0_23CUDAHistogramMemoryTypeE1EZNS0_21CUDA_tensor_histogramIllLb0EEEbNS_6TensorES4_S4_lNS_14AccumulateTypeIT0_Lb1EE4typeES8_NS0_13TensorArgTypeES9_S9_EUllE0_EEvNS0_6detail10TensorInfoIT_T1_EESF_NSC_IKS6_SE_EElS8_S8_SE_T6_: ; @_ZN2at4cuda17kernelHistogram1DIlllLi1ELi2ELin1ELNS0_23CUDAHistogramMemoryTypeE1EZNS0_21CUDA_tensor_histogramIllLb0EEEbNS_6TensorES4_S4_lNS_14AccumulateTypeIT0_Lb1EE4typeES8_NS0_13TensorArgTypeES9_S9_EUllE0_EEvNS0_6detail10TensorInfoIT_T1_EESF_NSC_IKS6_SE_EElS8_S8_SE_T6_
; %bb.0:
	s_load_dword s2, s[4:5], 0x514
	s_load_dwordx8 s[8:15], s[4:5], 0x4e0
	s_add_u32 s0, s4, 0x508
	s_addc_u32 s1, s5, 0
	v_mov_b32_e32 v2, 0
	s_waitcnt lgkmcnt(0)
	s_and_b32 s2, s2, 0xffff
	s_mul_i32 s6, s6, s2
	v_add_u32_e32 v0, s6, v0
	v_mov_b32_e32 v1, v2
	v_cmp_gt_i64_e32 vcc, s[14:15], v[0:1]
	s_and_saveexec_b64 s[6:7], vcc
	s_cbranch_execz .LBB43_16
; %bb.1:
	s_load_dword s22, s[4:5], 0x4d8
	s_load_dword s3, s[0:1], 0x0
	s_add_u32 s23, s4, 0x340
	s_addc_u32 s24, s5, 0
	s_load_dwordx2 s[6:7], s[4:5], 0x0
	s_load_dwordx2 s[16:17], s[4:5], 0xd0
	;; [unrolled: 1-line block ×4, first 2 shown]
	s_waitcnt lgkmcnt(0)
	s_cmp_gt_i32 s22, 1
	s_cselect_b64 s[0:1], -1, 0
	s_sub_u32 s33, s12, s10
	s_subb_u32 s36, s13, s11
	s_mul_i32 s37, s3, s2
	s_mov_b32 s3, 0
	s_add_i32 s2, s22, -1
	s_add_i32 s38, s22, 1
	s_lshl_b64 s[2:3], s[2:3], 3
	s_add_u32 s2, s23, s2
	s_addc_u32 s3, s24, s3
	s_add_u32 s4, s2, 8
	v_cndmask_b32_e64 v3, 0, 1, s[0:1]
	v_mov_b32_e32 v4, 1
	s_addc_u32 s5, s3, 0
	s_mov_b64 s[22:23], 0
	v_mov_b32_e32 v5, 0
	v_cmp_ne_u32_e64 s[0:1], 1, v3
	s_branch .LBB43_4
.LBB43_2:                               ;   in Loop: Header=BB43_4 Depth=1
	s_or_b64 exec, exec, s[2:3]
	v_ashrrev_i32_e32 v9, 31, v8
	v_cmp_eq_u64_e32 vcc, s[8:9], v[8:9]
	v_cndmask_b32_e64 v3, 0, 1, vcc
	v_sub_co_u32_e32 v3, vcc, v8, v3
	v_subbrev_co_u32_e32 v6, vcc, 0, v9, vcc
	v_mul_lo_u32 v8, v6, s16
	v_mul_lo_u32 v9, v3, s17
	v_mad_u64_u32 v[6:7], s[2:3], v3, s16, 0
	v_mov_b32_e32 v3, s7
	v_add3_u32 v7, v7, v9, v8
	v_lshlrev_b64 v[6:7], 3, v[6:7]
	v_add_co_u32_e32 v6, vcc, s6, v6
	v_addc_co_u32_e32 v7, vcc, v3, v7, vcc
	global_atomic_add_x2 v[6:7], v[4:5], off
.LBB43_3:                               ;   in Loop: Header=BB43_4 Depth=1
	s_or_b64 exec, exec, s[24:25]
	v_add_co_u32_e32 v0, vcc, s37, v0
	v_addc_co_u32_e32 v1, vcc, 0, v1, vcc
	v_cmp_le_i64_e32 vcc, s[14:15], v[0:1]
	s_or_b64 s[22:23], vcc, s[22:23]
	s_andn2_b64 exec, exec, s[22:23]
	s_cbranch_execz .LBB43_16
.LBB43_4:                               ; =>This Loop Header: Depth=1
                                        ;     Child Loop BB43_5 Depth 2
	v_mov_b32_e32 v6, 0
	v_mov_b32_e32 v9, v1
	;; [unrolled: 1-line block ×4, first 2 shown]
	s_and_b64 vcc, exec, s[0:1]
	s_mov_b64 s[24:25], s[4:5]
	s_mov_b32 s39, s38
	v_mov_b32_e32 v8, v0
	v_mov_b32_e32 v10, v0
	s_cbranch_vccnz .LBB43_11
.LBB43_5:                               ;   Parent Loop BB43_4 Depth=1
                                        ; =>  This Inner Loop Header: Depth=2
	s_load_dwordx2 s[26:27], s[24:25], 0x0
                                        ; implicit-def: $vgpr10_vgpr11
	s_waitcnt lgkmcnt(0)
	v_or_b32_e32 v3, s27, v9
	v_cmp_ne_u64_e32 vcc, 0, v[2:3]
	s_and_saveexec_b64 s[2:3], vcc
	s_xor_b64 s[28:29], exec, s[2:3]
	s_cbranch_execz .LBB43_7
; %bb.6:                                ;   in Loop: Header=BB43_5 Depth=2
	s_ashr_i32 s30, s27, 31
	s_add_u32 s2, s26, s30
	s_mov_b32 s31, s30
	s_addc_u32 s3, s27, s30
	s_xor_b64 s[34:35], s[2:3], s[30:31]
	v_cvt_f32_u32_e32 v3, s34
	v_cvt_f32_u32_e32 v10, s35
	s_sub_u32 s31, 0, s34
	s_subb_u32 s40, 0, s35
	v_mac_f32_e32 v3, 0x4f800000, v10
	v_rcp_f32_e32 v3, v3
	v_mul_f32_e32 v3, 0x5f7ffffc, v3
	v_mul_f32_e32 v10, 0x2f800000, v3
	v_trunc_f32_e32 v10, v10
	v_mac_f32_e32 v3, 0xcf800000, v10
	v_cvt_u32_f32_e32 v10, v10
	v_cvt_u32_f32_e32 v3, v3
	v_readfirstlane_b32 s41, v10
	v_readfirstlane_b32 s2, v3
	s_mul_i32 s3, s31, s41
	s_mul_hi_u32 s43, s31, s2
	s_mul_i32 s42, s40, s2
	s_add_i32 s3, s43, s3
	s_add_i32 s3, s3, s42
	s_mul_i32 s44, s31, s2
	s_mul_i32 s43, s2, s3
	s_mul_hi_u32 s45, s2, s44
	s_mul_hi_u32 s42, s2, s3
	s_add_u32 s43, s45, s43
	s_addc_u32 s42, 0, s42
	s_mul_hi_u32 s46, s41, s44
	s_mul_i32 s44, s41, s44
	s_add_u32 s43, s43, s44
	s_mul_hi_u32 s45, s41, s3
	s_addc_u32 s42, s42, s46
	s_addc_u32 s43, s45, 0
	s_mul_i32 s3, s41, s3
	s_add_u32 s3, s42, s3
	s_addc_u32 s42, 0, s43
	s_add_u32 s43, s2, s3
	s_cselect_b64 s[2:3], -1, 0
	s_cmp_lg_u64 s[2:3], 0
	s_addc_u32 s41, s41, s42
	s_mul_i32 s2, s31, s41
	s_mul_hi_u32 s3, s31, s43
	s_add_i32 s2, s3, s2
	s_mul_i32 s40, s40, s43
	s_add_i32 s2, s2, s40
	s_mul_i32 s31, s31, s43
	s_mul_hi_u32 s40, s41, s31
	s_mul_i32 s42, s41, s31
	s_mul_i32 s45, s43, s2
	s_mul_hi_u32 s31, s43, s31
	s_mul_hi_u32 s44, s43, s2
	s_add_u32 s31, s31, s45
	s_addc_u32 s44, 0, s44
	s_add_u32 s31, s31, s42
	s_mul_hi_u32 s3, s41, s2
	s_addc_u32 s31, s44, s40
	s_addc_u32 s3, s3, 0
	s_mul_i32 s2, s41, s2
	s_add_u32 s2, s31, s2
	s_addc_u32 s31, 0, s3
	s_add_u32 s40, s43, s2
	s_cselect_b64 s[2:3], -1, 0
	v_ashrrev_i32_e32 v3, 31, v9
	s_cmp_lg_u64 s[2:3], 0
	v_add_co_u32_e32 v10, vcc, v8, v3
	s_addc_u32 s31, s41, s31
	v_xor_b32_e32 v14, v10, v3
	v_mad_u64_u32 v[10:11], s[2:3], v14, s31, 0
	v_mul_hi_u32 v13, v14, s40
	v_addc_co_u32_e32 v12, vcc, v9, v3, vcc
	v_xor_b32_e32 v15, v12, v3
	v_add_co_u32_e32 v16, vcc, v13, v10
	v_addc_co_u32_e32 v17, vcc, 0, v11, vcc
	v_mad_u64_u32 v[10:11], s[2:3], v15, s40, 0
	v_mad_u64_u32 v[12:13], s[2:3], v15, s31, 0
	v_add_co_u32_e32 v10, vcc, v16, v10
	v_addc_co_u32_e32 v10, vcc, v17, v11, vcc
	v_addc_co_u32_e32 v11, vcc, 0, v13, vcc
	v_add_co_u32_e32 v12, vcc, v10, v12
	v_addc_co_u32_e32 v13, vcc, 0, v11, vcc
	v_mul_lo_u32 v16, s35, v12
	v_mul_lo_u32 v17, s34, v13
	v_mad_u64_u32 v[10:11], s[2:3], s34, v12, 0
	v_xor_b32_e32 v3, s30, v3
	v_add3_u32 v11, v11, v17, v16
	v_sub_u32_e32 v16, v15, v11
	v_mov_b32_e32 v17, s35
	v_sub_co_u32_e32 v10, vcc, v14, v10
	v_subb_co_u32_e64 v14, s[2:3], v16, v17, vcc
	v_subrev_co_u32_e64 v16, s[2:3], s34, v10
	v_subbrev_co_u32_e64 v14, s[2:3], 0, v14, s[2:3]
	v_cmp_le_u32_e64 s[2:3], s35, v14
	v_cndmask_b32_e64 v17, 0, -1, s[2:3]
	v_cmp_le_u32_e64 s[2:3], s34, v16
	v_cndmask_b32_e64 v16, 0, -1, s[2:3]
	v_cmp_eq_u32_e64 s[2:3], s35, v14
	v_cndmask_b32_e64 v14, v17, v16, s[2:3]
	v_add_co_u32_e64 v16, s[2:3], 2, v12
	v_subb_co_u32_e32 v11, vcc, v15, v11, vcc
	v_addc_co_u32_e64 v17, s[2:3], 0, v13, s[2:3]
	v_cmp_le_u32_e32 vcc, s35, v11
	v_add_co_u32_e64 v18, s[2:3], 1, v12
	v_cndmask_b32_e64 v15, 0, -1, vcc
	v_cmp_le_u32_e32 vcc, s34, v10
	v_addc_co_u32_e64 v19, s[2:3], 0, v13, s[2:3]
	v_cndmask_b32_e64 v10, 0, -1, vcc
	v_cmp_eq_u32_e32 vcc, s35, v11
	v_cmp_ne_u32_e64 s[2:3], 0, v14
	v_cndmask_b32_e32 v10, v15, v10, vcc
	v_cndmask_b32_e64 v14, v19, v17, s[2:3]
	v_cmp_ne_u32_e32 vcc, 0, v10
	v_cndmask_b32_e64 v11, v18, v16, s[2:3]
	v_cndmask_b32_e32 v10, v13, v14, vcc
	v_cndmask_b32_e32 v11, v12, v11, vcc
	v_xor_b32_e32 v12, v10, v3
	v_xor_b32_e32 v10, v11, v3
	v_sub_co_u32_e32 v10, vcc, v10, v3
	v_subb_co_u32_e32 v11, vcc, v12, v3, vcc
.LBB43_7:                               ;   in Loop: Header=BB43_5 Depth=2
	s_andn2_saveexec_b64 s[2:3], s[28:29]
	s_cbranch_execz .LBB43_9
; %bb.8:                                ;   in Loop: Header=BB43_5 Depth=2
	v_cvt_f32_u32_e32 v3, s26
	s_sub_i32 s28, 0, s26
	v_rcp_iflag_f32_e32 v3, v3
	v_mul_f32_e32 v3, 0x4f7ffffe, v3
	v_cvt_u32_f32_e32 v3, v3
	v_mul_lo_u32 v10, s28, v3
	v_mul_hi_u32 v10, v3, v10
	v_add_u32_e32 v3, v3, v10
	v_mul_hi_u32 v3, v8, v3
	v_mul_lo_u32 v10, v3, s26
	v_add_u32_e32 v11, 1, v3
	v_sub_u32_e32 v10, v8, v10
	v_subrev_u32_e32 v12, s26, v10
	v_cmp_le_u32_e32 vcc, s26, v10
	v_cndmask_b32_e32 v10, v10, v12, vcc
	v_cndmask_b32_e32 v3, v3, v11, vcc
	v_add_u32_e32 v11, 1, v3
	v_cmp_le_u32_e32 vcc, s26, v10
	v_cndmask_b32_e32 v10, v3, v11, vcc
	v_mov_b32_e32 v11, v2
.LBB43_9:                               ;   in Loop: Header=BB43_5 Depth=2
	s_or_b64 exec, exec, s[2:3]
	v_mul_lo_u32 v3, v11, s26
	v_mul_lo_u32 v14, v10, s27
	v_mad_u64_u32 v[12:13], s[2:3], v10, s26, 0
	s_load_dwordx2 s[2:3], s[24:25], 0xc8
	s_add_i32 s39, s39, -1
	v_add3_u32 v3, v13, v14, v3
	v_sub_co_u32_e32 v8, vcc, v8, v12
	v_subb_co_u32_e32 v3, vcc, v9, v3, vcc
	s_waitcnt lgkmcnt(0)
	v_mul_lo_u32 v3, s2, v3
	v_mul_lo_u32 v9, s3, v8
	v_mad_u64_u32 v[6:7], s[2:3], s2, v8, v[6:7]
	s_add_u32 s24, s24, -8
	s_addc_u32 s25, s25, -1
	s_cmp_gt_u32 s39, 2
	v_add3_u32 v7, v9, v7, v3
	s_cbranch_scc0 .LBB43_11
; %bb.10:                               ;   in Loop: Header=BB43_5 Depth=2
	v_mov_b32_e32 v8, v10
	v_mov_b32_e32 v9, v11
	s_branch .LBB43_5
.LBB43_11:                              ;   in Loop: Header=BB43_4 Depth=1
	v_mul_lo_u32 v3, s19, v10
	v_mul_lo_u32 v11, s18, v11
	v_mad_u64_u32 v[8:9], s[2:3], s18, v10, 0
	v_lshlrev_b64 v[6:7], 3, v[6:7]
	v_add3_u32 v9, v9, v11, v3
	v_lshlrev_b64 v[8:9], 3, v[8:9]
	v_mov_b32_e32 v3, s21
	v_add_co_u32_e32 v8, vcc, s20, v8
	v_addc_co_u32_e32 v3, vcc, v3, v9, vcc
	v_add_co_u32_e32 v6, vcc, v8, v6
	v_addc_co_u32_e32 v7, vcc, v3, v7, vcc
	global_load_dwordx2 v[6:7], v[6:7], off
	s_waitcnt vmcnt(0)
	v_cmp_le_i64_e32 vcc, s[10:11], v[6:7]
	v_cmp_ge_i64_e64 s[2:3], s[12:13], v[6:7]
	s_and_b64 s[2:3], vcc, s[2:3]
	s_and_saveexec_b64 s[24:25], s[2:3]
	s_cbranch_execz .LBB43_3
; %bb.12:                               ;   in Loop: Header=BB43_4 Depth=1
	v_mov_b32_e32 v3, s11
	v_subrev_co_u32_e32 v6, vcc, s10, v6
	v_subb_co_u32_e32 v3, vcc, v7, v3, vcc
	v_mul_lo_u32 v3, v3, s8
	v_mul_lo_u32 v8, v6, s9
	v_mad_u64_u32 v[6:7], s[2:3], v6, s8, 0
	v_add3_u32 v7, v7, v8, v3
	v_or_b32_e32 v3, s36, v7
	v_cmp_ne_u64_e32 vcc, 0, v[2:3]
                                        ; implicit-def: $vgpr8_vgpr9
	s_and_saveexec_b64 s[2:3], vcc
	s_xor_b64 s[26:27], exec, s[2:3]
	s_cbranch_execz .LBB43_14
; %bb.13:                               ;   in Loop: Header=BB43_4 Depth=1
	s_ashr_i32 s28, s36, 31
	s_add_u32 s2, s33, s28
	s_mov_b32 s29, s28
	s_addc_u32 s3, s36, s28
	s_xor_b64 s[30:31], s[2:3], s[28:29]
	v_cvt_f32_u32_e32 v3, s30
	v_cvt_f32_u32_e32 v8, s31
	s_sub_u32 s29, 0, s30
	s_subb_u32 s34, 0, s31
	v_mac_f32_e32 v3, 0x4f800000, v8
	v_rcp_f32_e32 v3, v3
	v_mul_f32_e32 v3, 0x5f7ffffc, v3
	v_mul_f32_e32 v8, 0x2f800000, v3
	v_trunc_f32_e32 v8, v8
	v_mac_f32_e32 v3, 0xcf800000, v8
	v_cvt_u32_f32_e32 v8, v8
	v_cvt_u32_f32_e32 v3, v3
	v_readfirstlane_b32 s35, v8
	v_readfirstlane_b32 s2, v3
	s_mul_i32 s3, s29, s35
	s_mul_hi_u32 s40, s29, s2
	s_mul_i32 s39, s34, s2
	s_add_i32 s3, s40, s3
	s_add_i32 s3, s3, s39
	s_mul_i32 s41, s29, s2
	s_mul_i32 s40, s2, s3
	s_mul_hi_u32 s42, s2, s41
	s_mul_hi_u32 s39, s2, s3
	s_add_u32 s40, s42, s40
	s_addc_u32 s39, 0, s39
	s_mul_hi_u32 s43, s35, s41
	s_mul_i32 s41, s35, s41
	s_add_u32 s40, s40, s41
	s_mul_hi_u32 s42, s35, s3
	s_addc_u32 s39, s39, s43
	s_addc_u32 s40, s42, 0
	s_mul_i32 s3, s35, s3
	s_add_u32 s3, s39, s3
	s_addc_u32 s39, 0, s40
	s_add_u32 s40, s2, s3
	s_cselect_b64 s[2:3], -1, 0
	s_cmp_lg_u64 s[2:3], 0
	s_addc_u32 s35, s35, s39
	s_mul_i32 s2, s29, s35
	s_mul_hi_u32 s3, s29, s40
	s_add_i32 s2, s3, s2
	s_mul_i32 s34, s34, s40
	s_add_i32 s2, s2, s34
	s_mul_i32 s29, s29, s40
	s_mul_hi_u32 s34, s35, s29
	s_mul_i32 s39, s35, s29
	s_mul_i32 s42, s40, s2
	s_mul_hi_u32 s29, s40, s29
	s_mul_hi_u32 s41, s40, s2
	s_add_u32 s29, s29, s42
	s_addc_u32 s41, 0, s41
	s_add_u32 s29, s29, s39
	s_mul_hi_u32 s3, s35, s2
	s_addc_u32 s29, s41, s34
	s_addc_u32 s3, s3, 0
	s_mul_i32 s2, s35, s2
	s_add_u32 s2, s29, s2
	s_addc_u32 s29, 0, s3
	s_add_u32 s34, s40, s2
	s_cselect_b64 s[2:3], -1, 0
	v_ashrrev_i32_e32 v3, 31, v7
	s_cmp_lg_u64 s[2:3], 0
	v_add_co_u32_e32 v6, vcc, v6, v3
	s_addc_u32 s29, s35, s29
	v_xor_b32_e32 v10, v6, v3
	v_addc_co_u32_e32 v8, vcc, v7, v3, vcc
	v_mad_u64_u32 v[6:7], s[2:3], v10, s29, 0
	v_mul_hi_u32 v9, v10, s34
	v_xor_b32_e32 v11, v8, v3
	v_xor_b32_e32 v3, s28, v3
	v_add_co_u32_e32 v12, vcc, v9, v6
	v_addc_co_u32_e32 v13, vcc, 0, v7, vcc
	v_mad_u64_u32 v[6:7], s[2:3], v11, s34, 0
	v_mad_u64_u32 v[8:9], s[2:3], v11, s29, 0
	v_add_co_u32_e32 v6, vcc, v12, v6
	v_addc_co_u32_e32 v6, vcc, v13, v7, vcc
	v_addc_co_u32_e32 v7, vcc, 0, v9, vcc
	v_add_co_u32_e32 v8, vcc, v6, v8
	v_addc_co_u32_e32 v6, vcc, 0, v7, vcc
	v_mul_lo_u32 v9, s31, v8
	v_mul_lo_u32 v12, s30, v6
	v_mad_u64_u32 v[6:7], s[2:3], s30, v8, 0
	v_add3_u32 v7, v7, v12, v9
	v_sub_u32_e32 v9, v11, v7
	v_mov_b32_e32 v12, s31
	v_sub_co_u32_e32 v6, vcc, v10, v6
	v_subb_co_u32_e64 v9, s[2:3], v9, v12, vcc
	v_subrev_co_u32_e64 v10, s[2:3], s30, v6
	v_subbrev_co_u32_e64 v9, s[2:3], 0, v9, s[2:3]
	v_cmp_le_u32_e64 s[2:3], s31, v9
	v_subb_co_u32_e32 v7, vcc, v11, v7, vcc
	v_cndmask_b32_e64 v12, 0, -1, s[2:3]
	v_cmp_le_u32_e64 s[2:3], s30, v10
	v_cmp_le_u32_e32 vcc, s31, v7
	v_cndmask_b32_e64 v10, 0, -1, s[2:3]
	v_cmp_eq_u32_e64 s[2:3], s31, v9
	v_cndmask_b32_e64 v11, 0, -1, vcc
	v_cmp_le_u32_e32 vcc, s30, v6
	v_cndmask_b32_e64 v9, v12, v10, s[2:3]
	v_cndmask_b32_e64 v6, 0, -1, vcc
	v_cmp_eq_u32_e32 vcc, s31, v7
	v_add_co_u32_e64 v10, s[2:3], 2, v8
	v_add_co_u32_e64 v12, s[2:3], 1, v8
	v_cndmask_b32_e32 v6, v11, v6, vcc
	v_cmp_ne_u32_e32 vcc, 0, v9
	v_cndmask_b32_e32 v7, v12, v10, vcc
	v_cmp_ne_u32_e32 vcc, 0, v6
	v_cndmask_b32_e32 v6, v8, v7, vcc
	v_xor_b32_e32 v6, v6, v3
	v_sub_co_u32_e32 v8, vcc, v6, v3
                                        ; implicit-def: $vgpr6_vgpr7
.LBB43_14:                              ;   in Loop: Header=BB43_4 Depth=1
	s_andn2_saveexec_b64 s[2:3], s[26:27]
	s_cbranch_execz .LBB43_2
; %bb.15:                               ;   in Loop: Header=BB43_4 Depth=1
	v_cvt_f32_u32_e32 v3, s33
	s_sub_i32 s26, 0, s33
	v_rcp_iflag_f32_e32 v3, v3
	v_mul_f32_e32 v3, 0x4f7ffffe, v3
	v_cvt_u32_f32_e32 v3, v3
	v_mul_lo_u32 v7, s26, v3
	v_mul_hi_u32 v7, v3, v7
	v_add_u32_e32 v3, v3, v7
	v_mul_hi_u32 v3, v6, v3
	v_mul_lo_u32 v7, v3, s33
	v_add_u32_e32 v8, 1, v3
	v_sub_u32_e32 v6, v6, v7
	v_subrev_u32_e32 v7, s33, v6
	v_cmp_le_u32_e32 vcc, s33, v6
	v_cndmask_b32_e32 v6, v6, v7, vcc
	v_cndmask_b32_e32 v3, v3, v8, vcc
	v_add_u32_e32 v7, 1, v3
	v_cmp_le_u32_e32 vcc, s33, v6
	v_cndmask_b32_e32 v8, v3, v7, vcc
	s_branch .LBB43_2
.LBB43_16:
	s_endpgm
	.section	.rodata,"a",@progbits
	.p2align	6, 0x0
	.amdhsa_kernel _ZN2at4cuda17kernelHistogram1DIlllLi1ELi2ELin1ELNS0_23CUDAHistogramMemoryTypeE1EZNS0_21CUDA_tensor_histogramIllLb0EEEbNS_6TensorES4_S4_lNS_14AccumulateTypeIT0_Lb1EE4typeES8_NS0_13TensorArgTypeES9_S9_EUllE0_EEvNS0_6detail10TensorInfoIT_T1_EESF_NSC_IKS6_SE_EElS8_S8_SE_T6_
		.amdhsa_group_segment_fixed_size 0
		.amdhsa_private_segment_fixed_size 0
		.amdhsa_kernarg_size 1544
		.amdhsa_user_sgpr_count 6
		.amdhsa_user_sgpr_private_segment_buffer 1
		.amdhsa_user_sgpr_dispatch_ptr 0
		.amdhsa_user_sgpr_queue_ptr 0
		.amdhsa_user_sgpr_kernarg_segment_ptr 1
		.amdhsa_user_sgpr_dispatch_id 0
		.amdhsa_user_sgpr_flat_scratch_init 0
		.amdhsa_user_sgpr_private_segment_size 0
		.amdhsa_uses_dynamic_stack 0
		.amdhsa_system_sgpr_private_segment_wavefront_offset 0
		.amdhsa_system_sgpr_workgroup_id_x 1
		.amdhsa_system_sgpr_workgroup_id_y 0
		.amdhsa_system_sgpr_workgroup_id_z 0
		.amdhsa_system_sgpr_workgroup_info 0
		.amdhsa_system_vgpr_workitem_id 0
		.amdhsa_next_free_vgpr 20
		.amdhsa_next_free_sgpr 47
		.amdhsa_reserve_vcc 1
		.amdhsa_reserve_flat_scratch 0
		.amdhsa_float_round_mode_32 0
		.amdhsa_float_round_mode_16_64 0
		.amdhsa_float_denorm_mode_32 3
		.amdhsa_float_denorm_mode_16_64 3
		.amdhsa_dx10_clamp 1
		.amdhsa_ieee_mode 1
		.amdhsa_fp16_overflow 0
		.amdhsa_exception_fp_ieee_invalid_op 0
		.amdhsa_exception_fp_denorm_src 0
		.amdhsa_exception_fp_ieee_div_zero 0
		.amdhsa_exception_fp_ieee_overflow 0
		.amdhsa_exception_fp_ieee_underflow 0
		.amdhsa_exception_fp_ieee_inexact 0
		.amdhsa_exception_int_div_zero 0
	.end_amdhsa_kernel
	.section	.text._ZN2at4cuda17kernelHistogram1DIlllLi1ELi2ELin1ELNS0_23CUDAHistogramMemoryTypeE1EZNS0_21CUDA_tensor_histogramIllLb0EEEbNS_6TensorES4_S4_lNS_14AccumulateTypeIT0_Lb1EE4typeES8_NS0_13TensorArgTypeES9_S9_EUllE0_EEvNS0_6detail10TensorInfoIT_T1_EESF_NSC_IKS6_SE_EElS8_S8_SE_T6_,"axG",@progbits,_ZN2at4cuda17kernelHistogram1DIlllLi1ELi2ELin1ELNS0_23CUDAHistogramMemoryTypeE1EZNS0_21CUDA_tensor_histogramIllLb0EEEbNS_6TensorES4_S4_lNS_14AccumulateTypeIT0_Lb1EE4typeES8_NS0_13TensorArgTypeES9_S9_EUllE0_EEvNS0_6detail10TensorInfoIT_T1_EESF_NSC_IKS6_SE_EElS8_S8_SE_T6_,comdat
.Lfunc_end43:
	.size	_ZN2at4cuda17kernelHistogram1DIlllLi1ELi2ELin1ELNS0_23CUDAHistogramMemoryTypeE1EZNS0_21CUDA_tensor_histogramIllLb0EEEbNS_6TensorES4_S4_lNS_14AccumulateTypeIT0_Lb1EE4typeES8_NS0_13TensorArgTypeES9_S9_EUllE0_EEvNS0_6detail10TensorInfoIT_T1_EESF_NSC_IKS6_SE_EElS8_S8_SE_T6_, .Lfunc_end43-_ZN2at4cuda17kernelHistogram1DIlllLi1ELi2ELin1ELNS0_23CUDAHistogramMemoryTypeE1EZNS0_21CUDA_tensor_histogramIllLb0EEEbNS_6TensorES4_S4_lNS_14AccumulateTypeIT0_Lb1EE4typeES8_NS0_13TensorArgTypeES9_S9_EUllE0_EEvNS0_6detail10TensorInfoIT_T1_EESF_NSC_IKS6_SE_EElS8_S8_SE_T6_
                                        ; -- End function
	.set _ZN2at4cuda17kernelHistogram1DIlllLi1ELi2ELin1ELNS0_23CUDAHistogramMemoryTypeE1EZNS0_21CUDA_tensor_histogramIllLb0EEEbNS_6TensorES4_S4_lNS_14AccumulateTypeIT0_Lb1EE4typeES8_NS0_13TensorArgTypeES9_S9_EUllE0_EEvNS0_6detail10TensorInfoIT_T1_EESF_NSC_IKS6_SE_EElS8_S8_SE_T6_.num_vgpr, 20
	.set _ZN2at4cuda17kernelHistogram1DIlllLi1ELi2ELin1ELNS0_23CUDAHistogramMemoryTypeE1EZNS0_21CUDA_tensor_histogramIllLb0EEEbNS_6TensorES4_S4_lNS_14AccumulateTypeIT0_Lb1EE4typeES8_NS0_13TensorArgTypeES9_S9_EUllE0_EEvNS0_6detail10TensorInfoIT_T1_EESF_NSC_IKS6_SE_EElS8_S8_SE_T6_.num_agpr, 0
	.set _ZN2at4cuda17kernelHistogram1DIlllLi1ELi2ELin1ELNS0_23CUDAHistogramMemoryTypeE1EZNS0_21CUDA_tensor_histogramIllLb0EEEbNS_6TensorES4_S4_lNS_14AccumulateTypeIT0_Lb1EE4typeES8_NS0_13TensorArgTypeES9_S9_EUllE0_EEvNS0_6detail10TensorInfoIT_T1_EESF_NSC_IKS6_SE_EElS8_S8_SE_T6_.numbered_sgpr, 47
	.set _ZN2at4cuda17kernelHistogram1DIlllLi1ELi2ELin1ELNS0_23CUDAHistogramMemoryTypeE1EZNS0_21CUDA_tensor_histogramIllLb0EEEbNS_6TensorES4_S4_lNS_14AccumulateTypeIT0_Lb1EE4typeES8_NS0_13TensorArgTypeES9_S9_EUllE0_EEvNS0_6detail10TensorInfoIT_T1_EESF_NSC_IKS6_SE_EElS8_S8_SE_T6_.num_named_barrier, 0
	.set _ZN2at4cuda17kernelHistogram1DIlllLi1ELi2ELin1ELNS0_23CUDAHistogramMemoryTypeE1EZNS0_21CUDA_tensor_histogramIllLb0EEEbNS_6TensorES4_S4_lNS_14AccumulateTypeIT0_Lb1EE4typeES8_NS0_13TensorArgTypeES9_S9_EUllE0_EEvNS0_6detail10TensorInfoIT_T1_EESF_NSC_IKS6_SE_EElS8_S8_SE_T6_.private_seg_size, 0
	.set _ZN2at4cuda17kernelHistogram1DIlllLi1ELi2ELin1ELNS0_23CUDAHistogramMemoryTypeE1EZNS0_21CUDA_tensor_histogramIllLb0EEEbNS_6TensorES4_S4_lNS_14AccumulateTypeIT0_Lb1EE4typeES8_NS0_13TensorArgTypeES9_S9_EUllE0_EEvNS0_6detail10TensorInfoIT_T1_EESF_NSC_IKS6_SE_EElS8_S8_SE_T6_.uses_vcc, 1
	.set _ZN2at4cuda17kernelHistogram1DIlllLi1ELi2ELin1ELNS0_23CUDAHistogramMemoryTypeE1EZNS0_21CUDA_tensor_histogramIllLb0EEEbNS_6TensorES4_S4_lNS_14AccumulateTypeIT0_Lb1EE4typeES8_NS0_13TensorArgTypeES9_S9_EUllE0_EEvNS0_6detail10TensorInfoIT_T1_EESF_NSC_IKS6_SE_EElS8_S8_SE_T6_.uses_flat_scratch, 0
	.set _ZN2at4cuda17kernelHistogram1DIlllLi1ELi2ELin1ELNS0_23CUDAHistogramMemoryTypeE1EZNS0_21CUDA_tensor_histogramIllLb0EEEbNS_6TensorES4_S4_lNS_14AccumulateTypeIT0_Lb1EE4typeES8_NS0_13TensorArgTypeES9_S9_EUllE0_EEvNS0_6detail10TensorInfoIT_T1_EESF_NSC_IKS6_SE_EElS8_S8_SE_T6_.has_dyn_sized_stack, 0
	.set _ZN2at4cuda17kernelHistogram1DIlllLi1ELi2ELin1ELNS0_23CUDAHistogramMemoryTypeE1EZNS0_21CUDA_tensor_histogramIllLb0EEEbNS_6TensorES4_S4_lNS_14AccumulateTypeIT0_Lb1EE4typeES8_NS0_13TensorArgTypeES9_S9_EUllE0_EEvNS0_6detail10TensorInfoIT_T1_EESF_NSC_IKS6_SE_EElS8_S8_SE_T6_.has_recursion, 0
	.set _ZN2at4cuda17kernelHistogram1DIlllLi1ELi2ELin1ELNS0_23CUDAHistogramMemoryTypeE1EZNS0_21CUDA_tensor_histogramIllLb0EEEbNS_6TensorES4_S4_lNS_14AccumulateTypeIT0_Lb1EE4typeES8_NS0_13TensorArgTypeES9_S9_EUllE0_EEvNS0_6detail10TensorInfoIT_T1_EESF_NSC_IKS6_SE_EElS8_S8_SE_T6_.has_indirect_call, 0
	.section	.AMDGPU.csdata,"",@progbits
; Kernel info:
; codeLenInByte = 2076
; TotalNumSgprs: 51
; NumVgprs: 20
; ScratchSize: 0
; MemoryBound: 0
; FloatMode: 240
; IeeeMode: 1
; LDSByteSize: 0 bytes/workgroup (compile time only)
; SGPRBlocks: 6
; VGPRBlocks: 4
; NumSGPRsForWavesPerEU: 51
; NumVGPRsForWavesPerEU: 20
; Occupancy: 10
; WaveLimiterHint : 1
; COMPUTE_PGM_RSRC2:SCRATCH_EN: 0
; COMPUTE_PGM_RSRC2:USER_SGPR: 6
; COMPUTE_PGM_RSRC2:TRAP_HANDLER: 0
; COMPUTE_PGM_RSRC2:TGID_X_EN: 1
; COMPUTE_PGM_RSRC2:TGID_Y_EN: 0
; COMPUTE_PGM_RSRC2:TGID_Z_EN: 0
; COMPUTE_PGM_RSRC2:TIDIG_COMP_CNT: 0
	.section	.text._ZN2at4cuda17kernelHistogram1DIdllLi1ELi2ELin1ELNS0_23CUDAHistogramMemoryTypeE0EZNS0_21CUDA_tensor_histogramIdlLb1EEEbNS_6TensorES4_S4_lNS_14AccumulateTypeIT0_Lb1EE4typeES8_NS0_13TensorArgTypeES9_S9_EUllE_EEvNS0_6detail10TensorInfoIT_T1_EESF_NSC_IKS6_SE_EElS8_S8_SE_T6_,"axG",@progbits,_ZN2at4cuda17kernelHistogram1DIdllLi1ELi2ELin1ELNS0_23CUDAHistogramMemoryTypeE0EZNS0_21CUDA_tensor_histogramIdlLb1EEEbNS_6TensorES4_S4_lNS_14AccumulateTypeIT0_Lb1EE4typeES8_NS0_13TensorArgTypeES9_S9_EUllE_EEvNS0_6detail10TensorInfoIT_T1_EESF_NSC_IKS6_SE_EElS8_S8_SE_T6_,comdat
	.protected	_ZN2at4cuda17kernelHistogram1DIdllLi1ELi2ELin1ELNS0_23CUDAHistogramMemoryTypeE0EZNS0_21CUDA_tensor_histogramIdlLb1EEEbNS_6TensorES4_S4_lNS_14AccumulateTypeIT0_Lb1EE4typeES8_NS0_13TensorArgTypeES9_S9_EUllE_EEvNS0_6detail10TensorInfoIT_T1_EESF_NSC_IKS6_SE_EElS8_S8_SE_T6_ ; -- Begin function _ZN2at4cuda17kernelHistogram1DIdllLi1ELi2ELin1ELNS0_23CUDAHistogramMemoryTypeE0EZNS0_21CUDA_tensor_histogramIdlLb1EEEbNS_6TensorES4_S4_lNS_14AccumulateTypeIT0_Lb1EE4typeES8_NS0_13TensorArgTypeES9_S9_EUllE_EEvNS0_6detail10TensorInfoIT_T1_EESF_NSC_IKS6_SE_EElS8_S8_SE_T6_
	.globl	_ZN2at4cuda17kernelHistogram1DIdllLi1ELi2ELin1ELNS0_23CUDAHistogramMemoryTypeE0EZNS0_21CUDA_tensor_histogramIdlLb1EEEbNS_6TensorES4_S4_lNS_14AccumulateTypeIT0_Lb1EE4typeES8_NS0_13TensorArgTypeES9_S9_EUllE_EEvNS0_6detail10TensorInfoIT_T1_EESF_NSC_IKS6_SE_EElS8_S8_SE_T6_
	.p2align	8
	.type	_ZN2at4cuda17kernelHistogram1DIdllLi1ELi2ELin1ELNS0_23CUDAHistogramMemoryTypeE0EZNS0_21CUDA_tensor_histogramIdlLb1EEEbNS_6TensorES4_S4_lNS_14AccumulateTypeIT0_Lb1EE4typeES8_NS0_13TensorArgTypeES9_S9_EUllE_EEvNS0_6detail10TensorInfoIT_T1_EESF_NSC_IKS6_SE_EElS8_S8_SE_T6_,@function
_ZN2at4cuda17kernelHistogram1DIdllLi1ELi2ELin1ELNS0_23CUDAHistogramMemoryTypeE0EZNS0_21CUDA_tensor_histogramIdlLb1EEEbNS_6TensorES4_S4_lNS_14AccumulateTypeIT0_Lb1EE4typeES8_NS0_13TensorArgTypeES9_S9_EUllE_EEvNS0_6detail10TensorInfoIT_T1_EESF_NSC_IKS6_SE_EElS8_S8_SE_T6_: ; @_ZN2at4cuda17kernelHistogram1DIdllLi1ELi2ELin1ELNS0_23CUDAHistogramMemoryTypeE0EZNS0_21CUDA_tensor_histogramIdlLb1EEEbNS_6TensorES4_S4_lNS_14AccumulateTypeIT0_Lb1EE4typeES8_NS0_13TensorArgTypeES9_S9_EUllE_EEvNS0_6detail10TensorInfoIT_T1_EESF_NSC_IKS6_SE_EElS8_S8_SE_T6_
; %bb.0:
	s_load_dwordx4 s[16:19], s[4:5], 0x0
	s_load_dwordx2 s[22:23], s[4:5], 0x500
	s_load_dwordx8 s[8:15], s[4:5], 0x4e0
	v_mov_b32_e32 v1, 0
	s_add_u32 s2, s4, 0x6a0
	s_waitcnt lgkmcnt(0)
	v_cmp_gt_i64_e64 s[0:1], s[18:19], v[0:1]
	v_cmp_le_i64_e32 vcc, s[18:19], v[0:1]
	s_addc_u32 s3, s5, 0
                                        ; implicit-def: $sgpr28
                                        ; implicit-def: $sgpr7
	s_and_saveexec_b64 s[20:21], vcc
	s_xor_b64 s[20:21], exec, s[20:21]
	s_cbranch_execz .LBB44_2
; %bb.1:
	s_load_dword s28, s[2:3], 0xc
	s_waitcnt lgkmcnt(0)
	s_and_b32 s7, s28, 0xffff
.LBB44_2:
	s_or_saveexec_b64 s[26:27], s[20:21]
	s_load_dwordx2 s[20:21], s[4:5], 0xd0
	s_load_dwordx2 s[24:25], s[4:5], 0x5d0
	v_mov_b32_e32 v12, s28
	v_mov_b32_e32 v5, s7
	s_xor_b64 exec, exec, s[26:27]
	s_cbranch_execz .LBB44_6
; %bb.3:
	s_load_dword s7, s[2:3], 0xc
	v_mov_b32_e32 v2, 0
	v_mov_b32_e32 v5, v1
	v_lshl_add_u32 v6, v0, 3, 0
	s_mov_b64 s[28:29], 0
	s_waitcnt lgkmcnt(0)
	s_and_b32 s30, s7, 0xffff
	v_mov_b32_e32 v3, v2
	s_lshl_b32 s31, s30, 3
	v_mov_b32_e32 v4, v0
.LBB44_4:                               ; =>This Inner Loop Header: Depth=1
	v_add_co_u32_e32 v4, vcc, s30, v4
	v_addc_co_u32_e32 v5, vcc, 0, v5, vcc
	v_cmp_le_i64_e32 vcc, s[18:19], v[4:5]
	ds_write_b64 v6, v[2:3]
	s_or_b64 s[28:29], vcc, s[28:29]
	v_add_u32_e32 v6, s31, v6
	s_andn2_b64 exec, exec, s[28:29]
	s_cbranch_execnz .LBB44_4
; %bb.5:
	s_or_b64 exec, exec, s[28:29]
	v_mov_b32_e32 v12, s7
	v_mov_b32_e32 v5, s30
.LBB44_6:
	s_or_b64 exec, exec, s[26:27]
	v_mad_u64_u32 v[2:3], s[6:7], s6, v5, v[0:1]
	v_mov_b32_e32 v4, 0
	v_mov_b32_e32 v3, v4
	v_cmp_gt_i64_e32 vcc, s[14:15], v[2:3]
	s_waitcnt lgkmcnt(0)
	s_barrier
	s_and_saveexec_b64 s[6:7], vcc
	s_cbranch_execz .LBB44_23
; %bb.7:
	s_load_dword s30, s[4:5], 0x4d8
	s_load_dwordx2 s[28:29], s[4:5], 0x340
	s_add_u32 s31, s4, 0x340
	s_addc_u32 s35, s5, 0
	s_load_dword s34, s[2:3], 0x0
	s_load_dwordx2 s[26:27], s[4:5], 0x410
	s_waitcnt lgkmcnt(0)
	s_cmp_gt_i32 s30, 1
	s_cselect_b64 s[2:3], -1, 0
	s_sub_u32 s33, s12, s10
	s_subb_u32 s46, s13, s11
	s_mov_b32 s5, 0
	s_add_i32 s4, s30, -1
	s_add_i32 s47, s30, 1
	s_lshl_b64 s[4:5], s[4:5], 3
	v_mul_lo_u32 v13, s34, v5
	s_add_u32 s4, s31, s4
	s_addc_u32 s5, s35, s5
	s_add_u32 s30, s4, 8
	v_cndmask_b32_e64 v5, 0, 1, s[2:3]
	s_addc_u32 s31, s5, 0
	s_mov_b64 s[34:35], 0
	v_cmp_ne_u32_e64 s[2:3], 1, v5
	s_branch .LBB44_9
.LBB44_8:                               ;   in Loop: Header=BB44_9 Depth=1
	s_or_b64 exec, exec, s[36:37]
	v_add_co_u32_e32 v2, vcc, v2, v13
	v_addc_co_u32_e32 v3, vcc, 0, v3, vcc
	v_cmp_le_i64_e32 vcc, s[14:15], v[2:3]
	s_or_b64 s[34:35], vcc, s[34:35]
	s_andn2_b64 exec, exec, s[34:35]
	s_cbranch_execz .LBB44_23
.LBB44_9:                               ; =>This Loop Header: Depth=1
                                        ;     Child Loop BB44_10 Depth 2
                                        ;     Child Loop BB44_22 Depth 2
	v_mov_b32_e32 v6, 0
	v_mov_b32_e32 v9, v3
	;; [unrolled: 1-line block ×4, first 2 shown]
	s_and_b64 vcc, exec, s[2:3]
	s_mov_b64 s[36:37], s[30:31]
	s_mov_b32 s48, s47
	v_mov_b32_e32 v8, v2
	v_mov_b32_e32 v10, v2
	s_cbranch_vccnz .LBB44_16
.LBB44_10:                              ;   Parent Loop BB44_9 Depth=1
                                        ; =>  This Inner Loop Header: Depth=2
	s_load_dwordx2 s[38:39], s[36:37], 0x0
                                        ; implicit-def: $vgpr10_vgpr11
	s_waitcnt lgkmcnt(0)
	v_or_b32_e32 v5, s39, v9
	v_cmp_ne_u64_e32 vcc, 0, v[4:5]
	s_and_saveexec_b64 s[4:5], vcc
	s_xor_b64 s[40:41], exec, s[4:5]
	s_cbranch_execz .LBB44_12
; %bb.11:                               ;   in Loop: Header=BB44_10 Depth=2
	s_ashr_i32 s42, s39, 31
	s_add_u32 s4, s38, s42
	s_mov_b32 s43, s42
	s_addc_u32 s5, s39, s42
	s_xor_b64 s[44:45], s[4:5], s[42:43]
	v_cvt_f32_u32_e32 v5, s44
	v_cvt_f32_u32_e32 v10, s45
	s_sub_u32 s43, 0, s44
	s_subb_u32 s49, 0, s45
	v_mac_f32_e32 v5, 0x4f800000, v10
	v_rcp_f32_e32 v5, v5
	v_mul_f32_e32 v5, 0x5f7ffffc, v5
	v_mul_f32_e32 v10, 0x2f800000, v5
	v_trunc_f32_e32 v10, v10
	v_mac_f32_e32 v5, 0xcf800000, v10
	v_cvt_u32_f32_e32 v10, v10
	v_cvt_u32_f32_e32 v5, v5
	v_readfirstlane_b32 s50, v10
	v_readfirstlane_b32 s4, v5
	s_mul_i32 s5, s43, s50
	s_mul_hi_u32 s52, s43, s4
	s_mul_i32 s51, s49, s4
	s_add_i32 s5, s52, s5
	s_add_i32 s5, s5, s51
	s_mul_i32 s53, s43, s4
	s_mul_i32 s52, s4, s5
	s_mul_hi_u32 s54, s4, s53
	s_mul_hi_u32 s51, s4, s5
	s_add_u32 s52, s54, s52
	s_addc_u32 s51, 0, s51
	s_mul_hi_u32 s55, s50, s53
	s_mul_i32 s53, s50, s53
	s_add_u32 s52, s52, s53
	s_mul_hi_u32 s54, s50, s5
	s_addc_u32 s51, s51, s55
	s_addc_u32 s52, s54, 0
	s_mul_i32 s5, s50, s5
	s_add_u32 s5, s51, s5
	s_addc_u32 s51, 0, s52
	s_add_u32 s52, s4, s5
	s_cselect_b64 s[4:5], -1, 0
	s_cmp_lg_u64 s[4:5], 0
	s_addc_u32 s50, s50, s51
	s_mul_i32 s4, s43, s50
	s_mul_hi_u32 s5, s43, s52
	s_add_i32 s4, s5, s4
	s_mul_i32 s49, s49, s52
	s_add_i32 s4, s4, s49
	s_mul_i32 s43, s43, s52
	s_mul_hi_u32 s49, s50, s43
	s_mul_i32 s51, s50, s43
	s_mul_i32 s54, s52, s4
	s_mul_hi_u32 s43, s52, s43
	s_mul_hi_u32 s53, s52, s4
	s_add_u32 s43, s43, s54
	s_addc_u32 s53, 0, s53
	s_add_u32 s43, s43, s51
	s_mul_hi_u32 s5, s50, s4
	s_addc_u32 s43, s53, s49
	s_addc_u32 s5, s5, 0
	s_mul_i32 s4, s50, s4
	s_add_u32 s4, s43, s4
	s_addc_u32 s43, 0, s5
	s_add_u32 s49, s52, s4
	s_cselect_b64 s[4:5], -1, 0
	v_ashrrev_i32_e32 v5, 31, v9
	s_cmp_lg_u64 s[4:5], 0
	v_add_co_u32_e32 v10, vcc, v8, v5
	s_addc_u32 s43, s50, s43
	v_xor_b32_e32 v16, v10, v5
	v_mad_u64_u32 v[10:11], s[4:5], v16, s43, 0
	v_mul_hi_u32 v15, v16, s49
	v_addc_co_u32_e32 v14, vcc, v9, v5, vcc
	v_xor_b32_e32 v17, v14, v5
	v_add_co_u32_e32 v18, vcc, v15, v10
	v_addc_co_u32_e32 v19, vcc, 0, v11, vcc
	v_mad_u64_u32 v[10:11], s[4:5], v17, s49, 0
	v_mad_u64_u32 v[14:15], s[4:5], v17, s43, 0
	v_add_co_u32_e32 v10, vcc, v18, v10
	v_addc_co_u32_e32 v10, vcc, v19, v11, vcc
	v_addc_co_u32_e32 v11, vcc, 0, v15, vcc
	v_add_co_u32_e32 v14, vcc, v10, v14
	v_addc_co_u32_e32 v15, vcc, 0, v11, vcc
	v_mul_lo_u32 v18, s45, v14
	v_mul_lo_u32 v19, s44, v15
	v_mad_u64_u32 v[10:11], s[4:5], s44, v14, 0
	v_xor_b32_e32 v5, s42, v5
	v_add3_u32 v11, v11, v19, v18
	v_sub_u32_e32 v18, v17, v11
	v_mov_b32_e32 v19, s45
	v_sub_co_u32_e32 v10, vcc, v16, v10
	v_subb_co_u32_e64 v16, s[4:5], v18, v19, vcc
	v_subrev_co_u32_e64 v18, s[4:5], s44, v10
	v_subbrev_co_u32_e64 v16, s[4:5], 0, v16, s[4:5]
	v_cmp_le_u32_e64 s[4:5], s45, v16
	v_cndmask_b32_e64 v19, 0, -1, s[4:5]
	v_cmp_le_u32_e64 s[4:5], s44, v18
	v_cndmask_b32_e64 v18, 0, -1, s[4:5]
	v_cmp_eq_u32_e64 s[4:5], s45, v16
	v_cndmask_b32_e64 v16, v19, v18, s[4:5]
	v_add_co_u32_e64 v18, s[4:5], 2, v14
	v_subb_co_u32_e32 v11, vcc, v17, v11, vcc
	v_addc_co_u32_e64 v19, s[4:5], 0, v15, s[4:5]
	v_cmp_le_u32_e32 vcc, s45, v11
	v_add_co_u32_e64 v20, s[4:5], 1, v14
	v_cndmask_b32_e64 v17, 0, -1, vcc
	v_cmp_le_u32_e32 vcc, s44, v10
	v_addc_co_u32_e64 v21, s[4:5], 0, v15, s[4:5]
	v_cndmask_b32_e64 v10, 0, -1, vcc
	v_cmp_eq_u32_e32 vcc, s45, v11
	v_cmp_ne_u32_e64 s[4:5], 0, v16
	v_cndmask_b32_e32 v10, v17, v10, vcc
	v_cndmask_b32_e64 v16, v21, v19, s[4:5]
	v_cmp_ne_u32_e32 vcc, 0, v10
	v_cndmask_b32_e64 v11, v20, v18, s[4:5]
	v_cndmask_b32_e32 v10, v15, v16, vcc
	v_cndmask_b32_e32 v11, v14, v11, vcc
	v_xor_b32_e32 v14, v10, v5
	v_xor_b32_e32 v10, v11, v5
	v_sub_co_u32_e32 v10, vcc, v10, v5
	v_subb_co_u32_e32 v11, vcc, v14, v5, vcc
.LBB44_12:                              ;   in Loop: Header=BB44_10 Depth=2
	s_andn2_saveexec_b64 s[4:5], s[40:41]
	s_cbranch_execz .LBB44_14
; %bb.13:                               ;   in Loop: Header=BB44_10 Depth=2
	v_cvt_f32_u32_e32 v5, s38
	s_sub_i32 s40, 0, s38
	v_rcp_iflag_f32_e32 v5, v5
	v_mul_f32_e32 v5, 0x4f7ffffe, v5
	v_cvt_u32_f32_e32 v5, v5
	v_mul_lo_u32 v10, s40, v5
	v_mul_hi_u32 v10, v5, v10
	v_add_u32_e32 v5, v5, v10
	v_mul_hi_u32 v5, v8, v5
	v_mul_lo_u32 v10, v5, s38
	v_add_u32_e32 v11, 1, v5
	v_sub_u32_e32 v10, v8, v10
	v_subrev_u32_e32 v14, s38, v10
	v_cmp_le_u32_e32 vcc, s38, v10
	v_cndmask_b32_e32 v10, v10, v14, vcc
	v_cndmask_b32_e32 v5, v5, v11, vcc
	v_add_u32_e32 v11, 1, v5
	v_cmp_le_u32_e32 vcc, s38, v10
	v_cndmask_b32_e32 v10, v5, v11, vcc
	v_mov_b32_e32 v11, v4
.LBB44_14:                              ;   in Loop: Header=BB44_10 Depth=2
	s_or_b64 exec, exec, s[4:5]
	v_mul_lo_u32 v5, v11, s38
	v_mul_lo_u32 v16, v10, s39
	v_mad_u64_u32 v[14:15], s[4:5], v10, s38, 0
	s_load_dwordx2 s[4:5], s[36:37], 0xc8
	s_add_i32 s48, s48, -1
	v_add3_u32 v5, v15, v16, v5
	v_sub_co_u32_e32 v8, vcc, v8, v14
	v_subb_co_u32_e32 v5, vcc, v9, v5, vcc
	s_waitcnt lgkmcnt(0)
	v_mul_lo_u32 v5, s4, v5
	v_mul_lo_u32 v9, s5, v8
	v_mad_u64_u32 v[6:7], s[4:5], s4, v8, v[6:7]
	s_add_u32 s36, s36, -8
	s_addc_u32 s37, s37, -1
	s_cmp_gt_u32 s48, 2
	v_add3_u32 v7, v9, v7, v5
	s_cbranch_scc0 .LBB44_16
; %bb.15:                               ;   in Loop: Header=BB44_10 Depth=2
	v_mov_b32_e32 v8, v10
	v_mov_b32_e32 v9, v11
	s_branch .LBB44_10
.LBB44_16:                              ;   in Loop: Header=BB44_9 Depth=1
	v_mul_lo_u32 v5, s27, v10
	v_mul_lo_u32 v11, s26, v11
	v_mad_u64_u32 v[8:9], s[4:5], s26, v10, 0
	v_add3_u32 v9, v9, v11, v5
	v_lshlrev_b64 v[8:9], 3, v[8:9]
	v_mov_b32_e32 v5, s29
	v_add_co_u32_e32 v8, vcc, s28, v8
	v_addc_co_u32_e32 v9, vcc, v5, v9, vcc
	v_lshlrev_b64 v[5:6], 3, v[6:7]
	v_add_co_u32_e32 v5, vcc, v8, v5
	v_addc_co_u32_e32 v6, vcc, v9, v6, vcc
	global_load_dwordx2 v[5:6], v[5:6], off
	s_waitcnt vmcnt(0)
	v_cmp_le_i64_e32 vcc, s[10:11], v[5:6]
	v_cmp_ge_i64_e64 s[4:5], s[12:13], v[5:6]
	s_and_b64 s[4:5], vcc, s[4:5]
	s_and_saveexec_b64 s[36:37], s[4:5]
	s_cbranch_execz .LBB44_8
; %bb.17:                               ;   in Loop: Header=BB44_9 Depth=1
	v_mov_b32_e32 v7, s11
	v_subrev_co_u32_e32 v5, vcc, s10, v5
	v_subb_co_u32_e32 v6, vcc, v6, v7, vcc
	v_mul_lo_u32 v8, v6, s8
	v_mul_lo_u32 v9, v5, s9
	v_mad_u64_u32 v[6:7], s[4:5], v5, s8, 0
	v_add3_u32 v7, v7, v9, v8
	v_or_b32_e32 v5, s46, v7
	v_cmp_ne_u64_e32 vcc, 0, v[4:5]
                                        ; implicit-def: $vgpr8_vgpr9
	s_and_saveexec_b64 s[4:5], vcc
	s_xor_b64 s[38:39], exec, s[4:5]
	s_cbranch_execz .LBB44_19
; %bb.18:                               ;   in Loop: Header=BB44_9 Depth=1
	s_ashr_i32 s40, s46, 31
	s_add_u32 s4, s33, s40
	s_mov_b32 s41, s40
	s_addc_u32 s5, s46, s40
	s_xor_b64 s[42:43], s[4:5], s[40:41]
	v_cvt_f32_u32_e32 v5, s42
	v_cvt_f32_u32_e32 v8, s43
	s_sub_u32 s41, 0, s42
	s_subb_u32 s44, 0, s43
	v_ashrrev_i32_e32 v9, 31, v7
	v_mac_f32_e32 v5, 0x4f800000, v8
	v_rcp_f32_e32 v5, v5
	v_mul_f32_e32 v5, 0x5f7ffffc, v5
	v_mul_f32_e32 v8, 0x2f800000, v5
	v_trunc_f32_e32 v8, v8
	v_mac_f32_e32 v5, 0xcf800000, v8
	v_cvt_u32_f32_e32 v8, v8
	v_cvt_u32_f32_e32 v5, v5
	v_readfirstlane_b32 s45, v8
	v_readfirstlane_b32 s4, v5
	s_mul_i32 s5, s41, s45
	s_mul_hi_u32 s49, s41, s4
	s_mul_i32 s48, s44, s4
	s_add_i32 s5, s49, s5
	s_add_i32 s5, s5, s48
	s_mul_i32 s50, s41, s4
	s_mul_i32 s49, s4, s5
	s_mul_hi_u32 s51, s4, s50
	s_mul_hi_u32 s48, s4, s5
	s_add_u32 s49, s51, s49
	s_addc_u32 s48, 0, s48
	s_mul_hi_u32 s52, s45, s50
	s_mul_i32 s50, s45, s50
	s_add_u32 s49, s49, s50
	s_mul_hi_u32 s51, s45, s5
	s_addc_u32 s48, s48, s52
	s_addc_u32 s49, s51, 0
	s_mul_i32 s5, s45, s5
	s_add_u32 s5, s48, s5
	s_addc_u32 s48, 0, s49
	s_add_u32 s49, s4, s5
	s_cselect_b64 s[4:5], -1, 0
	s_cmp_lg_u64 s[4:5], 0
	s_addc_u32 s45, s45, s48
	s_mul_i32 s4, s41, s45
	s_mul_hi_u32 s5, s41, s49
	s_add_i32 s4, s5, s4
	s_mul_i32 s44, s44, s49
	s_add_i32 s4, s4, s44
	s_mul_i32 s41, s41, s49
	s_mul_hi_u32 s44, s45, s41
	s_mul_i32 s48, s45, s41
	s_mul_i32 s51, s49, s4
	s_mul_hi_u32 s41, s49, s41
	s_mul_hi_u32 s50, s49, s4
	s_add_u32 s41, s41, s51
	s_addc_u32 s50, 0, s50
	s_add_u32 s41, s41, s48
	s_mul_hi_u32 s5, s45, s4
	s_addc_u32 s41, s50, s44
	s_addc_u32 s5, s5, 0
	s_mul_i32 s4, s45, s4
	s_add_u32 s4, s41, s4
	s_addc_u32 s41, 0, s5
	s_add_u32 s44, s49, s4
	s_cselect_b64 s[4:5], -1, 0
	s_cmp_lg_u64 s[4:5], 0
	v_add_co_u32_e32 v5, vcc, v6, v9
	s_addc_u32 s41, s45, s41
	v_xor_b32_e32 v10, v5, v9
	v_mad_u64_u32 v[5:6], s[4:5], v10, s41, 0
	v_mul_hi_u32 v8, v10, s44
	v_addc_co_u32_e32 v7, vcc, v7, v9, vcc
	v_xor_b32_e32 v11, v7, v9
	v_add_co_u32_e32 v14, vcc, v8, v5
	v_addc_co_u32_e32 v15, vcc, 0, v6, vcc
	v_mad_u64_u32 v[5:6], s[4:5], v11, s44, 0
	v_mad_u64_u32 v[7:8], s[4:5], v11, s41, 0
	v_add_co_u32_e32 v5, vcc, v14, v5
	v_addc_co_u32_e32 v5, vcc, v15, v6, vcc
	v_addc_co_u32_e32 v6, vcc, 0, v8, vcc
	v_add_co_u32_e32 v7, vcc, v5, v7
	v_addc_co_u32_e32 v5, vcc, 0, v6, vcc
	v_mul_lo_u32 v8, s43, v7
	v_mul_lo_u32 v14, s42, v5
	v_mad_u64_u32 v[5:6], s[4:5], s42, v7, 0
	v_add3_u32 v6, v6, v14, v8
	v_sub_u32_e32 v8, v11, v6
	v_mov_b32_e32 v14, s43
	v_sub_co_u32_e32 v5, vcc, v10, v5
	v_subb_co_u32_e64 v8, s[4:5], v8, v14, vcc
	v_subrev_co_u32_e64 v10, s[4:5], s42, v5
	v_subbrev_co_u32_e64 v8, s[4:5], 0, v8, s[4:5]
	v_cmp_le_u32_e64 s[4:5], s43, v8
	v_subb_co_u32_e32 v6, vcc, v11, v6, vcc
	v_cndmask_b32_e64 v14, 0, -1, s[4:5]
	v_cmp_le_u32_e64 s[4:5], s42, v10
	v_cmp_le_u32_e32 vcc, s43, v6
	v_cndmask_b32_e64 v10, 0, -1, s[4:5]
	v_cmp_eq_u32_e64 s[4:5], s43, v8
	v_cndmask_b32_e64 v11, 0, -1, vcc
	v_cmp_le_u32_e32 vcc, s42, v5
	v_cndmask_b32_e64 v8, v14, v10, s[4:5]
	v_cndmask_b32_e64 v5, 0, -1, vcc
	v_cmp_eq_u32_e32 vcc, s43, v6
	v_add_co_u32_e64 v10, s[4:5], 2, v7
	v_add_co_u32_e64 v14, s[4:5], 1, v7
	v_cndmask_b32_e32 v5, v11, v5, vcc
	v_cmp_ne_u32_e32 vcc, 0, v8
	v_cndmask_b32_e32 v6, v14, v10, vcc
	v_cmp_ne_u32_e32 vcc, 0, v5
	v_cndmask_b32_e32 v5, v7, v6, vcc
	v_xor_b32_e32 v6, s40, v9
	v_xor_b32_e32 v5, v5, v6
	v_sub_co_u32_e32 v8, vcc, v5, v6
                                        ; implicit-def: $vgpr6_vgpr7
.LBB44_19:                              ;   in Loop: Header=BB44_9 Depth=1
	s_andn2_saveexec_b64 s[4:5], s[38:39]
	s_cbranch_execz .LBB44_21
; %bb.20:                               ;   in Loop: Header=BB44_9 Depth=1
	v_cvt_f32_u32_e32 v5, s33
	s_sub_i32 s38, 0, s33
	v_rcp_iflag_f32_e32 v5, v5
	v_mul_f32_e32 v5, 0x4f7ffffe, v5
	v_cvt_u32_f32_e32 v5, v5
	v_mul_lo_u32 v7, s38, v5
	v_mul_hi_u32 v7, v5, v7
	v_add_u32_e32 v5, v5, v7
	v_mul_hi_u32 v5, v6, v5
	v_mul_lo_u32 v7, v5, s33
	v_add_u32_e32 v8, 1, v5
	v_sub_u32_e32 v6, v6, v7
	v_subrev_u32_e32 v7, s33, v6
	v_cmp_le_u32_e32 vcc, s33, v6
	v_cndmask_b32_e32 v6, v6, v7, vcc
	v_cndmask_b32_e32 v5, v5, v8, vcc
	v_add_u32_e32 v7, 1, v5
	v_cmp_le_u32_e32 vcc, s33, v6
	v_cndmask_b32_e32 v8, v5, v7, vcc
.LBB44_21:                              ;   in Loop: Header=BB44_9 Depth=1
	s_or_b64 exec, exec, s[4:5]
	v_mul_lo_u32 v7, v3, s24
	v_mul_lo_u32 v9, v2, s25
	v_mad_u64_u32 v[5:6], s[4:5], v2, s24, 0
	s_mov_b64 s[4:5], 0
	v_add3_u32 v6, v6, v9, v7
	v_lshlrev_b64 v[5:6], 3, v[5:6]
	v_mov_b32_e32 v7, s23
	v_add_co_u32_e32 v5, vcc, s22, v5
	v_addc_co_u32_e32 v6, vcc, v7, v6, vcc
	global_load_dwordx2 v[5:6], v[5:6], off
	v_ashrrev_i32_e32 v9, 31, v8
	v_cmp_eq_u64_e32 vcc, s[8:9], v[8:9]
	v_subbrev_co_u32_e32 v7, vcc, 0, v8, vcc
	v_lshl_add_u32 v9, v7, 3, 0
	ds_read_b64 v[7:8], v9
.LBB44_22:                              ;   Parent Loop BB44_9 Depth=1
                                        ; =>  This Inner Loop Header: Depth=2
	s_waitcnt vmcnt(0) lgkmcnt(0)
	v_add_f64 v[10:11], v[7:8], v[5:6]
	ds_cmpst_rtn_b64 v[10:11], v9, v[7:8], v[10:11]
	s_waitcnt lgkmcnt(0)
	v_cmp_eq_u64_e32 vcc, v[10:11], v[7:8]
	v_mov_b32_e32 v7, v10
	s_or_b64 s[4:5], vcc, s[4:5]
	v_mov_b32_e32 v8, v11
	s_andn2_b64 exec, exec, s[4:5]
	s_cbranch_execnz .LBB44_22
	s_branch .LBB44_8
.LBB44_23:
	s_or_b64 exec, exec, s[6:7]
; %bb.24:
	s_barrier
	s_and_saveexec_b64 s[2:3], s[0:1]
	s_cbranch_execz .LBB44_29
; %bb.25:
	v_and_b32_e32 v10, 0xffff, v12
	s_mov_b64 s[0:1], 0
	v_mov_b32_e32 v11, s17
.LBB44_26:                              ; =>This Loop Header: Depth=1
                                        ;     Child Loop BB44_27 Depth 2
	v_mul_lo_u32 v4, v1, s20
	v_mul_lo_u32 v5, v0, s21
	v_mad_u64_u32 v[2:3], s[2:3], v0, s20, 0
	s_mov_b64 s[2:3], 0
	v_add3_u32 v3, v3, v5, v4
	v_lshlrev_b64 v[2:3], 3, v[2:3]
	v_add_co_u32_e32 v6, vcc, s16, v2
	v_addc_co_u32_e32 v7, vcc, v11, v3, vcc
	global_load_dwordx2 v[4:5], v[6:7], off
	v_lshl_add_u32 v2, v0, 3, 0
	ds_read_b64 v[8:9], v2
.LBB44_27:                              ;   Parent Loop BB44_26 Depth=1
                                        ; =>  This Inner Loop Header: Depth=2
	s_waitcnt vmcnt(0) lgkmcnt(0)
	v_add_f64 v[2:3], v[4:5], v[8:9]
	global_atomic_cmpswap_x2 v[2:3], v[6:7], v[2:5], off glc
	s_waitcnt vmcnt(0)
	v_cmp_eq_u64_e32 vcc, v[2:3], v[4:5]
	v_mov_b32_e32 v5, v3
	s_or_b64 s[2:3], vcc, s[2:3]
	v_mov_b32_e32 v4, v2
	s_andn2_b64 exec, exec, s[2:3]
	s_cbranch_execnz .LBB44_27
; %bb.28:                               ;   in Loop: Header=BB44_26 Depth=1
	s_or_b64 exec, exec, s[2:3]
	v_add_co_u32_e32 v0, vcc, v0, v10
	v_addc_co_u32_e32 v1, vcc, 0, v1, vcc
	v_cmp_le_i64_e32 vcc, s[18:19], v[0:1]
	s_or_b64 s[0:1], vcc, s[0:1]
	s_andn2_b64 exec, exec, s[0:1]
	s_cbranch_execnz .LBB44_26
.LBB44_29:
	s_endpgm
	.section	.rodata,"a",@progbits
	.p2align	6, 0x0
	.amdhsa_kernel _ZN2at4cuda17kernelHistogram1DIdllLi1ELi2ELin1ELNS0_23CUDAHistogramMemoryTypeE0EZNS0_21CUDA_tensor_histogramIdlLb1EEEbNS_6TensorES4_S4_lNS_14AccumulateTypeIT0_Lb1EE4typeES8_NS0_13TensorArgTypeES9_S9_EUllE_EEvNS0_6detail10TensorInfoIT_T1_EESF_NSC_IKS6_SE_EElS8_S8_SE_T6_
		.amdhsa_group_segment_fixed_size 0
		.amdhsa_private_segment_fixed_size 0
		.amdhsa_kernarg_size 1952
		.amdhsa_user_sgpr_count 6
		.amdhsa_user_sgpr_private_segment_buffer 1
		.amdhsa_user_sgpr_dispatch_ptr 0
		.amdhsa_user_sgpr_queue_ptr 0
		.amdhsa_user_sgpr_kernarg_segment_ptr 1
		.amdhsa_user_sgpr_dispatch_id 0
		.amdhsa_user_sgpr_flat_scratch_init 0
		.amdhsa_user_sgpr_private_segment_size 0
		.amdhsa_uses_dynamic_stack 0
		.amdhsa_system_sgpr_private_segment_wavefront_offset 0
		.amdhsa_system_sgpr_workgroup_id_x 1
		.amdhsa_system_sgpr_workgroup_id_y 0
		.amdhsa_system_sgpr_workgroup_id_z 0
		.amdhsa_system_sgpr_workgroup_info 0
		.amdhsa_system_vgpr_workitem_id 0
		.amdhsa_next_free_vgpr 22
		.amdhsa_next_free_sgpr 56
		.amdhsa_reserve_vcc 1
		.amdhsa_reserve_flat_scratch 0
		.amdhsa_float_round_mode_32 0
		.amdhsa_float_round_mode_16_64 0
		.amdhsa_float_denorm_mode_32 3
		.amdhsa_float_denorm_mode_16_64 3
		.amdhsa_dx10_clamp 1
		.amdhsa_ieee_mode 1
		.amdhsa_fp16_overflow 0
		.amdhsa_exception_fp_ieee_invalid_op 0
		.amdhsa_exception_fp_denorm_src 0
		.amdhsa_exception_fp_ieee_div_zero 0
		.amdhsa_exception_fp_ieee_overflow 0
		.amdhsa_exception_fp_ieee_underflow 0
		.amdhsa_exception_fp_ieee_inexact 0
		.amdhsa_exception_int_div_zero 0
	.end_amdhsa_kernel
	.section	.text._ZN2at4cuda17kernelHistogram1DIdllLi1ELi2ELin1ELNS0_23CUDAHistogramMemoryTypeE0EZNS0_21CUDA_tensor_histogramIdlLb1EEEbNS_6TensorES4_S4_lNS_14AccumulateTypeIT0_Lb1EE4typeES8_NS0_13TensorArgTypeES9_S9_EUllE_EEvNS0_6detail10TensorInfoIT_T1_EESF_NSC_IKS6_SE_EElS8_S8_SE_T6_,"axG",@progbits,_ZN2at4cuda17kernelHistogram1DIdllLi1ELi2ELin1ELNS0_23CUDAHistogramMemoryTypeE0EZNS0_21CUDA_tensor_histogramIdlLb1EEEbNS_6TensorES4_S4_lNS_14AccumulateTypeIT0_Lb1EE4typeES8_NS0_13TensorArgTypeES9_S9_EUllE_EEvNS0_6detail10TensorInfoIT_T1_EESF_NSC_IKS6_SE_EElS8_S8_SE_T6_,comdat
.Lfunc_end44:
	.size	_ZN2at4cuda17kernelHistogram1DIdllLi1ELi2ELin1ELNS0_23CUDAHistogramMemoryTypeE0EZNS0_21CUDA_tensor_histogramIdlLb1EEEbNS_6TensorES4_S4_lNS_14AccumulateTypeIT0_Lb1EE4typeES8_NS0_13TensorArgTypeES9_S9_EUllE_EEvNS0_6detail10TensorInfoIT_T1_EESF_NSC_IKS6_SE_EElS8_S8_SE_T6_, .Lfunc_end44-_ZN2at4cuda17kernelHistogram1DIdllLi1ELi2ELin1ELNS0_23CUDAHistogramMemoryTypeE0EZNS0_21CUDA_tensor_histogramIdlLb1EEEbNS_6TensorES4_S4_lNS_14AccumulateTypeIT0_Lb1EE4typeES8_NS0_13TensorArgTypeES9_S9_EUllE_EEvNS0_6detail10TensorInfoIT_T1_EESF_NSC_IKS6_SE_EElS8_S8_SE_T6_
                                        ; -- End function
	.set _ZN2at4cuda17kernelHistogram1DIdllLi1ELi2ELin1ELNS0_23CUDAHistogramMemoryTypeE0EZNS0_21CUDA_tensor_histogramIdlLb1EEEbNS_6TensorES4_S4_lNS_14AccumulateTypeIT0_Lb1EE4typeES8_NS0_13TensorArgTypeES9_S9_EUllE_EEvNS0_6detail10TensorInfoIT_T1_EESF_NSC_IKS6_SE_EElS8_S8_SE_T6_.num_vgpr, 22
	.set _ZN2at4cuda17kernelHistogram1DIdllLi1ELi2ELin1ELNS0_23CUDAHistogramMemoryTypeE0EZNS0_21CUDA_tensor_histogramIdlLb1EEEbNS_6TensorES4_S4_lNS_14AccumulateTypeIT0_Lb1EE4typeES8_NS0_13TensorArgTypeES9_S9_EUllE_EEvNS0_6detail10TensorInfoIT_T1_EESF_NSC_IKS6_SE_EElS8_S8_SE_T6_.num_agpr, 0
	.set _ZN2at4cuda17kernelHistogram1DIdllLi1ELi2ELin1ELNS0_23CUDAHistogramMemoryTypeE0EZNS0_21CUDA_tensor_histogramIdlLb1EEEbNS_6TensorES4_S4_lNS_14AccumulateTypeIT0_Lb1EE4typeES8_NS0_13TensorArgTypeES9_S9_EUllE_EEvNS0_6detail10TensorInfoIT_T1_EESF_NSC_IKS6_SE_EElS8_S8_SE_T6_.numbered_sgpr, 56
	.set _ZN2at4cuda17kernelHistogram1DIdllLi1ELi2ELin1ELNS0_23CUDAHistogramMemoryTypeE0EZNS0_21CUDA_tensor_histogramIdlLb1EEEbNS_6TensorES4_S4_lNS_14AccumulateTypeIT0_Lb1EE4typeES8_NS0_13TensorArgTypeES9_S9_EUllE_EEvNS0_6detail10TensorInfoIT_T1_EESF_NSC_IKS6_SE_EElS8_S8_SE_T6_.num_named_barrier, 0
	.set _ZN2at4cuda17kernelHistogram1DIdllLi1ELi2ELin1ELNS0_23CUDAHistogramMemoryTypeE0EZNS0_21CUDA_tensor_histogramIdlLb1EEEbNS_6TensorES4_S4_lNS_14AccumulateTypeIT0_Lb1EE4typeES8_NS0_13TensorArgTypeES9_S9_EUllE_EEvNS0_6detail10TensorInfoIT_T1_EESF_NSC_IKS6_SE_EElS8_S8_SE_T6_.private_seg_size, 0
	.set _ZN2at4cuda17kernelHistogram1DIdllLi1ELi2ELin1ELNS0_23CUDAHistogramMemoryTypeE0EZNS0_21CUDA_tensor_histogramIdlLb1EEEbNS_6TensorES4_S4_lNS_14AccumulateTypeIT0_Lb1EE4typeES8_NS0_13TensorArgTypeES9_S9_EUllE_EEvNS0_6detail10TensorInfoIT_T1_EESF_NSC_IKS6_SE_EElS8_S8_SE_T6_.uses_vcc, 1
	.set _ZN2at4cuda17kernelHistogram1DIdllLi1ELi2ELin1ELNS0_23CUDAHistogramMemoryTypeE0EZNS0_21CUDA_tensor_histogramIdlLb1EEEbNS_6TensorES4_S4_lNS_14AccumulateTypeIT0_Lb1EE4typeES8_NS0_13TensorArgTypeES9_S9_EUllE_EEvNS0_6detail10TensorInfoIT_T1_EESF_NSC_IKS6_SE_EElS8_S8_SE_T6_.uses_flat_scratch, 0
	.set _ZN2at4cuda17kernelHistogram1DIdllLi1ELi2ELin1ELNS0_23CUDAHistogramMemoryTypeE0EZNS0_21CUDA_tensor_histogramIdlLb1EEEbNS_6TensorES4_S4_lNS_14AccumulateTypeIT0_Lb1EE4typeES8_NS0_13TensorArgTypeES9_S9_EUllE_EEvNS0_6detail10TensorInfoIT_T1_EESF_NSC_IKS6_SE_EElS8_S8_SE_T6_.has_dyn_sized_stack, 0
	.set _ZN2at4cuda17kernelHistogram1DIdllLi1ELi2ELin1ELNS0_23CUDAHistogramMemoryTypeE0EZNS0_21CUDA_tensor_histogramIdlLb1EEEbNS_6TensorES4_S4_lNS_14AccumulateTypeIT0_Lb1EE4typeES8_NS0_13TensorArgTypeES9_S9_EUllE_EEvNS0_6detail10TensorInfoIT_T1_EESF_NSC_IKS6_SE_EElS8_S8_SE_T6_.has_recursion, 0
	.set _ZN2at4cuda17kernelHistogram1DIdllLi1ELi2ELin1ELNS0_23CUDAHistogramMemoryTypeE0EZNS0_21CUDA_tensor_histogramIdlLb1EEEbNS_6TensorES4_S4_lNS_14AccumulateTypeIT0_Lb1EE4typeES8_NS0_13TensorArgTypeES9_S9_EUllE_EEvNS0_6detail10TensorInfoIT_T1_EESF_NSC_IKS6_SE_EElS8_S8_SE_T6_.has_indirect_call, 0
	.section	.AMDGPU.csdata,"",@progbits
; Kernel info:
; codeLenInByte = 2492
; TotalNumSgprs: 60
; NumVgprs: 22
; ScratchSize: 0
; MemoryBound: 0
; FloatMode: 240
; IeeeMode: 1
; LDSByteSize: 0 bytes/workgroup (compile time only)
; SGPRBlocks: 7
; VGPRBlocks: 5
; NumSGPRsForWavesPerEU: 60
; NumVGPRsForWavesPerEU: 22
; Occupancy: 10
; WaveLimiterHint : 1
; COMPUTE_PGM_RSRC2:SCRATCH_EN: 0
; COMPUTE_PGM_RSRC2:USER_SGPR: 6
; COMPUTE_PGM_RSRC2:TRAP_HANDLER: 0
; COMPUTE_PGM_RSRC2:TGID_X_EN: 1
; COMPUTE_PGM_RSRC2:TGID_Y_EN: 0
; COMPUTE_PGM_RSRC2:TGID_Z_EN: 0
; COMPUTE_PGM_RSRC2:TIDIG_COMP_CNT: 0
	.section	.text._ZN2at4cuda17kernelHistogram1DIdllLi1ELi2ELin1ELNS0_23CUDAHistogramMemoryTypeE1EZNS0_21CUDA_tensor_histogramIdlLb1EEEbNS_6TensorES4_S4_lNS_14AccumulateTypeIT0_Lb1EE4typeES8_NS0_13TensorArgTypeES9_S9_EUllE_EEvNS0_6detail10TensorInfoIT_T1_EESF_NSC_IKS6_SE_EElS8_S8_SE_T6_,"axG",@progbits,_ZN2at4cuda17kernelHistogram1DIdllLi1ELi2ELin1ELNS0_23CUDAHistogramMemoryTypeE1EZNS0_21CUDA_tensor_histogramIdlLb1EEEbNS_6TensorES4_S4_lNS_14AccumulateTypeIT0_Lb1EE4typeES8_NS0_13TensorArgTypeES9_S9_EUllE_EEvNS0_6detail10TensorInfoIT_T1_EESF_NSC_IKS6_SE_EElS8_S8_SE_T6_,comdat
	.protected	_ZN2at4cuda17kernelHistogram1DIdllLi1ELi2ELin1ELNS0_23CUDAHistogramMemoryTypeE1EZNS0_21CUDA_tensor_histogramIdlLb1EEEbNS_6TensorES4_S4_lNS_14AccumulateTypeIT0_Lb1EE4typeES8_NS0_13TensorArgTypeES9_S9_EUllE_EEvNS0_6detail10TensorInfoIT_T1_EESF_NSC_IKS6_SE_EElS8_S8_SE_T6_ ; -- Begin function _ZN2at4cuda17kernelHistogram1DIdllLi1ELi2ELin1ELNS0_23CUDAHistogramMemoryTypeE1EZNS0_21CUDA_tensor_histogramIdlLb1EEEbNS_6TensorES4_S4_lNS_14AccumulateTypeIT0_Lb1EE4typeES8_NS0_13TensorArgTypeES9_S9_EUllE_EEvNS0_6detail10TensorInfoIT_T1_EESF_NSC_IKS6_SE_EElS8_S8_SE_T6_
	.globl	_ZN2at4cuda17kernelHistogram1DIdllLi1ELi2ELin1ELNS0_23CUDAHistogramMemoryTypeE1EZNS0_21CUDA_tensor_histogramIdlLb1EEEbNS_6TensorES4_S4_lNS_14AccumulateTypeIT0_Lb1EE4typeES8_NS0_13TensorArgTypeES9_S9_EUllE_EEvNS0_6detail10TensorInfoIT_T1_EESF_NSC_IKS6_SE_EElS8_S8_SE_T6_
	.p2align	8
	.type	_ZN2at4cuda17kernelHistogram1DIdllLi1ELi2ELin1ELNS0_23CUDAHistogramMemoryTypeE1EZNS0_21CUDA_tensor_histogramIdlLb1EEEbNS_6TensorES4_S4_lNS_14AccumulateTypeIT0_Lb1EE4typeES8_NS0_13TensorArgTypeES9_S9_EUllE_EEvNS0_6detail10TensorInfoIT_T1_EESF_NSC_IKS6_SE_EElS8_S8_SE_T6_,@function
_ZN2at4cuda17kernelHistogram1DIdllLi1ELi2ELin1ELNS0_23CUDAHistogramMemoryTypeE1EZNS0_21CUDA_tensor_histogramIdlLb1EEEbNS_6TensorES4_S4_lNS_14AccumulateTypeIT0_Lb1EE4typeES8_NS0_13TensorArgTypeES9_S9_EUllE_EEvNS0_6detail10TensorInfoIT_T1_EESF_NSC_IKS6_SE_EElS8_S8_SE_T6_: ; @_ZN2at4cuda17kernelHistogram1DIdllLi1ELi2ELin1ELNS0_23CUDAHistogramMemoryTypeE1EZNS0_21CUDA_tensor_histogramIdlLb1EEEbNS_6TensorES4_S4_lNS_14AccumulateTypeIT0_Lb1EE4typeES8_NS0_13TensorArgTypeES9_S9_EUllE_EEvNS0_6detail10TensorInfoIT_T1_EESF_NSC_IKS6_SE_EElS8_S8_SE_T6_
; %bb.0:
	s_load_dword s2, s[4:5], 0x6ac
	s_load_dwordx8 s[8:15], s[4:5], 0x4e0
	s_add_u32 s0, s4, 0x6a0
	s_addc_u32 s1, s5, 0
	v_mov_b32_e32 v6, 0
	s_waitcnt lgkmcnt(0)
	s_and_b32 s2, s2, 0xffff
	s_mul_i32 s6, s6, s2
	v_add_u32_e32 v4, s6, v0
	v_mov_b32_e32 v5, v6
	v_cmp_gt_i64_e32 vcc, s[14:15], v[4:5]
	s_and_saveexec_b64 s[6:7], vcc
	s_cbranch_execz .LBB45_17
; %bb.1:
	s_load_dwordx2 s[6:7], s[4:5], 0x5d0
	s_load_dword s26, s[4:5], 0x4d8
	s_load_dwordx2 s[16:17], s[4:5], 0x500
	s_load_dword s3, s[0:1], 0x0
	s_add_u32 s27, s4, 0x340
	s_addc_u32 s28, s5, 0
	s_waitcnt lgkmcnt(0)
	s_cmp_gt_i32 s26, 1
	s_cselect_b64 s[0:1], -1, 0
	s_load_dwordx2 s[18:19], s[4:5], 0x0
	s_load_dwordx2 s[20:21], s[4:5], 0xd0
	;; [unrolled: 1-line block ×4, first 2 shown]
	s_sub_u32 s33, s12, s10
	s_subb_u32 s40, s13, s11
	s_mul_i32 s41, s3, s2
	s_mov_b32 s3, 0
	s_add_i32 s2, s26, -1
	s_add_i32 s42, s26, 1
	s_lshl_b64 s[2:3], s[2:3], 3
	s_add_u32 s2, s27, s2
	s_addc_u32 s3, s28, s3
	s_add_u32 s4, s2, 8
	v_cndmask_b32_e64 v0, 0, 1, s[0:1]
	s_addc_u32 s5, s3, 0
	s_mov_b64 s[26:27], 0
	v_cmp_ne_u32_e64 s[0:1], 1, v0
	s_branch .LBB45_3
.LBB45_2:                               ;   in Loop: Header=BB45_3 Depth=1
	s_or_b64 exec, exec, s[28:29]
	v_add_co_u32_e32 v4, vcc, s41, v4
	v_addc_co_u32_e32 v5, vcc, 0, v5, vcc
	v_cmp_le_i64_e32 vcc, s[14:15], v[4:5]
	s_or_b64 s[26:27], vcc, s[26:27]
	s_andn2_b64 exec, exec, s[26:27]
	s_cbranch_execz .LBB45_17
.LBB45_3:                               ; =>This Loop Header: Depth=1
                                        ;     Child Loop BB45_4 Depth 2
                                        ;     Child Loop BB45_16 Depth 2
	v_mov_b32_e32 v0, 0
	v_mov_b32_e32 v2, v4
	;; [unrolled: 1-line block ×4, first 2 shown]
	s_and_b64 vcc, exec, s[0:1]
	s_mov_b64 s[28:29], s[4:5]
	s_mov_b32 s43, s42
	v_mov_b32_e32 v3, v5
	v_mov_b32_e32 v7, v4
	s_cbranch_vccnz .LBB45_10
.LBB45_4:                               ;   Parent Loop BB45_3 Depth=1
                                        ; =>  This Inner Loop Header: Depth=2
	s_load_dwordx2 s[30:31], s[28:29], 0x0
	s_waitcnt lgkmcnt(0)
	v_or_b32_e32 v7, s31, v3
	v_cmp_ne_u64_e32 vcc, 0, v[6:7]
                                        ; implicit-def: $vgpr7_vgpr8
	s_and_saveexec_b64 s[2:3], vcc
	s_xor_b64 s[34:35], exec, s[2:3]
	s_cbranch_execz .LBB45_6
; %bb.5:                                ;   in Loop: Header=BB45_4 Depth=2
	s_ashr_i32 s36, s31, 31
	s_add_u32 s2, s30, s36
	s_mov_b32 s37, s36
	s_addc_u32 s3, s31, s36
	s_xor_b64 s[38:39], s[2:3], s[36:37]
	v_cvt_f32_u32_e32 v7, s38
	v_cvt_f32_u32_e32 v8, s39
	s_sub_u32 s37, 0, s38
	s_subb_u32 s44, 0, s39
	v_ashrrev_i32_e32 v11, 31, v3
	v_mac_f32_e32 v7, 0x4f800000, v8
	v_rcp_f32_e32 v7, v7
	v_mul_f32_e32 v7, 0x5f7ffffc, v7
	v_mul_f32_e32 v8, 0x2f800000, v7
	v_trunc_f32_e32 v8, v8
	v_mac_f32_e32 v7, 0xcf800000, v8
	v_cvt_u32_f32_e32 v8, v8
	v_cvt_u32_f32_e32 v7, v7
	v_readfirstlane_b32 s45, v8
	v_readfirstlane_b32 s2, v7
	s_mul_i32 s3, s37, s45
	s_mul_hi_u32 s47, s37, s2
	s_mul_i32 s46, s44, s2
	s_add_i32 s3, s47, s3
	s_add_i32 s3, s3, s46
	s_mul_i32 s48, s37, s2
	s_mul_i32 s47, s2, s3
	s_mul_hi_u32 s49, s2, s48
	s_mul_hi_u32 s46, s2, s3
	s_add_u32 s47, s49, s47
	s_addc_u32 s46, 0, s46
	s_mul_hi_u32 s50, s45, s48
	s_mul_i32 s48, s45, s48
	s_add_u32 s47, s47, s48
	s_mul_hi_u32 s49, s45, s3
	s_addc_u32 s46, s46, s50
	s_addc_u32 s47, s49, 0
	s_mul_i32 s3, s45, s3
	s_add_u32 s3, s46, s3
	s_addc_u32 s46, 0, s47
	s_add_u32 s47, s2, s3
	s_cselect_b64 s[2:3], -1, 0
	s_cmp_lg_u64 s[2:3], 0
	s_addc_u32 s45, s45, s46
	s_mul_i32 s2, s37, s45
	s_mul_hi_u32 s3, s37, s47
	s_add_i32 s2, s3, s2
	s_mul_i32 s44, s44, s47
	s_add_i32 s2, s2, s44
	s_mul_i32 s37, s37, s47
	s_mul_hi_u32 s44, s45, s37
	s_mul_i32 s46, s45, s37
	s_mul_i32 s49, s47, s2
	s_mul_hi_u32 s37, s47, s37
	s_mul_hi_u32 s48, s47, s2
	s_add_u32 s37, s37, s49
	s_addc_u32 s48, 0, s48
	s_add_u32 s37, s37, s46
	s_mul_hi_u32 s3, s45, s2
	s_addc_u32 s37, s48, s44
	s_addc_u32 s3, s3, 0
	s_mul_i32 s2, s45, s2
	s_add_u32 s2, s37, s2
	s_addc_u32 s37, 0, s3
	s_add_u32 s44, s47, s2
	s_cselect_b64 s[2:3], -1, 0
	s_cmp_lg_u64 s[2:3], 0
	v_add_co_u32_e32 v7, vcc, v2, v11
	s_addc_u32 s37, s45, s37
	v_xor_b32_e32 v12, v7, v11
	v_mad_u64_u32 v[7:8], s[2:3], v12, s37, 0
	v_mul_hi_u32 v10, v12, s44
	v_addc_co_u32_e32 v9, vcc, v3, v11, vcc
	v_xor_b32_e32 v13, v9, v11
	v_add_co_u32_e32 v14, vcc, v10, v7
	v_addc_co_u32_e32 v15, vcc, 0, v8, vcc
	v_mad_u64_u32 v[7:8], s[2:3], v13, s44, 0
	v_mad_u64_u32 v[9:10], s[2:3], v13, s37, 0
	v_add_co_u32_e32 v7, vcc, v14, v7
	v_addc_co_u32_e32 v7, vcc, v15, v8, vcc
	v_addc_co_u32_e32 v8, vcc, 0, v10, vcc
	v_add_co_u32_e32 v9, vcc, v7, v9
	v_addc_co_u32_e32 v10, vcc, 0, v8, vcc
	v_mul_lo_u32 v14, s39, v9
	v_mul_lo_u32 v15, s38, v10
	v_mad_u64_u32 v[7:8], s[2:3], s38, v9, 0
	v_add3_u32 v8, v8, v15, v14
	v_sub_u32_e32 v14, v13, v8
	v_mov_b32_e32 v15, s39
	v_sub_co_u32_e32 v7, vcc, v12, v7
	v_subb_co_u32_e64 v12, s[2:3], v14, v15, vcc
	v_subrev_co_u32_e64 v14, s[2:3], s38, v7
	v_subbrev_co_u32_e64 v12, s[2:3], 0, v12, s[2:3]
	v_cmp_le_u32_e64 s[2:3], s39, v12
	v_cndmask_b32_e64 v15, 0, -1, s[2:3]
	v_cmp_le_u32_e64 s[2:3], s38, v14
	v_cndmask_b32_e64 v14, 0, -1, s[2:3]
	v_cmp_eq_u32_e64 s[2:3], s39, v12
	v_cndmask_b32_e64 v12, v15, v14, s[2:3]
	v_add_co_u32_e64 v14, s[2:3], 2, v9
	v_subb_co_u32_e32 v8, vcc, v13, v8, vcc
	v_addc_co_u32_e64 v15, s[2:3], 0, v10, s[2:3]
	v_cmp_le_u32_e32 vcc, s39, v8
	v_add_co_u32_e64 v16, s[2:3], 1, v9
	v_cndmask_b32_e64 v13, 0, -1, vcc
	v_cmp_le_u32_e32 vcc, s38, v7
	v_addc_co_u32_e64 v17, s[2:3], 0, v10, s[2:3]
	v_cndmask_b32_e64 v7, 0, -1, vcc
	v_cmp_eq_u32_e32 vcc, s39, v8
	v_cmp_ne_u32_e64 s[2:3], 0, v12
	v_cndmask_b32_e32 v7, v13, v7, vcc
	v_cndmask_b32_e64 v12, v17, v15, s[2:3]
	v_cmp_ne_u32_e32 vcc, 0, v7
	v_cndmask_b32_e64 v8, v16, v14, s[2:3]
	v_cndmask_b32_e32 v7, v10, v12, vcc
	v_cndmask_b32_e32 v8, v9, v8, vcc
	v_xor_b32_e32 v9, s36, v11
	v_xor_b32_e32 v10, v7, v9
	;; [unrolled: 1-line block ×3, first 2 shown]
	v_sub_co_u32_e32 v7, vcc, v7, v9
	v_subb_co_u32_e32 v8, vcc, v10, v9, vcc
.LBB45_6:                               ;   in Loop: Header=BB45_4 Depth=2
	s_andn2_saveexec_b64 s[2:3], s[34:35]
	s_cbranch_execz .LBB45_8
; %bb.7:                                ;   in Loop: Header=BB45_4 Depth=2
	v_cvt_f32_u32_e32 v7, s30
	s_sub_i32 s34, 0, s30
	v_rcp_iflag_f32_e32 v7, v7
	v_mul_f32_e32 v7, 0x4f7ffffe, v7
	v_cvt_u32_f32_e32 v7, v7
	v_mul_lo_u32 v8, s34, v7
	v_mul_hi_u32 v8, v7, v8
	v_add_u32_e32 v7, v7, v8
	v_mul_hi_u32 v7, v2, v7
	v_mul_lo_u32 v8, v7, s30
	v_add_u32_e32 v9, 1, v7
	v_sub_u32_e32 v8, v2, v8
	v_subrev_u32_e32 v10, s30, v8
	v_cmp_le_u32_e32 vcc, s30, v8
	v_cndmask_b32_e32 v8, v8, v10, vcc
	v_cndmask_b32_e32 v7, v7, v9, vcc
	v_add_u32_e32 v9, 1, v7
	v_cmp_le_u32_e32 vcc, s30, v8
	v_cndmask_b32_e32 v7, v7, v9, vcc
	v_mov_b32_e32 v8, v6
.LBB45_8:                               ;   in Loop: Header=BB45_4 Depth=2
	s_or_b64 exec, exec, s[2:3]
	v_mul_lo_u32 v11, v8, s30
	v_mul_lo_u32 v12, v7, s31
	v_mad_u64_u32 v[9:10], s[2:3], v7, s30, 0
	s_load_dwordx2 s[2:3], s[28:29], 0xc8
	s_add_i32 s43, s43, -1
	v_add3_u32 v10, v10, v12, v11
	v_sub_co_u32_e32 v2, vcc, v2, v9
	v_subb_co_u32_e32 v3, vcc, v3, v10, vcc
	s_waitcnt lgkmcnt(0)
	v_mul_lo_u32 v3, s2, v3
	v_mul_lo_u32 v9, s3, v2
	v_mad_u64_u32 v[0:1], s[2:3], s2, v2, v[0:1]
	s_add_u32 s28, s28, -8
	s_addc_u32 s29, s29, -1
	s_cmp_gt_u32 s43, 2
	v_add3_u32 v1, v9, v1, v3
	s_cbranch_scc0 .LBB45_10
; %bb.9:                                ;   in Loop: Header=BB45_4 Depth=2
	v_mov_b32_e32 v2, v7
	v_mov_b32_e32 v3, v8
	s_branch .LBB45_4
.LBB45_10:                              ;   in Loop: Header=BB45_3 Depth=1
	s_waitcnt lgkmcnt(0)
	v_mul_lo_u32 v9, s23, v7
	v_mul_lo_u32 v8, s22, v8
	v_mad_u64_u32 v[2:3], s[2:3], s22, v7, 0
	v_mov_b32_e32 v7, s25
	v_lshlrev_b64 v[0:1], 3, v[0:1]
	v_add3_u32 v3, v3, v8, v9
	v_lshlrev_b64 v[2:3], 3, v[2:3]
	v_add_co_u32_e32 v2, vcc, s24, v2
	v_addc_co_u32_e32 v3, vcc, v7, v3, vcc
	v_add_co_u32_e32 v0, vcc, v2, v0
	v_addc_co_u32_e32 v1, vcc, v3, v1, vcc
	global_load_dwordx2 v[0:1], v[0:1], off
	s_waitcnt vmcnt(0)
	v_cmp_le_i64_e32 vcc, s[10:11], v[0:1]
	v_cmp_ge_i64_e64 s[2:3], s[12:13], v[0:1]
	s_and_b64 s[2:3], vcc, s[2:3]
	s_and_saveexec_b64 s[28:29], s[2:3]
	s_cbranch_execz .LBB45_2
; %bb.11:                               ;   in Loop: Header=BB45_3 Depth=1
	v_mov_b32_e32 v2, s11
	v_subrev_co_u32_e32 v0, vcc, s10, v0
	v_subb_co_u32_e32 v1, vcc, v1, v2, vcc
	v_mul_lo_u32 v2, v1, s8
	v_mul_lo_u32 v3, v0, s9
	v_mad_u64_u32 v[0:1], s[2:3], v0, s8, 0
	v_add3_u32 v1, v1, v3, v2
	v_or_b32_e32 v7, s40, v1
	v_cmp_ne_u64_e32 vcc, 0, v[6:7]
                                        ; implicit-def: $vgpr2_vgpr3
	s_and_saveexec_b64 s[2:3], vcc
	s_xor_b64 s[30:31], exec, s[2:3]
	s_cbranch_execz .LBB45_13
; %bb.12:                               ;   in Loop: Header=BB45_3 Depth=1
	s_ashr_i32 s34, s40, 31
	s_add_u32 s2, s33, s34
	s_mov_b32 s35, s34
	s_addc_u32 s3, s40, s34
	s_xor_b64 s[36:37], s[2:3], s[34:35]
	v_cvt_f32_u32_e32 v2, s36
	v_cvt_f32_u32_e32 v3, s37
	s_sub_u32 s35, 0, s36
	s_subb_u32 s38, 0, s37
	v_ashrrev_i32_e32 v7, 31, v1
	v_mac_f32_e32 v2, 0x4f800000, v3
	v_rcp_f32_e32 v2, v2
	v_add_co_u32_e32 v0, vcc, v0, v7
	v_xor_b32_e32 v8, v0, v7
	v_mul_f32_e32 v2, 0x5f7ffffc, v2
	v_mul_f32_e32 v3, 0x2f800000, v2
	v_trunc_f32_e32 v3, v3
	v_mac_f32_e32 v2, 0xcf800000, v3
	v_cvt_u32_f32_e32 v3, v3
	v_cvt_u32_f32_e32 v2, v2
	v_readfirstlane_b32 s39, v3
	v_readfirstlane_b32 s2, v2
	s_mul_i32 s3, s35, s39
	s_mul_hi_u32 s44, s35, s2
	s_mul_i32 s43, s38, s2
	s_add_i32 s3, s44, s3
	s_add_i32 s3, s3, s43
	s_mul_i32 s45, s35, s2
	s_mul_i32 s44, s2, s3
	s_mul_hi_u32 s46, s2, s45
	s_mul_hi_u32 s43, s2, s3
	s_add_u32 s44, s46, s44
	s_addc_u32 s43, 0, s43
	s_mul_hi_u32 s47, s39, s45
	s_mul_i32 s45, s39, s45
	s_add_u32 s44, s44, s45
	s_mul_hi_u32 s46, s39, s3
	s_addc_u32 s43, s43, s47
	s_addc_u32 s44, s46, 0
	s_mul_i32 s3, s39, s3
	s_add_u32 s3, s43, s3
	s_addc_u32 s43, 0, s44
	s_add_u32 s44, s2, s3
	s_cselect_b64 s[2:3], -1, 0
	s_cmp_lg_u64 s[2:3], 0
	s_addc_u32 s39, s39, s43
	s_mul_i32 s2, s35, s39
	s_mul_hi_u32 s3, s35, s44
	s_add_i32 s2, s3, s2
	s_mul_i32 s38, s38, s44
	s_add_i32 s2, s2, s38
	s_mul_i32 s35, s35, s44
	s_mul_hi_u32 s38, s39, s35
	s_mul_i32 s43, s39, s35
	s_mul_i32 s46, s44, s2
	s_mul_hi_u32 s35, s44, s35
	s_mul_hi_u32 s45, s44, s2
	s_add_u32 s35, s35, s46
	s_addc_u32 s45, 0, s45
	s_add_u32 s35, s35, s43
	s_mul_hi_u32 s3, s39, s2
	s_addc_u32 s35, s45, s38
	s_addc_u32 s3, s3, 0
	s_mul_i32 s2, s39, s2
	s_add_u32 s2, s35, s2
	s_addc_u32 s35, 0, s3
	s_add_u32 s38, s44, s2
	s_cselect_b64 s[2:3], -1, 0
	s_cmp_lg_u64 s[2:3], 0
	s_addc_u32 s35, s39, s35
	v_addc_co_u32_e32 v2, vcc, v1, v7, vcc
	v_mad_u64_u32 v[0:1], s[2:3], v8, s35, 0
	v_mul_hi_u32 v3, v8, s38
	v_xor_b32_e32 v9, v2, v7
	v_add_co_u32_e32 v10, vcc, v3, v0
	v_addc_co_u32_e32 v11, vcc, 0, v1, vcc
	v_mad_u64_u32 v[0:1], s[2:3], v9, s38, 0
	v_mad_u64_u32 v[2:3], s[2:3], v9, s35, 0
	v_add_co_u32_e32 v0, vcc, v10, v0
	v_addc_co_u32_e32 v0, vcc, v11, v1, vcc
	v_addc_co_u32_e32 v1, vcc, 0, v3, vcc
	v_add_co_u32_e32 v2, vcc, v0, v2
	v_addc_co_u32_e32 v0, vcc, 0, v1, vcc
	v_mul_lo_u32 v3, s37, v2
	v_mul_lo_u32 v10, s36, v0
	v_mad_u64_u32 v[0:1], s[2:3], s36, v2, 0
	v_add3_u32 v1, v1, v10, v3
	v_sub_u32_e32 v3, v9, v1
	v_mov_b32_e32 v10, s37
	v_sub_co_u32_e32 v0, vcc, v8, v0
	v_subb_co_u32_e64 v3, s[2:3], v3, v10, vcc
	v_subrev_co_u32_e64 v8, s[2:3], s36, v0
	v_subbrev_co_u32_e64 v3, s[2:3], 0, v3, s[2:3]
	v_cmp_le_u32_e64 s[2:3], s37, v3
	v_subb_co_u32_e32 v1, vcc, v9, v1, vcc
	v_cndmask_b32_e64 v10, 0, -1, s[2:3]
	v_cmp_le_u32_e64 s[2:3], s36, v8
	v_cmp_le_u32_e32 vcc, s37, v1
	v_cndmask_b32_e64 v8, 0, -1, s[2:3]
	v_cmp_eq_u32_e64 s[2:3], s37, v3
	v_cndmask_b32_e64 v9, 0, -1, vcc
	v_cmp_le_u32_e32 vcc, s36, v0
	v_cndmask_b32_e64 v3, v10, v8, s[2:3]
	v_cndmask_b32_e64 v0, 0, -1, vcc
	v_cmp_eq_u32_e32 vcc, s37, v1
	v_add_co_u32_e64 v8, s[2:3], 2, v2
	v_add_co_u32_e64 v10, s[2:3], 1, v2
	v_cndmask_b32_e32 v0, v9, v0, vcc
	v_cmp_ne_u32_e32 vcc, 0, v3
	v_cndmask_b32_e32 v1, v10, v8, vcc
	v_cmp_ne_u32_e32 vcc, 0, v0
	v_cndmask_b32_e32 v0, v2, v1, vcc
	v_xor_b32_e32 v1, s34, v7
	v_xor_b32_e32 v0, v0, v1
	v_sub_co_u32_e32 v2, vcc, v0, v1
                                        ; implicit-def: $vgpr0_vgpr1
.LBB45_13:                              ;   in Loop: Header=BB45_3 Depth=1
	s_andn2_saveexec_b64 s[2:3], s[30:31]
	s_cbranch_execz .LBB45_15
; %bb.14:                               ;   in Loop: Header=BB45_3 Depth=1
	v_cvt_f32_u32_e32 v1, s33
	s_sub_i32 s30, 0, s33
	v_rcp_iflag_f32_e32 v1, v1
	v_mul_f32_e32 v1, 0x4f7ffffe, v1
	v_cvt_u32_f32_e32 v1, v1
	v_mul_lo_u32 v2, s30, v1
	v_mul_hi_u32 v2, v1, v2
	v_add_u32_e32 v1, v1, v2
	v_mul_hi_u32 v1, v0, v1
	v_mul_lo_u32 v2, v1, s33
	v_add_u32_e32 v3, 1, v1
	v_sub_u32_e32 v0, v0, v2
	v_subrev_u32_e32 v2, s33, v0
	v_cmp_le_u32_e32 vcc, s33, v0
	v_cndmask_b32_e32 v0, v0, v2, vcc
	v_cndmask_b32_e32 v1, v1, v3, vcc
	v_add_u32_e32 v2, 1, v1
	v_cmp_le_u32_e32 vcc, s33, v0
	v_cndmask_b32_e32 v2, v1, v2, vcc
.LBB45_15:                              ;   in Loop: Header=BB45_3 Depth=1
	s_or_b64 exec, exec, s[2:3]
	v_ashrrev_i32_e32 v3, 31, v2
	v_cmp_eq_u64_e32 vcc, s[8:9], v[2:3]
	v_mul_lo_u32 v9, v5, s6
	v_cndmask_b32_e64 v0, 0, 1, vcc
	v_sub_co_u32_e32 v0, vcc, v2, v0
	v_subbrev_co_u32_e32 v1, vcc, 0, v3, vcc
	v_mul_lo_u32 v2, v1, s20
	v_mul_lo_u32 v3, v0, s21
	v_mad_u64_u32 v[0:1], s[2:3], v0, s20, 0
	v_mul_lo_u32 v10, v4, s7
	v_mov_b32_e32 v8, s19
	v_add3_u32 v1, v1, v3, v2
	v_mad_u64_u32 v[2:3], s[2:3], v4, s6, 0
	v_lshlrev_b64 v[0:1], 3, v[0:1]
	s_mov_b64 s[2:3], 0
	v_add_co_u32_e32 v7, vcc, s18, v0
	v_add3_u32 v3, v3, v10, v9
	v_addc_co_u32_e32 v8, vcc, v8, v1, vcc
	v_lshlrev_b64 v[0:1], 3, v[2:3]
	v_mov_b32_e32 v2, s17
	v_add_co_u32_e32 v0, vcc, s16, v0
	v_addc_co_u32_e32 v1, vcc, v2, v1, vcc
	global_load_dwordx2 v[9:10], v[0:1], off
	global_load_dwordx2 v[2:3], v[7:8], off
.LBB45_16:                              ;   Parent Loop BB45_3 Depth=1
                                        ; =>  This Inner Loop Header: Depth=2
	s_waitcnt vmcnt(0)
	v_add_f64 v[0:1], v[2:3], v[9:10]
	global_atomic_cmpswap_x2 v[0:1], v[7:8], v[0:3], off glc
	s_waitcnt vmcnt(0)
	v_cmp_eq_u64_e32 vcc, v[0:1], v[2:3]
	v_mov_b32_e32 v3, v1
	s_or_b64 s[2:3], vcc, s[2:3]
	v_mov_b32_e32 v2, v0
	s_andn2_b64 exec, exec, s[2:3]
	s_cbranch_execnz .LBB45_16
	s_branch .LBB45_2
.LBB45_17:
	s_endpgm
	.section	.rodata,"a",@progbits
	.p2align	6, 0x0
	.amdhsa_kernel _ZN2at4cuda17kernelHistogram1DIdllLi1ELi2ELin1ELNS0_23CUDAHistogramMemoryTypeE1EZNS0_21CUDA_tensor_histogramIdlLb1EEEbNS_6TensorES4_S4_lNS_14AccumulateTypeIT0_Lb1EE4typeES8_NS0_13TensorArgTypeES9_S9_EUllE_EEvNS0_6detail10TensorInfoIT_T1_EESF_NSC_IKS6_SE_EElS8_S8_SE_T6_
		.amdhsa_group_segment_fixed_size 0
		.amdhsa_private_segment_fixed_size 0
		.amdhsa_kernarg_size 1952
		.amdhsa_user_sgpr_count 6
		.amdhsa_user_sgpr_private_segment_buffer 1
		.amdhsa_user_sgpr_dispatch_ptr 0
		.amdhsa_user_sgpr_queue_ptr 0
		.amdhsa_user_sgpr_kernarg_segment_ptr 1
		.amdhsa_user_sgpr_dispatch_id 0
		.amdhsa_user_sgpr_flat_scratch_init 0
		.amdhsa_user_sgpr_private_segment_size 0
		.amdhsa_uses_dynamic_stack 0
		.amdhsa_system_sgpr_private_segment_wavefront_offset 0
		.amdhsa_system_sgpr_workgroup_id_x 1
		.amdhsa_system_sgpr_workgroup_id_y 0
		.amdhsa_system_sgpr_workgroup_id_z 0
		.amdhsa_system_sgpr_workgroup_info 0
		.amdhsa_system_vgpr_workitem_id 0
		.amdhsa_next_free_vgpr 18
		.amdhsa_next_free_sgpr 51
		.amdhsa_reserve_vcc 1
		.amdhsa_reserve_flat_scratch 0
		.amdhsa_float_round_mode_32 0
		.amdhsa_float_round_mode_16_64 0
		.amdhsa_float_denorm_mode_32 3
		.amdhsa_float_denorm_mode_16_64 3
		.amdhsa_dx10_clamp 1
		.amdhsa_ieee_mode 1
		.amdhsa_fp16_overflow 0
		.amdhsa_exception_fp_ieee_invalid_op 0
		.amdhsa_exception_fp_denorm_src 0
		.amdhsa_exception_fp_ieee_div_zero 0
		.amdhsa_exception_fp_ieee_overflow 0
		.amdhsa_exception_fp_ieee_underflow 0
		.amdhsa_exception_fp_ieee_inexact 0
		.amdhsa_exception_int_div_zero 0
	.end_amdhsa_kernel
	.section	.text._ZN2at4cuda17kernelHistogram1DIdllLi1ELi2ELin1ELNS0_23CUDAHistogramMemoryTypeE1EZNS0_21CUDA_tensor_histogramIdlLb1EEEbNS_6TensorES4_S4_lNS_14AccumulateTypeIT0_Lb1EE4typeES8_NS0_13TensorArgTypeES9_S9_EUllE_EEvNS0_6detail10TensorInfoIT_T1_EESF_NSC_IKS6_SE_EElS8_S8_SE_T6_,"axG",@progbits,_ZN2at4cuda17kernelHistogram1DIdllLi1ELi2ELin1ELNS0_23CUDAHistogramMemoryTypeE1EZNS0_21CUDA_tensor_histogramIdlLb1EEEbNS_6TensorES4_S4_lNS_14AccumulateTypeIT0_Lb1EE4typeES8_NS0_13TensorArgTypeES9_S9_EUllE_EEvNS0_6detail10TensorInfoIT_T1_EESF_NSC_IKS6_SE_EElS8_S8_SE_T6_,comdat
.Lfunc_end45:
	.size	_ZN2at4cuda17kernelHistogram1DIdllLi1ELi2ELin1ELNS0_23CUDAHistogramMemoryTypeE1EZNS0_21CUDA_tensor_histogramIdlLb1EEEbNS_6TensorES4_S4_lNS_14AccumulateTypeIT0_Lb1EE4typeES8_NS0_13TensorArgTypeES9_S9_EUllE_EEvNS0_6detail10TensorInfoIT_T1_EESF_NSC_IKS6_SE_EElS8_S8_SE_T6_, .Lfunc_end45-_ZN2at4cuda17kernelHistogram1DIdllLi1ELi2ELin1ELNS0_23CUDAHistogramMemoryTypeE1EZNS0_21CUDA_tensor_histogramIdlLb1EEEbNS_6TensorES4_S4_lNS_14AccumulateTypeIT0_Lb1EE4typeES8_NS0_13TensorArgTypeES9_S9_EUllE_EEvNS0_6detail10TensorInfoIT_T1_EESF_NSC_IKS6_SE_EElS8_S8_SE_T6_
                                        ; -- End function
	.set _ZN2at4cuda17kernelHistogram1DIdllLi1ELi2ELin1ELNS0_23CUDAHistogramMemoryTypeE1EZNS0_21CUDA_tensor_histogramIdlLb1EEEbNS_6TensorES4_S4_lNS_14AccumulateTypeIT0_Lb1EE4typeES8_NS0_13TensorArgTypeES9_S9_EUllE_EEvNS0_6detail10TensorInfoIT_T1_EESF_NSC_IKS6_SE_EElS8_S8_SE_T6_.num_vgpr, 18
	.set _ZN2at4cuda17kernelHistogram1DIdllLi1ELi2ELin1ELNS0_23CUDAHistogramMemoryTypeE1EZNS0_21CUDA_tensor_histogramIdlLb1EEEbNS_6TensorES4_S4_lNS_14AccumulateTypeIT0_Lb1EE4typeES8_NS0_13TensorArgTypeES9_S9_EUllE_EEvNS0_6detail10TensorInfoIT_T1_EESF_NSC_IKS6_SE_EElS8_S8_SE_T6_.num_agpr, 0
	.set _ZN2at4cuda17kernelHistogram1DIdllLi1ELi2ELin1ELNS0_23CUDAHistogramMemoryTypeE1EZNS0_21CUDA_tensor_histogramIdlLb1EEEbNS_6TensorES4_S4_lNS_14AccumulateTypeIT0_Lb1EE4typeES8_NS0_13TensorArgTypeES9_S9_EUllE_EEvNS0_6detail10TensorInfoIT_T1_EESF_NSC_IKS6_SE_EElS8_S8_SE_T6_.numbered_sgpr, 51
	.set _ZN2at4cuda17kernelHistogram1DIdllLi1ELi2ELin1ELNS0_23CUDAHistogramMemoryTypeE1EZNS0_21CUDA_tensor_histogramIdlLb1EEEbNS_6TensorES4_S4_lNS_14AccumulateTypeIT0_Lb1EE4typeES8_NS0_13TensorArgTypeES9_S9_EUllE_EEvNS0_6detail10TensorInfoIT_T1_EESF_NSC_IKS6_SE_EElS8_S8_SE_T6_.num_named_barrier, 0
	.set _ZN2at4cuda17kernelHistogram1DIdllLi1ELi2ELin1ELNS0_23CUDAHistogramMemoryTypeE1EZNS0_21CUDA_tensor_histogramIdlLb1EEEbNS_6TensorES4_S4_lNS_14AccumulateTypeIT0_Lb1EE4typeES8_NS0_13TensorArgTypeES9_S9_EUllE_EEvNS0_6detail10TensorInfoIT_T1_EESF_NSC_IKS6_SE_EElS8_S8_SE_T6_.private_seg_size, 0
	.set _ZN2at4cuda17kernelHistogram1DIdllLi1ELi2ELin1ELNS0_23CUDAHistogramMemoryTypeE1EZNS0_21CUDA_tensor_histogramIdlLb1EEEbNS_6TensorES4_S4_lNS_14AccumulateTypeIT0_Lb1EE4typeES8_NS0_13TensorArgTypeES9_S9_EUllE_EEvNS0_6detail10TensorInfoIT_T1_EESF_NSC_IKS6_SE_EElS8_S8_SE_T6_.uses_vcc, 1
	.set _ZN2at4cuda17kernelHistogram1DIdllLi1ELi2ELin1ELNS0_23CUDAHistogramMemoryTypeE1EZNS0_21CUDA_tensor_histogramIdlLb1EEEbNS_6TensorES4_S4_lNS_14AccumulateTypeIT0_Lb1EE4typeES8_NS0_13TensorArgTypeES9_S9_EUllE_EEvNS0_6detail10TensorInfoIT_T1_EESF_NSC_IKS6_SE_EElS8_S8_SE_T6_.uses_flat_scratch, 0
	.set _ZN2at4cuda17kernelHistogram1DIdllLi1ELi2ELin1ELNS0_23CUDAHistogramMemoryTypeE1EZNS0_21CUDA_tensor_histogramIdlLb1EEEbNS_6TensorES4_S4_lNS_14AccumulateTypeIT0_Lb1EE4typeES8_NS0_13TensorArgTypeES9_S9_EUllE_EEvNS0_6detail10TensorInfoIT_T1_EESF_NSC_IKS6_SE_EElS8_S8_SE_T6_.has_dyn_sized_stack, 0
	.set _ZN2at4cuda17kernelHistogram1DIdllLi1ELi2ELin1ELNS0_23CUDAHistogramMemoryTypeE1EZNS0_21CUDA_tensor_histogramIdlLb1EEEbNS_6TensorES4_S4_lNS_14AccumulateTypeIT0_Lb1EE4typeES8_NS0_13TensorArgTypeES9_S9_EUllE_EEvNS0_6detail10TensorInfoIT_T1_EESF_NSC_IKS6_SE_EElS8_S8_SE_T6_.has_recursion, 0
	.set _ZN2at4cuda17kernelHistogram1DIdllLi1ELi2ELin1ELNS0_23CUDAHistogramMemoryTypeE1EZNS0_21CUDA_tensor_histogramIdlLb1EEEbNS_6TensorES4_S4_lNS_14AccumulateTypeIT0_Lb1EE4typeES8_NS0_13TensorArgTypeES9_S9_EUllE_EEvNS0_6detail10TensorInfoIT_T1_EESF_NSC_IKS6_SE_EElS8_S8_SE_T6_.has_indirect_call, 0
	.section	.AMDGPU.csdata,"",@progbits
; Kernel info:
; codeLenInByte = 2200
; TotalNumSgprs: 55
; NumVgprs: 18
; ScratchSize: 0
; MemoryBound: 0
; FloatMode: 240
; IeeeMode: 1
; LDSByteSize: 0 bytes/workgroup (compile time only)
; SGPRBlocks: 6
; VGPRBlocks: 4
; NumSGPRsForWavesPerEU: 55
; NumVGPRsForWavesPerEU: 18
; Occupancy: 10
; WaveLimiterHint : 1
; COMPUTE_PGM_RSRC2:SCRATCH_EN: 0
; COMPUTE_PGM_RSRC2:USER_SGPR: 6
; COMPUTE_PGM_RSRC2:TRAP_HANDLER: 0
; COMPUTE_PGM_RSRC2:TGID_X_EN: 1
; COMPUTE_PGM_RSRC2:TGID_Y_EN: 0
; COMPUTE_PGM_RSRC2:TGID_Z_EN: 0
; COMPUTE_PGM_RSRC2:TIDIG_COMP_CNT: 0
	.section	.text._ZN2at4cuda17kernelHistogram1DIdllLi1ELi2ELin1ELNS0_23CUDAHistogramMemoryTypeE0EZNS0_21CUDA_tensor_histogramIdlLb1EEEbNS_6TensorES4_S4_lNS_14AccumulateTypeIT0_Lb1EE4typeES8_NS0_13TensorArgTypeES9_S9_EUllE0_EEvNS0_6detail10TensorInfoIT_T1_EESF_NSC_IKS6_SE_EElS8_S8_SE_T6_,"axG",@progbits,_ZN2at4cuda17kernelHistogram1DIdllLi1ELi2ELin1ELNS0_23CUDAHistogramMemoryTypeE0EZNS0_21CUDA_tensor_histogramIdlLb1EEEbNS_6TensorES4_S4_lNS_14AccumulateTypeIT0_Lb1EE4typeES8_NS0_13TensorArgTypeES9_S9_EUllE0_EEvNS0_6detail10TensorInfoIT_T1_EESF_NSC_IKS6_SE_EElS8_S8_SE_T6_,comdat
	.protected	_ZN2at4cuda17kernelHistogram1DIdllLi1ELi2ELin1ELNS0_23CUDAHistogramMemoryTypeE0EZNS0_21CUDA_tensor_histogramIdlLb1EEEbNS_6TensorES4_S4_lNS_14AccumulateTypeIT0_Lb1EE4typeES8_NS0_13TensorArgTypeES9_S9_EUllE0_EEvNS0_6detail10TensorInfoIT_T1_EESF_NSC_IKS6_SE_EElS8_S8_SE_T6_ ; -- Begin function _ZN2at4cuda17kernelHistogram1DIdllLi1ELi2ELin1ELNS0_23CUDAHistogramMemoryTypeE0EZNS0_21CUDA_tensor_histogramIdlLb1EEEbNS_6TensorES4_S4_lNS_14AccumulateTypeIT0_Lb1EE4typeES8_NS0_13TensorArgTypeES9_S9_EUllE0_EEvNS0_6detail10TensorInfoIT_T1_EESF_NSC_IKS6_SE_EElS8_S8_SE_T6_
	.globl	_ZN2at4cuda17kernelHistogram1DIdllLi1ELi2ELin1ELNS0_23CUDAHistogramMemoryTypeE0EZNS0_21CUDA_tensor_histogramIdlLb1EEEbNS_6TensorES4_S4_lNS_14AccumulateTypeIT0_Lb1EE4typeES8_NS0_13TensorArgTypeES9_S9_EUllE0_EEvNS0_6detail10TensorInfoIT_T1_EESF_NSC_IKS6_SE_EElS8_S8_SE_T6_
	.p2align	8
	.type	_ZN2at4cuda17kernelHistogram1DIdllLi1ELi2ELin1ELNS0_23CUDAHistogramMemoryTypeE0EZNS0_21CUDA_tensor_histogramIdlLb1EEEbNS_6TensorES4_S4_lNS_14AccumulateTypeIT0_Lb1EE4typeES8_NS0_13TensorArgTypeES9_S9_EUllE0_EEvNS0_6detail10TensorInfoIT_T1_EESF_NSC_IKS6_SE_EElS8_S8_SE_T6_,@function
_ZN2at4cuda17kernelHistogram1DIdllLi1ELi2ELin1ELNS0_23CUDAHistogramMemoryTypeE0EZNS0_21CUDA_tensor_histogramIdlLb1EEEbNS_6TensorES4_S4_lNS_14AccumulateTypeIT0_Lb1EE4typeES8_NS0_13TensorArgTypeES9_S9_EUllE0_EEvNS0_6detail10TensorInfoIT_T1_EESF_NSC_IKS6_SE_EElS8_S8_SE_T6_: ; @_ZN2at4cuda17kernelHistogram1DIdllLi1ELi2ELin1ELNS0_23CUDAHistogramMemoryTypeE0EZNS0_21CUDA_tensor_histogramIdlLb1EEEbNS_6TensorES4_S4_lNS_14AccumulateTypeIT0_Lb1EE4typeES8_NS0_13TensorArgTypeES9_S9_EUllE0_EEvNS0_6detail10TensorInfoIT_T1_EESF_NSC_IKS6_SE_EElS8_S8_SE_T6_
; %bb.0:
	s_load_dwordx4 s[16:19], s[4:5], 0x0
	v_mov_b32_e32 v1, 0
	s_add_u32 s2, s4, 0x508
	s_addc_u32 s3, s5, 0
                                        ; implicit-def: $sgpr10
                                        ; implicit-def: $sgpr7
	s_waitcnt lgkmcnt(0)
	v_cmp_gt_i64_e64 s[0:1], s[18:19], v[0:1]
	v_cmp_le_i64_e32 vcc, s[18:19], v[0:1]
	s_and_saveexec_b64 s[8:9], vcc
	s_xor_b64 s[8:9], exec, s[8:9]
	s_cbranch_execz .LBB46_2
; %bb.1:
	s_load_dword s10, s[2:3], 0xc
	s_waitcnt lgkmcnt(0)
	s_and_b32 s7, s10, 0xffff
.LBB46_2:
	s_or_saveexec_b64 s[8:9], s[8:9]
	s_load_dwordx2 s[20:21], s[4:5], 0xd0
	v_mov_b32_e32 v12, s10
	v_mov_b32_e32 v5, s7
	s_xor_b64 exec, exec, s[8:9]
	s_cbranch_execz .LBB46_6
; %bb.3:
	s_load_dword s7, s[2:3], 0xc
	v_mov_b32_e32 v2, 0
	v_mov_b32_e32 v5, v1
	v_lshl_add_u32 v6, v0, 3, 0
	s_mov_b64 s[10:11], 0
	s_waitcnt lgkmcnt(0)
	s_and_b32 s12, s7, 0xffff
	v_mov_b32_e32 v3, v2
	s_lshl_b32 s13, s12, 3
	v_mov_b32_e32 v4, v0
.LBB46_4:                               ; =>This Inner Loop Header: Depth=1
	v_add_co_u32_e32 v4, vcc, s12, v4
	v_addc_co_u32_e32 v5, vcc, 0, v5, vcc
	v_cmp_le_i64_e32 vcc, s[18:19], v[4:5]
	ds_write_b64 v6, v[2:3]
	s_or_b64 s[10:11], vcc, s[10:11]
	v_add_u32_e32 v6, s13, v6
	s_andn2_b64 exec, exec, s[10:11]
	s_cbranch_execnz .LBB46_4
; %bb.5:
	s_or_b64 exec, exec, s[10:11]
	v_mov_b32_e32 v12, s7
	v_mov_b32_e32 v5, s12
.LBB46_6:
	s_or_b64 exec, exec, s[8:9]
	s_load_dwordx8 s[8:15], s[4:5], 0x4e0
	v_mad_u64_u32 v[2:3], s[6:7], s6, v5, v[0:1]
	v_mov_b32_e32 v4, 0
	v_mov_b32_e32 v3, v4
	s_waitcnt lgkmcnt(0)
	v_cmp_gt_i64_e32 vcc, s[14:15], v[2:3]
	s_barrier
	s_and_saveexec_b64 s[6:7], vcc
	s_cbranch_execz .LBB46_23
; %bb.7:
	s_load_dword s26, s[4:5], 0x4d8
	s_load_dwordx2 s[24:25], s[4:5], 0x340
	s_add_u32 s27, s4, 0x340
	s_addc_u32 s29, s5, 0
	s_load_dword s28, s[2:3], 0x0
	s_load_dwordx2 s[22:23], s[4:5], 0x410
	s_waitcnt lgkmcnt(0)
	s_cmp_gt_i32 s26, 1
	s_cselect_b64 s[2:3], -1, 0
	s_sub_u32 s33, s12, s10
	s_subb_u32 s42, s13, s11
	s_mov_b32 s5, 0
	s_add_i32 s4, s26, -1
	s_add_i32 s43, s26, 1
	s_lshl_b64 s[4:5], s[4:5], 3
	v_mul_lo_u32 v13, s28, v5
	s_add_u32 s4, s27, s4
	s_addc_u32 s5, s29, s5
	s_add_u32 s26, s4, 8
	v_cndmask_b32_e64 v5, 0, 1, s[2:3]
	s_addc_u32 s27, s5, 0
	s_mov_b64 s[28:29], 0
	v_cmp_ne_u32_e64 s[2:3], 1, v5
	s_branch .LBB46_9
.LBB46_8:                               ;   in Loop: Header=BB46_9 Depth=1
	s_or_b64 exec, exec, s[30:31]
	v_add_co_u32_e32 v2, vcc, v2, v13
	v_addc_co_u32_e32 v3, vcc, 0, v3, vcc
	v_cmp_le_i64_e32 vcc, s[14:15], v[2:3]
	s_or_b64 s[28:29], vcc, s[28:29]
	s_andn2_b64 exec, exec, s[28:29]
	s_cbranch_execz .LBB46_23
.LBB46_9:                               ; =>This Loop Header: Depth=1
                                        ;     Child Loop BB46_10 Depth 2
                                        ;     Child Loop BB46_22 Depth 2
	v_mov_b32_e32 v6, 0
	v_mov_b32_e32 v9, v3
	;; [unrolled: 1-line block ×4, first 2 shown]
	s_and_b64 vcc, exec, s[2:3]
	s_mov_b64 s[30:31], s[26:27]
	s_mov_b32 s44, s43
	v_mov_b32_e32 v8, v2
	v_mov_b32_e32 v10, v2
	s_cbranch_vccnz .LBB46_16
.LBB46_10:                              ;   Parent Loop BB46_9 Depth=1
                                        ; =>  This Inner Loop Header: Depth=2
	s_load_dwordx2 s[34:35], s[30:31], 0x0
                                        ; implicit-def: $vgpr10_vgpr11
	s_waitcnt lgkmcnt(0)
	v_or_b32_e32 v5, s35, v9
	v_cmp_ne_u64_e32 vcc, 0, v[4:5]
	s_and_saveexec_b64 s[4:5], vcc
	s_xor_b64 s[36:37], exec, s[4:5]
	s_cbranch_execz .LBB46_12
; %bb.11:                               ;   in Loop: Header=BB46_10 Depth=2
	s_ashr_i32 s38, s35, 31
	s_add_u32 s4, s34, s38
	s_mov_b32 s39, s38
	s_addc_u32 s5, s35, s38
	s_xor_b64 s[40:41], s[4:5], s[38:39]
	v_cvt_f32_u32_e32 v5, s40
	v_cvt_f32_u32_e32 v10, s41
	s_sub_u32 s39, 0, s40
	s_subb_u32 s45, 0, s41
	v_mac_f32_e32 v5, 0x4f800000, v10
	v_rcp_f32_e32 v5, v5
	v_mul_f32_e32 v5, 0x5f7ffffc, v5
	v_mul_f32_e32 v10, 0x2f800000, v5
	v_trunc_f32_e32 v10, v10
	v_mac_f32_e32 v5, 0xcf800000, v10
	v_cvt_u32_f32_e32 v10, v10
	v_cvt_u32_f32_e32 v5, v5
	v_readfirstlane_b32 s46, v10
	v_readfirstlane_b32 s4, v5
	s_mul_i32 s5, s39, s46
	s_mul_hi_u32 s48, s39, s4
	s_mul_i32 s47, s45, s4
	s_add_i32 s5, s48, s5
	s_add_i32 s5, s5, s47
	s_mul_i32 s49, s39, s4
	s_mul_i32 s48, s4, s5
	s_mul_hi_u32 s50, s4, s49
	s_mul_hi_u32 s47, s4, s5
	s_add_u32 s48, s50, s48
	s_addc_u32 s47, 0, s47
	s_mul_hi_u32 s51, s46, s49
	s_mul_i32 s49, s46, s49
	s_add_u32 s48, s48, s49
	s_mul_hi_u32 s50, s46, s5
	s_addc_u32 s47, s47, s51
	s_addc_u32 s48, s50, 0
	s_mul_i32 s5, s46, s5
	s_add_u32 s5, s47, s5
	s_addc_u32 s47, 0, s48
	s_add_u32 s48, s4, s5
	s_cselect_b64 s[4:5], -1, 0
	s_cmp_lg_u64 s[4:5], 0
	s_addc_u32 s46, s46, s47
	s_mul_i32 s4, s39, s46
	s_mul_hi_u32 s5, s39, s48
	s_add_i32 s4, s5, s4
	s_mul_i32 s45, s45, s48
	s_add_i32 s4, s4, s45
	s_mul_i32 s39, s39, s48
	s_mul_hi_u32 s45, s46, s39
	s_mul_i32 s47, s46, s39
	s_mul_i32 s50, s48, s4
	s_mul_hi_u32 s39, s48, s39
	s_mul_hi_u32 s49, s48, s4
	s_add_u32 s39, s39, s50
	s_addc_u32 s49, 0, s49
	s_add_u32 s39, s39, s47
	s_mul_hi_u32 s5, s46, s4
	s_addc_u32 s39, s49, s45
	s_addc_u32 s5, s5, 0
	s_mul_i32 s4, s46, s4
	s_add_u32 s4, s39, s4
	s_addc_u32 s39, 0, s5
	s_add_u32 s45, s48, s4
	s_cselect_b64 s[4:5], -1, 0
	v_ashrrev_i32_e32 v5, 31, v9
	s_cmp_lg_u64 s[4:5], 0
	v_add_co_u32_e32 v10, vcc, v8, v5
	s_addc_u32 s39, s46, s39
	v_xor_b32_e32 v16, v10, v5
	v_mad_u64_u32 v[10:11], s[4:5], v16, s39, 0
	v_mul_hi_u32 v15, v16, s45
	v_addc_co_u32_e32 v14, vcc, v9, v5, vcc
	v_xor_b32_e32 v17, v14, v5
	v_add_co_u32_e32 v18, vcc, v15, v10
	v_addc_co_u32_e32 v19, vcc, 0, v11, vcc
	v_mad_u64_u32 v[10:11], s[4:5], v17, s45, 0
	v_mad_u64_u32 v[14:15], s[4:5], v17, s39, 0
	v_add_co_u32_e32 v10, vcc, v18, v10
	v_addc_co_u32_e32 v10, vcc, v19, v11, vcc
	v_addc_co_u32_e32 v11, vcc, 0, v15, vcc
	v_add_co_u32_e32 v14, vcc, v10, v14
	v_addc_co_u32_e32 v15, vcc, 0, v11, vcc
	v_mul_lo_u32 v18, s41, v14
	v_mul_lo_u32 v19, s40, v15
	v_mad_u64_u32 v[10:11], s[4:5], s40, v14, 0
	v_xor_b32_e32 v5, s38, v5
	v_add3_u32 v11, v11, v19, v18
	v_sub_u32_e32 v18, v17, v11
	v_mov_b32_e32 v19, s41
	v_sub_co_u32_e32 v10, vcc, v16, v10
	v_subb_co_u32_e64 v16, s[4:5], v18, v19, vcc
	v_subrev_co_u32_e64 v18, s[4:5], s40, v10
	v_subbrev_co_u32_e64 v16, s[4:5], 0, v16, s[4:5]
	v_cmp_le_u32_e64 s[4:5], s41, v16
	v_cndmask_b32_e64 v19, 0, -1, s[4:5]
	v_cmp_le_u32_e64 s[4:5], s40, v18
	v_cndmask_b32_e64 v18, 0, -1, s[4:5]
	v_cmp_eq_u32_e64 s[4:5], s41, v16
	v_cndmask_b32_e64 v16, v19, v18, s[4:5]
	v_add_co_u32_e64 v18, s[4:5], 2, v14
	v_subb_co_u32_e32 v11, vcc, v17, v11, vcc
	v_addc_co_u32_e64 v19, s[4:5], 0, v15, s[4:5]
	v_cmp_le_u32_e32 vcc, s41, v11
	v_add_co_u32_e64 v20, s[4:5], 1, v14
	v_cndmask_b32_e64 v17, 0, -1, vcc
	v_cmp_le_u32_e32 vcc, s40, v10
	v_addc_co_u32_e64 v21, s[4:5], 0, v15, s[4:5]
	v_cndmask_b32_e64 v10, 0, -1, vcc
	v_cmp_eq_u32_e32 vcc, s41, v11
	v_cmp_ne_u32_e64 s[4:5], 0, v16
	v_cndmask_b32_e32 v10, v17, v10, vcc
	v_cndmask_b32_e64 v16, v21, v19, s[4:5]
	v_cmp_ne_u32_e32 vcc, 0, v10
	v_cndmask_b32_e64 v11, v20, v18, s[4:5]
	v_cndmask_b32_e32 v10, v15, v16, vcc
	v_cndmask_b32_e32 v11, v14, v11, vcc
	v_xor_b32_e32 v14, v10, v5
	v_xor_b32_e32 v10, v11, v5
	v_sub_co_u32_e32 v10, vcc, v10, v5
	v_subb_co_u32_e32 v11, vcc, v14, v5, vcc
.LBB46_12:                              ;   in Loop: Header=BB46_10 Depth=2
	s_andn2_saveexec_b64 s[4:5], s[36:37]
	s_cbranch_execz .LBB46_14
; %bb.13:                               ;   in Loop: Header=BB46_10 Depth=2
	v_cvt_f32_u32_e32 v5, s34
	s_sub_i32 s36, 0, s34
	v_rcp_iflag_f32_e32 v5, v5
	v_mul_f32_e32 v5, 0x4f7ffffe, v5
	v_cvt_u32_f32_e32 v5, v5
	v_mul_lo_u32 v10, s36, v5
	v_mul_hi_u32 v10, v5, v10
	v_add_u32_e32 v5, v5, v10
	v_mul_hi_u32 v5, v8, v5
	v_mul_lo_u32 v10, v5, s34
	v_add_u32_e32 v11, 1, v5
	v_sub_u32_e32 v10, v8, v10
	v_subrev_u32_e32 v14, s34, v10
	v_cmp_le_u32_e32 vcc, s34, v10
	v_cndmask_b32_e32 v10, v10, v14, vcc
	v_cndmask_b32_e32 v5, v5, v11, vcc
	v_add_u32_e32 v11, 1, v5
	v_cmp_le_u32_e32 vcc, s34, v10
	v_cndmask_b32_e32 v10, v5, v11, vcc
	v_mov_b32_e32 v11, v4
.LBB46_14:                              ;   in Loop: Header=BB46_10 Depth=2
	s_or_b64 exec, exec, s[4:5]
	v_mul_lo_u32 v5, v11, s34
	v_mul_lo_u32 v16, v10, s35
	v_mad_u64_u32 v[14:15], s[4:5], v10, s34, 0
	s_load_dwordx2 s[4:5], s[30:31], 0xc8
	s_add_i32 s44, s44, -1
	v_add3_u32 v5, v15, v16, v5
	v_sub_co_u32_e32 v8, vcc, v8, v14
	v_subb_co_u32_e32 v5, vcc, v9, v5, vcc
	s_waitcnt lgkmcnt(0)
	v_mul_lo_u32 v5, s4, v5
	v_mul_lo_u32 v9, s5, v8
	v_mad_u64_u32 v[6:7], s[4:5], s4, v8, v[6:7]
	s_add_u32 s30, s30, -8
	s_addc_u32 s31, s31, -1
	s_cmp_gt_u32 s44, 2
	v_add3_u32 v7, v9, v7, v5
	s_cbranch_scc0 .LBB46_16
; %bb.15:                               ;   in Loop: Header=BB46_10 Depth=2
	v_mov_b32_e32 v8, v10
	v_mov_b32_e32 v9, v11
	s_branch .LBB46_10
.LBB46_16:                              ;   in Loop: Header=BB46_9 Depth=1
	v_mul_lo_u32 v5, s23, v10
	v_mul_lo_u32 v11, s22, v11
	v_mad_u64_u32 v[8:9], s[4:5], s22, v10, 0
	v_add3_u32 v9, v9, v11, v5
	v_lshlrev_b64 v[8:9], 3, v[8:9]
	v_mov_b32_e32 v5, s25
	v_add_co_u32_e32 v8, vcc, s24, v8
	v_addc_co_u32_e32 v9, vcc, v5, v9, vcc
	v_lshlrev_b64 v[5:6], 3, v[6:7]
	v_add_co_u32_e32 v5, vcc, v8, v5
	v_addc_co_u32_e32 v6, vcc, v9, v6, vcc
	global_load_dwordx2 v[5:6], v[5:6], off
	s_waitcnt vmcnt(0)
	v_cmp_le_i64_e32 vcc, s[10:11], v[5:6]
	v_cmp_ge_i64_e64 s[4:5], s[12:13], v[5:6]
	s_and_b64 s[4:5], vcc, s[4:5]
	s_and_saveexec_b64 s[30:31], s[4:5]
	s_cbranch_execz .LBB46_8
; %bb.17:                               ;   in Loop: Header=BB46_9 Depth=1
	v_mov_b32_e32 v7, s11
	v_subrev_co_u32_e32 v5, vcc, s10, v5
	v_subb_co_u32_e32 v6, vcc, v6, v7, vcc
	v_mul_lo_u32 v8, v6, s8
	v_mul_lo_u32 v9, v5, s9
	v_mad_u64_u32 v[6:7], s[4:5], v5, s8, 0
	v_add3_u32 v7, v7, v9, v8
	v_or_b32_e32 v5, s42, v7
	v_cmp_ne_u64_e32 vcc, 0, v[4:5]
                                        ; implicit-def: $vgpr8_vgpr9
	s_and_saveexec_b64 s[4:5], vcc
	s_xor_b64 s[34:35], exec, s[4:5]
	s_cbranch_execz .LBB46_19
; %bb.18:                               ;   in Loop: Header=BB46_9 Depth=1
	s_ashr_i32 s36, s42, 31
	s_add_u32 s4, s33, s36
	s_mov_b32 s37, s36
	s_addc_u32 s5, s42, s36
	s_xor_b64 s[38:39], s[4:5], s[36:37]
	v_cvt_f32_u32_e32 v5, s38
	v_cvt_f32_u32_e32 v8, s39
	s_sub_u32 s37, 0, s38
	s_subb_u32 s40, 0, s39
	v_ashrrev_i32_e32 v9, 31, v7
	v_mac_f32_e32 v5, 0x4f800000, v8
	v_rcp_f32_e32 v5, v5
	v_mul_f32_e32 v5, 0x5f7ffffc, v5
	v_mul_f32_e32 v8, 0x2f800000, v5
	v_trunc_f32_e32 v8, v8
	v_mac_f32_e32 v5, 0xcf800000, v8
	v_cvt_u32_f32_e32 v8, v8
	v_cvt_u32_f32_e32 v5, v5
	v_readfirstlane_b32 s41, v8
	v_readfirstlane_b32 s4, v5
	s_mul_i32 s5, s37, s41
	s_mul_hi_u32 s45, s37, s4
	s_mul_i32 s44, s40, s4
	s_add_i32 s5, s45, s5
	s_add_i32 s5, s5, s44
	s_mul_i32 s46, s37, s4
	s_mul_i32 s45, s4, s5
	s_mul_hi_u32 s47, s4, s46
	s_mul_hi_u32 s44, s4, s5
	s_add_u32 s45, s47, s45
	s_addc_u32 s44, 0, s44
	s_mul_hi_u32 s48, s41, s46
	s_mul_i32 s46, s41, s46
	s_add_u32 s45, s45, s46
	s_mul_hi_u32 s47, s41, s5
	s_addc_u32 s44, s44, s48
	s_addc_u32 s45, s47, 0
	s_mul_i32 s5, s41, s5
	s_add_u32 s5, s44, s5
	s_addc_u32 s44, 0, s45
	s_add_u32 s45, s4, s5
	s_cselect_b64 s[4:5], -1, 0
	s_cmp_lg_u64 s[4:5], 0
	s_addc_u32 s41, s41, s44
	s_mul_i32 s4, s37, s41
	s_mul_hi_u32 s5, s37, s45
	s_add_i32 s4, s5, s4
	s_mul_i32 s40, s40, s45
	s_add_i32 s4, s4, s40
	s_mul_i32 s37, s37, s45
	s_mul_hi_u32 s40, s41, s37
	s_mul_i32 s44, s41, s37
	s_mul_i32 s47, s45, s4
	s_mul_hi_u32 s37, s45, s37
	s_mul_hi_u32 s46, s45, s4
	s_add_u32 s37, s37, s47
	s_addc_u32 s46, 0, s46
	s_add_u32 s37, s37, s44
	s_mul_hi_u32 s5, s41, s4
	s_addc_u32 s37, s46, s40
	s_addc_u32 s5, s5, 0
	s_mul_i32 s4, s41, s4
	s_add_u32 s4, s37, s4
	s_addc_u32 s37, 0, s5
	s_add_u32 s40, s45, s4
	s_cselect_b64 s[4:5], -1, 0
	s_cmp_lg_u64 s[4:5], 0
	v_add_co_u32_e32 v5, vcc, v6, v9
	s_addc_u32 s37, s41, s37
	v_xor_b32_e32 v10, v5, v9
	v_mad_u64_u32 v[5:6], s[4:5], v10, s37, 0
	v_mul_hi_u32 v8, v10, s40
	v_addc_co_u32_e32 v7, vcc, v7, v9, vcc
	v_xor_b32_e32 v11, v7, v9
	v_add_co_u32_e32 v14, vcc, v8, v5
	v_addc_co_u32_e32 v15, vcc, 0, v6, vcc
	v_mad_u64_u32 v[5:6], s[4:5], v11, s40, 0
	v_mad_u64_u32 v[7:8], s[4:5], v11, s37, 0
	v_add_co_u32_e32 v5, vcc, v14, v5
	v_addc_co_u32_e32 v5, vcc, v15, v6, vcc
	v_addc_co_u32_e32 v6, vcc, 0, v8, vcc
	v_add_co_u32_e32 v7, vcc, v5, v7
	v_addc_co_u32_e32 v5, vcc, 0, v6, vcc
	v_mul_lo_u32 v8, s39, v7
	v_mul_lo_u32 v14, s38, v5
	v_mad_u64_u32 v[5:6], s[4:5], s38, v7, 0
	v_add3_u32 v6, v6, v14, v8
	v_sub_u32_e32 v8, v11, v6
	v_mov_b32_e32 v14, s39
	v_sub_co_u32_e32 v5, vcc, v10, v5
	v_subb_co_u32_e64 v8, s[4:5], v8, v14, vcc
	v_subrev_co_u32_e64 v10, s[4:5], s38, v5
	v_subbrev_co_u32_e64 v8, s[4:5], 0, v8, s[4:5]
	v_cmp_le_u32_e64 s[4:5], s39, v8
	v_subb_co_u32_e32 v6, vcc, v11, v6, vcc
	v_cndmask_b32_e64 v14, 0, -1, s[4:5]
	v_cmp_le_u32_e64 s[4:5], s38, v10
	v_cmp_le_u32_e32 vcc, s39, v6
	v_cndmask_b32_e64 v10, 0, -1, s[4:5]
	v_cmp_eq_u32_e64 s[4:5], s39, v8
	v_cndmask_b32_e64 v11, 0, -1, vcc
	v_cmp_le_u32_e32 vcc, s38, v5
	v_cndmask_b32_e64 v8, v14, v10, s[4:5]
	v_cndmask_b32_e64 v5, 0, -1, vcc
	v_cmp_eq_u32_e32 vcc, s39, v6
	v_add_co_u32_e64 v10, s[4:5], 2, v7
	v_add_co_u32_e64 v14, s[4:5], 1, v7
	v_cndmask_b32_e32 v5, v11, v5, vcc
	v_cmp_ne_u32_e32 vcc, 0, v8
	v_cndmask_b32_e32 v6, v14, v10, vcc
	v_cmp_ne_u32_e32 vcc, 0, v5
	v_cndmask_b32_e32 v5, v7, v6, vcc
	v_xor_b32_e32 v6, s36, v9
	v_xor_b32_e32 v5, v5, v6
	v_sub_co_u32_e32 v8, vcc, v5, v6
                                        ; implicit-def: $vgpr6_vgpr7
.LBB46_19:                              ;   in Loop: Header=BB46_9 Depth=1
	s_andn2_saveexec_b64 s[4:5], s[34:35]
	s_cbranch_execz .LBB46_21
; %bb.20:                               ;   in Loop: Header=BB46_9 Depth=1
	v_cvt_f32_u32_e32 v5, s33
	s_sub_i32 s34, 0, s33
	v_rcp_iflag_f32_e32 v5, v5
	v_mul_f32_e32 v5, 0x4f7ffffe, v5
	v_cvt_u32_f32_e32 v5, v5
	v_mul_lo_u32 v7, s34, v5
	v_mul_hi_u32 v7, v5, v7
	v_add_u32_e32 v5, v5, v7
	v_mul_hi_u32 v5, v6, v5
	v_mul_lo_u32 v7, v5, s33
	v_add_u32_e32 v8, 1, v5
	v_sub_u32_e32 v6, v6, v7
	v_subrev_u32_e32 v7, s33, v6
	v_cmp_le_u32_e32 vcc, s33, v6
	v_cndmask_b32_e32 v6, v6, v7, vcc
	v_cndmask_b32_e32 v5, v5, v8, vcc
	v_add_u32_e32 v7, 1, v5
	v_cmp_le_u32_e32 vcc, s33, v6
	v_cndmask_b32_e32 v8, v5, v7, vcc
.LBB46_21:                              ;   in Loop: Header=BB46_9 Depth=1
	s_or_b64 exec, exec, s[4:5]
	v_ashrrev_i32_e32 v9, 31, v8
	v_cmp_eq_u64_e32 vcc, s[8:9], v[8:9]
	s_mov_b64 s[4:5], 0
	v_subbrev_co_u32_e32 v5, vcc, 0, v8, vcc
	v_lshl_add_u32 v7, v5, 3, 0
	ds_read_b64 v[5:6], v7
.LBB46_22:                              ;   Parent Loop BB46_9 Depth=1
                                        ; =>  This Inner Loop Header: Depth=2
	s_waitcnt lgkmcnt(0)
	v_add_f64 v[8:9], v[5:6], 1.0
	ds_cmpst_rtn_b64 v[8:9], v7, v[5:6], v[8:9]
	s_waitcnt lgkmcnt(0)
	v_cmp_eq_u64_e32 vcc, v[8:9], v[5:6]
	v_mov_b32_e32 v5, v8
	s_or_b64 s[4:5], vcc, s[4:5]
	v_mov_b32_e32 v6, v9
	s_andn2_b64 exec, exec, s[4:5]
	s_cbranch_execnz .LBB46_22
	s_branch .LBB46_8
.LBB46_23:
	s_or_b64 exec, exec, s[6:7]
; %bb.24:
	s_barrier
	s_and_saveexec_b64 s[2:3], s[0:1]
	s_cbranch_execz .LBB46_29
; %bb.25:
	v_and_b32_e32 v10, 0xffff, v12
	s_mov_b64 s[0:1], 0
	v_mov_b32_e32 v11, s17
.LBB46_26:                              ; =>This Loop Header: Depth=1
                                        ;     Child Loop BB46_27 Depth 2
	v_mul_lo_u32 v4, v1, s20
	v_mul_lo_u32 v5, v0, s21
	v_mad_u64_u32 v[2:3], s[2:3], v0, s20, 0
	s_mov_b64 s[2:3], 0
	v_add3_u32 v3, v3, v5, v4
	v_lshlrev_b64 v[2:3], 3, v[2:3]
	v_add_co_u32_e32 v6, vcc, s16, v2
	v_addc_co_u32_e32 v7, vcc, v11, v3, vcc
	global_load_dwordx2 v[4:5], v[6:7], off
	v_lshl_add_u32 v2, v0, 3, 0
	ds_read_b64 v[8:9], v2
.LBB46_27:                              ;   Parent Loop BB46_26 Depth=1
                                        ; =>  This Inner Loop Header: Depth=2
	s_waitcnt vmcnt(0) lgkmcnt(0)
	v_add_f64 v[2:3], v[4:5], v[8:9]
	global_atomic_cmpswap_x2 v[2:3], v[6:7], v[2:5], off glc
	s_waitcnt vmcnt(0)
	v_cmp_eq_u64_e32 vcc, v[2:3], v[4:5]
	v_mov_b32_e32 v5, v3
	s_or_b64 s[2:3], vcc, s[2:3]
	v_mov_b32_e32 v4, v2
	s_andn2_b64 exec, exec, s[2:3]
	s_cbranch_execnz .LBB46_27
; %bb.28:                               ;   in Loop: Header=BB46_26 Depth=1
	s_or_b64 exec, exec, s[2:3]
	v_add_co_u32_e32 v0, vcc, v0, v10
	v_addc_co_u32_e32 v1, vcc, 0, v1, vcc
	v_cmp_le_i64_e32 vcc, s[18:19], v[0:1]
	s_or_b64 s[0:1], vcc, s[0:1]
	s_andn2_b64 exec, exec, s[0:1]
	s_cbranch_execnz .LBB46_26
.LBB46_29:
	s_endpgm
	.section	.rodata,"a",@progbits
	.p2align	6, 0x0
	.amdhsa_kernel _ZN2at4cuda17kernelHistogram1DIdllLi1ELi2ELin1ELNS0_23CUDAHistogramMemoryTypeE0EZNS0_21CUDA_tensor_histogramIdlLb1EEEbNS_6TensorES4_S4_lNS_14AccumulateTypeIT0_Lb1EE4typeES8_NS0_13TensorArgTypeES9_S9_EUllE0_EEvNS0_6detail10TensorInfoIT_T1_EESF_NSC_IKS6_SE_EElS8_S8_SE_T6_
		.amdhsa_group_segment_fixed_size 0
		.amdhsa_private_segment_fixed_size 0
		.amdhsa_kernarg_size 1544
		.amdhsa_user_sgpr_count 6
		.amdhsa_user_sgpr_private_segment_buffer 1
		.amdhsa_user_sgpr_dispatch_ptr 0
		.amdhsa_user_sgpr_queue_ptr 0
		.amdhsa_user_sgpr_kernarg_segment_ptr 1
		.amdhsa_user_sgpr_dispatch_id 0
		.amdhsa_user_sgpr_flat_scratch_init 0
		.amdhsa_user_sgpr_private_segment_size 0
		.amdhsa_uses_dynamic_stack 0
		.amdhsa_system_sgpr_private_segment_wavefront_offset 0
		.amdhsa_system_sgpr_workgroup_id_x 1
		.amdhsa_system_sgpr_workgroup_id_y 0
		.amdhsa_system_sgpr_workgroup_id_z 0
		.amdhsa_system_sgpr_workgroup_info 0
		.amdhsa_system_vgpr_workitem_id 0
		.amdhsa_next_free_vgpr 22
		.amdhsa_next_free_sgpr 52
		.amdhsa_reserve_vcc 1
		.amdhsa_reserve_flat_scratch 0
		.amdhsa_float_round_mode_32 0
		.amdhsa_float_round_mode_16_64 0
		.amdhsa_float_denorm_mode_32 3
		.amdhsa_float_denorm_mode_16_64 3
		.amdhsa_dx10_clamp 1
		.amdhsa_ieee_mode 1
		.amdhsa_fp16_overflow 0
		.amdhsa_exception_fp_ieee_invalid_op 0
		.amdhsa_exception_fp_denorm_src 0
		.amdhsa_exception_fp_ieee_div_zero 0
		.amdhsa_exception_fp_ieee_overflow 0
		.amdhsa_exception_fp_ieee_underflow 0
		.amdhsa_exception_fp_ieee_inexact 0
		.amdhsa_exception_int_div_zero 0
	.end_amdhsa_kernel
	.section	.text._ZN2at4cuda17kernelHistogram1DIdllLi1ELi2ELin1ELNS0_23CUDAHistogramMemoryTypeE0EZNS0_21CUDA_tensor_histogramIdlLb1EEEbNS_6TensorES4_S4_lNS_14AccumulateTypeIT0_Lb1EE4typeES8_NS0_13TensorArgTypeES9_S9_EUllE0_EEvNS0_6detail10TensorInfoIT_T1_EESF_NSC_IKS6_SE_EElS8_S8_SE_T6_,"axG",@progbits,_ZN2at4cuda17kernelHistogram1DIdllLi1ELi2ELin1ELNS0_23CUDAHistogramMemoryTypeE0EZNS0_21CUDA_tensor_histogramIdlLb1EEEbNS_6TensorES4_S4_lNS_14AccumulateTypeIT0_Lb1EE4typeES8_NS0_13TensorArgTypeES9_S9_EUllE0_EEvNS0_6detail10TensorInfoIT_T1_EESF_NSC_IKS6_SE_EElS8_S8_SE_T6_,comdat
.Lfunc_end46:
	.size	_ZN2at4cuda17kernelHistogram1DIdllLi1ELi2ELin1ELNS0_23CUDAHistogramMemoryTypeE0EZNS0_21CUDA_tensor_histogramIdlLb1EEEbNS_6TensorES4_S4_lNS_14AccumulateTypeIT0_Lb1EE4typeES8_NS0_13TensorArgTypeES9_S9_EUllE0_EEvNS0_6detail10TensorInfoIT_T1_EESF_NSC_IKS6_SE_EElS8_S8_SE_T6_, .Lfunc_end46-_ZN2at4cuda17kernelHistogram1DIdllLi1ELi2ELin1ELNS0_23CUDAHistogramMemoryTypeE0EZNS0_21CUDA_tensor_histogramIdlLb1EEEbNS_6TensorES4_S4_lNS_14AccumulateTypeIT0_Lb1EE4typeES8_NS0_13TensorArgTypeES9_S9_EUllE0_EEvNS0_6detail10TensorInfoIT_T1_EESF_NSC_IKS6_SE_EElS8_S8_SE_T6_
                                        ; -- End function
	.set _ZN2at4cuda17kernelHistogram1DIdllLi1ELi2ELin1ELNS0_23CUDAHistogramMemoryTypeE0EZNS0_21CUDA_tensor_histogramIdlLb1EEEbNS_6TensorES4_S4_lNS_14AccumulateTypeIT0_Lb1EE4typeES8_NS0_13TensorArgTypeES9_S9_EUllE0_EEvNS0_6detail10TensorInfoIT_T1_EESF_NSC_IKS6_SE_EElS8_S8_SE_T6_.num_vgpr, 22
	.set _ZN2at4cuda17kernelHistogram1DIdllLi1ELi2ELin1ELNS0_23CUDAHistogramMemoryTypeE0EZNS0_21CUDA_tensor_histogramIdlLb1EEEbNS_6TensorES4_S4_lNS_14AccumulateTypeIT0_Lb1EE4typeES8_NS0_13TensorArgTypeES9_S9_EUllE0_EEvNS0_6detail10TensorInfoIT_T1_EESF_NSC_IKS6_SE_EElS8_S8_SE_T6_.num_agpr, 0
	.set _ZN2at4cuda17kernelHistogram1DIdllLi1ELi2ELin1ELNS0_23CUDAHistogramMemoryTypeE0EZNS0_21CUDA_tensor_histogramIdlLb1EEEbNS_6TensorES4_S4_lNS_14AccumulateTypeIT0_Lb1EE4typeES8_NS0_13TensorArgTypeES9_S9_EUllE0_EEvNS0_6detail10TensorInfoIT_T1_EESF_NSC_IKS6_SE_EElS8_S8_SE_T6_.numbered_sgpr, 52
	.set _ZN2at4cuda17kernelHistogram1DIdllLi1ELi2ELin1ELNS0_23CUDAHistogramMemoryTypeE0EZNS0_21CUDA_tensor_histogramIdlLb1EEEbNS_6TensorES4_S4_lNS_14AccumulateTypeIT0_Lb1EE4typeES8_NS0_13TensorArgTypeES9_S9_EUllE0_EEvNS0_6detail10TensorInfoIT_T1_EESF_NSC_IKS6_SE_EElS8_S8_SE_T6_.num_named_barrier, 0
	.set _ZN2at4cuda17kernelHistogram1DIdllLi1ELi2ELin1ELNS0_23CUDAHistogramMemoryTypeE0EZNS0_21CUDA_tensor_histogramIdlLb1EEEbNS_6TensorES4_S4_lNS_14AccumulateTypeIT0_Lb1EE4typeES8_NS0_13TensorArgTypeES9_S9_EUllE0_EEvNS0_6detail10TensorInfoIT_T1_EESF_NSC_IKS6_SE_EElS8_S8_SE_T6_.private_seg_size, 0
	.set _ZN2at4cuda17kernelHistogram1DIdllLi1ELi2ELin1ELNS0_23CUDAHistogramMemoryTypeE0EZNS0_21CUDA_tensor_histogramIdlLb1EEEbNS_6TensorES4_S4_lNS_14AccumulateTypeIT0_Lb1EE4typeES8_NS0_13TensorArgTypeES9_S9_EUllE0_EEvNS0_6detail10TensorInfoIT_T1_EESF_NSC_IKS6_SE_EElS8_S8_SE_T6_.uses_vcc, 1
	.set _ZN2at4cuda17kernelHistogram1DIdllLi1ELi2ELin1ELNS0_23CUDAHistogramMemoryTypeE0EZNS0_21CUDA_tensor_histogramIdlLb1EEEbNS_6TensorES4_S4_lNS_14AccumulateTypeIT0_Lb1EE4typeES8_NS0_13TensorArgTypeES9_S9_EUllE0_EEvNS0_6detail10TensorInfoIT_T1_EESF_NSC_IKS6_SE_EElS8_S8_SE_T6_.uses_flat_scratch, 0
	.set _ZN2at4cuda17kernelHistogram1DIdllLi1ELi2ELin1ELNS0_23CUDAHistogramMemoryTypeE0EZNS0_21CUDA_tensor_histogramIdlLb1EEEbNS_6TensorES4_S4_lNS_14AccumulateTypeIT0_Lb1EE4typeES8_NS0_13TensorArgTypeES9_S9_EUllE0_EEvNS0_6detail10TensorInfoIT_T1_EESF_NSC_IKS6_SE_EElS8_S8_SE_T6_.has_dyn_sized_stack, 0
	.set _ZN2at4cuda17kernelHistogram1DIdllLi1ELi2ELin1ELNS0_23CUDAHistogramMemoryTypeE0EZNS0_21CUDA_tensor_histogramIdlLb1EEEbNS_6TensorES4_S4_lNS_14AccumulateTypeIT0_Lb1EE4typeES8_NS0_13TensorArgTypeES9_S9_EUllE0_EEvNS0_6detail10TensorInfoIT_T1_EESF_NSC_IKS6_SE_EElS8_S8_SE_T6_.has_recursion, 0
	.set _ZN2at4cuda17kernelHistogram1DIdllLi1ELi2ELin1ELNS0_23CUDAHistogramMemoryTypeE0EZNS0_21CUDA_tensor_histogramIdlLb1EEEbNS_6TensorES4_S4_lNS_14AccumulateTypeIT0_Lb1EE4typeES8_NS0_13TensorArgTypeES9_S9_EUllE0_EEvNS0_6detail10TensorInfoIT_T1_EESF_NSC_IKS6_SE_EElS8_S8_SE_T6_.has_indirect_call, 0
	.section	.AMDGPU.csdata,"",@progbits
; Kernel info:
; codeLenInByte = 2416
; TotalNumSgprs: 56
; NumVgprs: 22
; ScratchSize: 0
; MemoryBound: 0
; FloatMode: 240
; IeeeMode: 1
; LDSByteSize: 0 bytes/workgroup (compile time only)
; SGPRBlocks: 6
; VGPRBlocks: 5
; NumSGPRsForWavesPerEU: 56
; NumVGPRsForWavesPerEU: 22
; Occupancy: 10
; WaveLimiterHint : 1
; COMPUTE_PGM_RSRC2:SCRATCH_EN: 0
; COMPUTE_PGM_RSRC2:USER_SGPR: 6
; COMPUTE_PGM_RSRC2:TRAP_HANDLER: 0
; COMPUTE_PGM_RSRC2:TGID_X_EN: 1
; COMPUTE_PGM_RSRC2:TGID_Y_EN: 0
; COMPUTE_PGM_RSRC2:TGID_Z_EN: 0
; COMPUTE_PGM_RSRC2:TIDIG_COMP_CNT: 0
	.section	.text._ZN2at4cuda17kernelHistogram1DIdllLi1ELi2ELin1ELNS0_23CUDAHistogramMemoryTypeE1EZNS0_21CUDA_tensor_histogramIdlLb1EEEbNS_6TensorES4_S4_lNS_14AccumulateTypeIT0_Lb1EE4typeES8_NS0_13TensorArgTypeES9_S9_EUllE0_EEvNS0_6detail10TensorInfoIT_T1_EESF_NSC_IKS6_SE_EElS8_S8_SE_T6_,"axG",@progbits,_ZN2at4cuda17kernelHistogram1DIdllLi1ELi2ELin1ELNS0_23CUDAHistogramMemoryTypeE1EZNS0_21CUDA_tensor_histogramIdlLb1EEEbNS_6TensorES4_S4_lNS_14AccumulateTypeIT0_Lb1EE4typeES8_NS0_13TensorArgTypeES9_S9_EUllE0_EEvNS0_6detail10TensorInfoIT_T1_EESF_NSC_IKS6_SE_EElS8_S8_SE_T6_,comdat
	.protected	_ZN2at4cuda17kernelHistogram1DIdllLi1ELi2ELin1ELNS0_23CUDAHistogramMemoryTypeE1EZNS0_21CUDA_tensor_histogramIdlLb1EEEbNS_6TensorES4_S4_lNS_14AccumulateTypeIT0_Lb1EE4typeES8_NS0_13TensorArgTypeES9_S9_EUllE0_EEvNS0_6detail10TensorInfoIT_T1_EESF_NSC_IKS6_SE_EElS8_S8_SE_T6_ ; -- Begin function _ZN2at4cuda17kernelHistogram1DIdllLi1ELi2ELin1ELNS0_23CUDAHistogramMemoryTypeE1EZNS0_21CUDA_tensor_histogramIdlLb1EEEbNS_6TensorES4_S4_lNS_14AccumulateTypeIT0_Lb1EE4typeES8_NS0_13TensorArgTypeES9_S9_EUllE0_EEvNS0_6detail10TensorInfoIT_T1_EESF_NSC_IKS6_SE_EElS8_S8_SE_T6_
	.globl	_ZN2at4cuda17kernelHistogram1DIdllLi1ELi2ELin1ELNS0_23CUDAHistogramMemoryTypeE1EZNS0_21CUDA_tensor_histogramIdlLb1EEEbNS_6TensorES4_S4_lNS_14AccumulateTypeIT0_Lb1EE4typeES8_NS0_13TensorArgTypeES9_S9_EUllE0_EEvNS0_6detail10TensorInfoIT_T1_EESF_NSC_IKS6_SE_EElS8_S8_SE_T6_
	.p2align	8
	.type	_ZN2at4cuda17kernelHistogram1DIdllLi1ELi2ELin1ELNS0_23CUDAHistogramMemoryTypeE1EZNS0_21CUDA_tensor_histogramIdlLb1EEEbNS_6TensorES4_S4_lNS_14AccumulateTypeIT0_Lb1EE4typeES8_NS0_13TensorArgTypeES9_S9_EUllE0_EEvNS0_6detail10TensorInfoIT_T1_EESF_NSC_IKS6_SE_EElS8_S8_SE_T6_,@function
_ZN2at4cuda17kernelHistogram1DIdllLi1ELi2ELin1ELNS0_23CUDAHistogramMemoryTypeE1EZNS0_21CUDA_tensor_histogramIdlLb1EEEbNS_6TensorES4_S4_lNS_14AccumulateTypeIT0_Lb1EE4typeES8_NS0_13TensorArgTypeES9_S9_EUllE0_EEvNS0_6detail10TensorInfoIT_T1_EESF_NSC_IKS6_SE_EElS8_S8_SE_T6_: ; @_ZN2at4cuda17kernelHistogram1DIdllLi1ELi2ELin1ELNS0_23CUDAHistogramMemoryTypeE1EZNS0_21CUDA_tensor_histogramIdlLb1EEEbNS_6TensorES4_S4_lNS_14AccumulateTypeIT0_Lb1EE4typeES8_NS0_13TensorArgTypeES9_S9_EUllE0_EEvNS0_6detail10TensorInfoIT_T1_EESF_NSC_IKS6_SE_EElS8_S8_SE_T6_
; %bb.0:
	s_load_dword s2, s[4:5], 0x514
	s_load_dwordx8 s[8:15], s[4:5], 0x4e0
	s_add_u32 s0, s4, 0x508
	s_addc_u32 s1, s5, 0
	v_mov_b32_e32 v6, 0
	s_waitcnt lgkmcnt(0)
	s_and_b32 s2, s2, 0xffff
	s_mul_i32 s6, s6, s2
	v_add_u32_e32 v4, s6, v0
	v_mov_b32_e32 v5, v6
	v_cmp_gt_i64_e32 vcc, s[14:15], v[4:5]
	s_and_saveexec_b64 s[6:7], vcc
	s_cbranch_execz .LBB47_17
; %bb.1:
	s_load_dword s22, s[4:5], 0x4d8
	s_load_dword s3, s[0:1], 0x0
	s_add_u32 s23, s4, 0x340
	s_addc_u32 s24, s5, 0
	s_load_dwordx2 s[6:7], s[4:5], 0x0
	s_load_dwordx2 s[16:17], s[4:5], 0xd0
	;; [unrolled: 1-line block ×4, first 2 shown]
	s_waitcnt lgkmcnt(0)
	s_cmp_gt_i32 s22, 1
	s_cselect_b64 s[0:1], -1, 0
	s_sub_u32 s33, s12, s10
	s_subb_u32 s36, s13, s11
	s_mul_i32 s37, s3, s2
	s_mov_b32 s3, 0
	s_add_i32 s2, s22, -1
	s_add_i32 s38, s22, 1
	s_lshl_b64 s[2:3], s[2:3], 3
	s_add_u32 s2, s23, s2
	s_addc_u32 s3, s24, s3
	s_add_u32 s4, s2, 8
	v_cndmask_b32_e64 v0, 0, 1, s[0:1]
	s_addc_u32 s5, s3, 0
	s_mov_b64 s[22:23], 0
	v_cmp_ne_u32_e64 s[0:1], 1, v0
	s_branch .LBB47_3
.LBB47_2:                               ;   in Loop: Header=BB47_3 Depth=1
	s_or_b64 exec, exec, s[24:25]
	v_add_co_u32_e32 v4, vcc, s37, v4
	v_addc_co_u32_e32 v5, vcc, 0, v5, vcc
	v_cmp_le_i64_e32 vcc, s[14:15], v[4:5]
	s_or_b64 s[22:23], vcc, s[22:23]
	s_andn2_b64 exec, exec, s[22:23]
	s_cbranch_execz .LBB47_17
.LBB47_3:                               ; =>This Loop Header: Depth=1
                                        ;     Child Loop BB47_4 Depth 2
                                        ;     Child Loop BB47_16 Depth 2
	v_mov_b32_e32 v0, 0
	v_mov_b32_e32 v2, v4
	;; [unrolled: 1-line block ×4, first 2 shown]
	s_and_b64 vcc, exec, s[0:1]
	s_mov_b64 s[24:25], s[4:5]
	s_mov_b32 s39, s38
	v_mov_b32_e32 v3, v5
	v_mov_b32_e32 v7, v4
	s_cbranch_vccnz .LBB47_10
.LBB47_4:                               ;   Parent Loop BB47_3 Depth=1
                                        ; =>  This Inner Loop Header: Depth=2
	s_load_dwordx2 s[26:27], s[24:25], 0x0
	s_waitcnt lgkmcnt(0)
	v_or_b32_e32 v7, s27, v3
	v_cmp_ne_u64_e32 vcc, 0, v[6:7]
                                        ; implicit-def: $vgpr7_vgpr8
	s_and_saveexec_b64 s[2:3], vcc
	s_xor_b64 s[28:29], exec, s[2:3]
	s_cbranch_execz .LBB47_6
; %bb.5:                                ;   in Loop: Header=BB47_4 Depth=2
	s_ashr_i32 s30, s27, 31
	s_add_u32 s2, s26, s30
	s_mov_b32 s31, s30
	s_addc_u32 s3, s27, s30
	s_xor_b64 s[34:35], s[2:3], s[30:31]
	v_cvt_f32_u32_e32 v7, s34
	v_cvt_f32_u32_e32 v8, s35
	s_sub_u32 s31, 0, s34
	s_subb_u32 s40, 0, s35
	v_ashrrev_i32_e32 v11, 31, v3
	v_mac_f32_e32 v7, 0x4f800000, v8
	v_rcp_f32_e32 v7, v7
	v_mul_f32_e32 v7, 0x5f7ffffc, v7
	v_mul_f32_e32 v8, 0x2f800000, v7
	v_trunc_f32_e32 v8, v8
	v_mac_f32_e32 v7, 0xcf800000, v8
	v_cvt_u32_f32_e32 v8, v8
	v_cvt_u32_f32_e32 v7, v7
	v_readfirstlane_b32 s41, v8
	v_readfirstlane_b32 s2, v7
	s_mul_i32 s3, s31, s41
	s_mul_hi_u32 s43, s31, s2
	s_mul_i32 s42, s40, s2
	s_add_i32 s3, s43, s3
	s_add_i32 s3, s3, s42
	s_mul_i32 s44, s31, s2
	s_mul_i32 s43, s2, s3
	s_mul_hi_u32 s45, s2, s44
	s_mul_hi_u32 s42, s2, s3
	s_add_u32 s43, s45, s43
	s_addc_u32 s42, 0, s42
	s_mul_hi_u32 s46, s41, s44
	s_mul_i32 s44, s41, s44
	s_add_u32 s43, s43, s44
	s_mul_hi_u32 s45, s41, s3
	s_addc_u32 s42, s42, s46
	s_addc_u32 s43, s45, 0
	s_mul_i32 s3, s41, s3
	s_add_u32 s3, s42, s3
	s_addc_u32 s42, 0, s43
	s_add_u32 s43, s2, s3
	s_cselect_b64 s[2:3], -1, 0
	s_cmp_lg_u64 s[2:3], 0
	s_addc_u32 s41, s41, s42
	s_mul_i32 s2, s31, s41
	s_mul_hi_u32 s3, s31, s43
	s_add_i32 s2, s3, s2
	s_mul_i32 s40, s40, s43
	s_add_i32 s2, s2, s40
	s_mul_i32 s31, s31, s43
	s_mul_hi_u32 s40, s41, s31
	s_mul_i32 s42, s41, s31
	s_mul_i32 s45, s43, s2
	s_mul_hi_u32 s31, s43, s31
	s_mul_hi_u32 s44, s43, s2
	s_add_u32 s31, s31, s45
	s_addc_u32 s44, 0, s44
	s_add_u32 s31, s31, s42
	s_mul_hi_u32 s3, s41, s2
	s_addc_u32 s31, s44, s40
	s_addc_u32 s3, s3, 0
	s_mul_i32 s2, s41, s2
	s_add_u32 s2, s31, s2
	s_addc_u32 s31, 0, s3
	s_add_u32 s40, s43, s2
	s_cselect_b64 s[2:3], -1, 0
	s_cmp_lg_u64 s[2:3], 0
	v_add_co_u32_e32 v7, vcc, v2, v11
	s_addc_u32 s31, s41, s31
	v_xor_b32_e32 v12, v7, v11
	v_mad_u64_u32 v[7:8], s[2:3], v12, s31, 0
	v_mul_hi_u32 v10, v12, s40
	v_addc_co_u32_e32 v9, vcc, v3, v11, vcc
	v_xor_b32_e32 v13, v9, v11
	v_add_co_u32_e32 v14, vcc, v10, v7
	v_addc_co_u32_e32 v15, vcc, 0, v8, vcc
	v_mad_u64_u32 v[7:8], s[2:3], v13, s40, 0
	v_mad_u64_u32 v[9:10], s[2:3], v13, s31, 0
	v_add_co_u32_e32 v7, vcc, v14, v7
	v_addc_co_u32_e32 v7, vcc, v15, v8, vcc
	v_addc_co_u32_e32 v8, vcc, 0, v10, vcc
	v_add_co_u32_e32 v9, vcc, v7, v9
	v_addc_co_u32_e32 v10, vcc, 0, v8, vcc
	v_mul_lo_u32 v14, s35, v9
	v_mul_lo_u32 v15, s34, v10
	v_mad_u64_u32 v[7:8], s[2:3], s34, v9, 0
	v_add3_u32 v8, v8, v15, v14
	v_sub_u32_e32 v14, v13, v8
	v_mov_b32_e32 v15, s35
	v_sub_co_u32_e32 v7, vcc, v12, v7
	v_subb_co_u32_e64 v12, s[2:3], v14, v15, vcc
	v_subrev_co_u32_e64 v14, s[2:3], s34, v7
	v_subbrev_co_u32_e64 v12, s[2:3], 0, v12, s[2:3]
	v_cmp_le_u32_e64 s[2:3], s35, v12
	v_cndmask_b32_e64 v15, 0, -1, s[2:3]
	v_cmp_le_u32_e64 s[2:3], s34, v14
	v_cndmask_b32_e64 v14, 0, -1, s[2:3]
	v_cmp_eq_u32_e64 s[2:3], s35, v12
	v_cndmask_b32_e64 v12, v15, v14, s[2:3]
	v_add_co_u32_e64 v14, s[2:3], 2, v9
	v_subb_co_u32_e32 v8, vcc, v13, v8, vcc
	v_addc_co_u32_e64 v15, s[2:3], 0, v10, s[2:3]
	v_cmp_le_u32_e32 vcc, s35, v8
	v_add_co_u32_e64 v16, s[2:3], 1, v9
	v_cndmask_b32_e64 v13, 0, -1, vcc
	v_cmp_le_u32_e32 vcc, s34, v7
	v_addc_co_u32_e64 v17, s[2:3], 0, v10, s[2:3]
	v_cndmask_b32_e64 v7, 0, -1, vcc
	v_cmp_eq_u32_e32 vcc, s35, v8
	v_cmp_ne_u32_e64 s[2:3], 0, v12
	v_cndmask_b32_e32 v7, v13, v7, vcc
	v_cndmask_b32_e64 v12, v17, v15, s[2:3]
	v_cmp_ne_u32_e32 vcc, 0, v7
	v_cndmask_b32_e64 v8, v16, v14, s[2:3]
	v_cndmask_b32_e32 v7, v10, v12, vcc
	v_cndmask_b32_e32 v8, v9, v8, vcc
	v_xor_b32_e32 v9, s30, v11
	v_xor_b32_e32 v10, v7, v9
	;; [unrolled: 1-line block ×3, first 2 shown]
	v_sub_co_u32_e32 v7, vcc, v7, v9
	v_subb_co_u32_e32 v8, vcc, v10, v9, vcc
.LBB47_6:                               ;   in Loop: Header=BB47_4 Depth=2
	s_andn2_saveexec_b64 s[2:3], s[28:29]
	s_cbranch_execz .LBB47_8
; %bb.7:                                ;   in Loop: Header=BB47_4 Depth=2
	v_cvt_f32_u32_e32 v7, s26
	s_sub_i32 s28, 0, s26
	v_rcp_iflag_f32_e32 v7, v7
	v_mul_f32_e32 v7, 0x4f7ffffe, v7
	v_cvt_u32_f32_e32 v7, v7
	v_mul_lo_u32 v8, s28, v7
	v_mul_hi_u32 v8, v7, v8
	v_add_u32_e32 v7, v7, v8
	v_mul_hi_u32 v7, v2, v7
	v_mul_lo_u32 v8, v7, s26
	v_add_u32_e32 v9, 1, v7
	v_sub_u32_e32 v8, v2, v8
	v_subrev_u32_e32 v10, s26, v8
	v_cmp_le_u32_e32 vcc, s26, v8
	v_cndmask_b32_e32 v8, v8, v10, vcc
	v_cndmask_b32_e32 v7, v7, v9, vcc
	v_add_u32_e32 v9, 1, v7
	v_cmp_le_u32_e32 vcc, s26, v8
	v_cndmask_b32_e32 v7, v7, v9, vcc
	v_mov_b32_e32 v8, v6
.LBB47_8:                               ;   in Loop: Header=BB47_4 Depth=2
	s_or_b64 exec, exec, s[2:3]
	v_mul_lo_u32 v11, v8, s26
	v_mul_lo_u32 v12, v7, s27
	v_mad_u64_u32 v[9:10], s[2:3], v7, s26, 0
	s_load_dwordx2 s[2:3], s[24:25], 0xc8
	s_add_i32 s39, s39, -1
	v_add3_u32 v10, v10, v12, v11
	v_sub_co_u32_e32 v2, vcc, v2, v9
	v_subb_co_u32_e32 v3, vcc, v3, v10, vcc
	s_waitcnt lgkmcnt(0)
	v_mul_lo_u32 v3, s2, v3
	v_mul_lo_u32 v9, s3, v2
	v_mad_u64_u32 v[0:1], s[2:3], s2, v2, v[0:1]
	s_add_u32 s24, s24, -8
	s_addc_u32 s25, s25, -1
	s_cmp_gt_u32 s39, 2
	v_add3_u32 v1, v9, v1, v3
	s_cbranch_scc0 .LBB47_10
; %bb.9:                                ;   in Loop: Header=BB47_4 Depth=2
	v_mov_b32_e32 v2, v7
	v_mov_b32_e32 v3, v8
	s_branch .LBB47_4
.LBB47_10:                              ;   in Loop: Header=BB47_3 Depth=1
	v_mul_lo_u32 v9, s19, v7
	v_mul_lo_u32 v8, s18, v8
	v_mad_u64_u32 v[2:3], s[2:3], s18, v7, 0
	v_mov_b32_e32 v7, s21
	v_lshlrev_b64 v[0:1], 3, v[0:1]
	v_add3_u32 v3, v3, v8, v9
	v_lshlrev_b64 v[2:3], 3, v[2:3]
	v_add_co_u32_e32 v2, vcc, s20, v2
	v_addc_co_u32_e32 v3, vcc, v7, v3, vcc
	v_add_co_u32_e32 v0, vcc, v2, v0
	v_addc_co_u32_e32 v1, vcc, v3, v1, vcc
	global_load_dwordx2 v[0:1], v[0:1], off
	s_waitcnt vmcnt(0)
	v_cmp_le_i64_e32 vcc, s[10:11], v[0:1]
	v_cmp_ge_i64_e64 s[2:3], s[12:13], v[0:1]
	s_and_b64 s[2:3], vcc, s[2:3]
	s_and_saveexec_b64 s[24:25], s[2:3]
	s_cbranch_execz .LBB47_2
; %bb.11:                               ;   in Loop: Header=BB47_3 Depth=1
	v_mov_b32_e32 v2, s11
	v_subrev_co_u32_e32 v0, vcc, s10, v0
	v_subb_co_u32_e32 v1, vcc, v1, v2, vcc
	v_mul_lo_u32 v2, v1, s8
	v_mul_lo_u32 v3, v0, s9
	v_mad_u64_u32 v[0:1], s[2:3], v0, s8, 0
	v_add3_u32 v1, v1, v3, v2
	v_or_b32_e32 v7, s36, v1
	v_cmp_ne_u64_e32 vcc, 0, v[6:7]
                                        ; implicit-def: $vgpr2_vgpr3
	s_and_saveexec_b64 s[2:3], vcc
	s_xor_b64 s[26:27], exec, s[2:3]
	s_cbranch_execz .LBB47_13
; %bb.12:                               ;   in Loop: Header=BB47_3 Depth=1
	s_ashr_i32 s28, s36, 31
	s_add_u32 s2, s33, s28
	s_mov_b32 s29, s28
	s_addc_u32 s3, s36, s28
	s_xor_b64 s[30:31], s[2:3], s[28:29]
	v_cvt_f32_u32_e32 v2, s30
	v_cvt_f32_u32_e32 v3, s31
	s_sub_u32 s29, 0, s30
	s_subb_u32 s34, 0, s31
	v_ashrrev_i32_e32 v7, 31, v1
	v_mac_f32_e32 v2, 0x4f800000, v3
	v_rcp_f32_e32 v2, v2
	v_add_co_u32_e32 v0, vcc, v0, v7
	v_xor_b32_e32 v8, v0, v7
	v_mul_f32_e32 v2, 0x5f7ffffc, v2
	v_mul_f32_e32 v3, 0x2f800000, v2
	v_trunc_f32_e32 v3, v3
	v_mac_f32_e32 v2, 0xcf800000, v3
	v_cvt_u32_f32_e32 v3, v3
	v_cvt_u32_f32_e32 v2, v2
	v_readfirstlane_b32 s35, v3
	v_readfirstlane_b32 s2, v2
	s_mul_i32 s3, s29, s35
	s_mul_hi_u32 s40, s29, s2
	s_mul_i32 s39, s34, s2
	s_add_i32 s3, s40, s3
	s_add_i32 s3, s3, s39
	s_mul_i32 s41, s29, s2
	s_mul_i32 s40, s2, s3
	s_mul_hi_u32 s42, s2, s41
	s_mul_hi_u32 s39, s2, s3
	s_add_u32 s40, s42, s40
	s_addc_u32 s39, 0, s39
	s_mul_hi_u32 s43, s35, s41
	s_mul_i32 s41, s35, s41
	s_add_u32 s40, s40, s41
	s_mul_hi_u32 s42, s35, s3
	s_addc_u32 s39, s39, s43
	s_addc_u32 s40, s42, 0
	s_mul_i32 s3, s35, s3
	s_add_u32 s3, s39, s3
	s_addc_u32 s39, 0, s40
	s_add_u32 s40, s2, s3
	s_cselect_b64 s[2:3], -1, 0
	s_cmp_lg_u64 s[2:3], 0
	s_addc_u32 s35, s35, s39
	s_mul_i32 s2, s29, s35
	s_mul_hi_u32 s3, s29, s40
	s_add_i32 s2, s3, s2
	s_mul_i32 s34, s34, s40
	s_add_i32 s2, s2, s34
	s_mul_i32 s29, s29, s40
	s_mul_hi_u32 s34, s35, s29
	s_mul_i32 s39, s35, s29
	s_mul_i32 s42, s40, s2
	s_mul_hi_u32 s29, s40, s29
	s_mul_hi_u32 s41, s40, s2
	s_add_u32 s29, s29, s42
	s_addc_u32 s41, 0, s41
	s_add_u32 s29, s29, s39
	s_mul_hi_u32 s3, s35, s2
	s_addc_u32 s29, s41, s34
	s_addc_u32 s3, s3, 0
	s_mul_i32 s2, s35, s2
	s_add_u32 s2, s29, s2
	s_addc_u32 s29, 0, s3
	s_add_u32 s34, s40, s2
	s_cselect_b64 s[2:3], -1, 0
	s_cmp_lg_u64 s[2:3], 0
	s_addc_u32 s29, s35, s29
	v_addc_co_u32_e32 v2, vcc, v1, v7, vcc
	v_mad_u64_u32 v[0:1], s[2:3], v8, s29, 0
	v_mul_hi_u32 v3, v8, s34
	v_xor_b32_e32 v9, v2, v7
	v_add_co_u32_e32 v10, vcc, v3, v0
	v_addc_co_u32_e32 v11, vcc, 0, v1, vcc
	v_mad_u64_u32 v[0:1], s[2:3], v9, s34, 0
	v_mad_u64_u32 v[2:3], s[2:3], v9, s29, 0
	v_add_co_u32_e32 v0, vcc, v10, v0
	v_addc_co_u32_e32 v0, vcc, v11, v1, vcc
	v_addc_co_u32_e32 v1, vcc, 0, v3, vcc
	v_add_co_u32_e32 v2, vcc, v0, v2
	v_addc_co_u32_e32 v0, vcc, 0, v1, vcc
	v_mul_lo_u32 v3, s31, v2
	v_mul_lo_u32 v10, s30, v0
	v_mad_u64_u32 v[0:1], s[2:3], s30, v2, 0
	v_add3_u32 v1, v1, v10, v3
	v_sub_u32_e32 v3, v9, v1
	v_mov_b32_e32 v10, s31
	v_sub_co_u32_e32 v0, vcc, v8, v0
	v_subb_co_u32_e64 v3, s[2:3], v3, v10, vcc
	v_subrev_co_u32_e64 v8, s[2:3], s30, v0
	v_subbrev_co_u32_e64 v3, s[2:3], 0, v3, s[2:3]
	v_cmp_le_u32_e64 s[2:3], s31, v3
	v_subb_co_u32_e32 v1, vcc, v9, v1, vcc
	v_cndmask_b32_e64 v10, 0, -1, s[2:3]
	v_cmp_le_u32_e64 s[2:3], s30, v8
	v_cmp_le_u32_e32 vcc, s31, v1
	v_cndmask_b32_e64 v8, 0, -1, s[2:3]
	v_cmp_eq_u32_e64 s[2:3], s31, v3
	v_cndmask_b32_e64 v9, 0, -1, vcc
	v_cmp_le_u32_e32 vcc, s30, v0
	v_cndmask_b32_e64 v3, v10, v8, s[2:3]
	v_cndmask_b32_e64 v0, 0, -1, vcc
	v_cmp_eq_u32_e32 vcc, s31, v1
	v_add_co_u32_e64 v8, s[2:3], 2, v2
	v_add_co_u32_e64 v10, s[2:3], 1, v2
	v_cndmask_b32_e32 v0, v9, v0, vcc
	v_cmp_ne_u32_e32 vcc, 0, v3
	v_cndmask_b32_e32 v1, v10, v8, vcc
	v_cmp_ne_u32_e32 vcc, 0, v0
	v_cndmask_b32_e32 v0, v2, v1, vcc
	v_xor_b32_e32 v1, s28, v7
	v_xor_b32_e32 v0, v0, v1
	v_sub_co_u32_e32 v2, vcc, v0, v1
                                        ; implicit-def: $vgpr0_vgpr1
.LBB47_13:                              ;   in Loop: Header=BB47_3 Depth=1
	s_andn2_saveexec_b64 s[2:3], s[26:27]
	s_cbranch_execz .LBB47_15
; %bb.14:                               ;   in Loop: Header=BB47_3 Depth=1
	v_cvt_f32_u32_e32 v1, s33
	s_sub_i32 s26, 0, s33
	v_rcp_iflag_f32_e32 v1, v1
	v_mul_f32_e32 v1, 0x4f7ffffe, v1
	v_cvt_u32_f32_e32 v1, v1
	v_mul_lo_u32 v2, s26, v1
	v_mul_hi_u32 v2, v1, v2
	v_add_u32_e32 v1, v1, v2
	v_mul_hi_u32 v1, v0, v1
	v_mul_lo_u32 v2, v1, s33
	v_add_u32_e32 v3, 1, v1
	v_sub_u32_e32 v0, v0, v2
	v_subrev_u32_e32 v2, s33, v0
	v_cmp_le_u32_e32 vcc, s33, v0
	v_cndmask_b32_e32 v0, v0, v2, vcc
	v_cndmask_b32_e32 v1, v1, v3, vcc
	v_add_u32_e32 v2, 1, v1
	v_cmp_le_u32_e32 vcc, s33, v0
	v_cndmask_b32_e32 v2, v1, v2, vcc
.LBB47_15:                              ;   in Loop: Header=BB47_3 Depth=1
	s_or_b64 exec, exec, s[2:3]
	v_ashrrev_i32_e32 v3, 31, v2
	v_cmp_eq_u64_e32 vcc, s[8:9], v[2:3]
	v_cndmask_b32_e64 v0, 0, 1, vcc
	v_sub_co_u32_e32 v0, vcc, v2, v0
	v_subbrev_co_u32_e32 v1, vcc, 0, v3, vcc
	v_mul_lo_u32 v2, v1, s16
	v_mul_lo_u32 v3, v0, s17
	v_mad_u64_u32 v[0:1], s[2:3], v0, s16, 0
	s_mov_b64 s[2:3], 0
	v_add3_u32 v1, v1, v3, v2
	v_lshlrev_b64 v[0:1], 3, v[0:1]
	v_mov_b32_e32 v2, s7
	v_add_co_u32_e32 v7, vcc, s6, v0
	v_addc_co_u32_e32 v8, vcc, v2, v1, vcc
	global_load_dwordx2 v[2:3], v[7:8], off
.LBB47_16:                              ;   Parent Loop BB47_3 Depth=1
                                        ; =>  This Inner Loop Header: Depth=2
	s_waitcnt vmcnt(0)
	v_add_f64 v[0:1], v[2:3], 1.0
	global_atomic_cmpswap_x2 v[0:1], v[7:8], v[0:3], off glc
	s_waitcnt vmcnt(0)
	v_cmp_eq_u64_e32 vcc, v[0:1], v[2:3]
	v_mov_b32_e32 v3, v1
	s_or_b64 s[2:3], vcc, s[2:3]
	v_mov_b32_e32 v2, v0
	s_andn2_b64 exec, exec, s[2:3]
	s_cbranch_execnz .LBB47_16
	s_branch .LBB47_2
.LBB47_17:
	s_endpgm
	.section	.rodata,"a",@progbits
	.p2align	6, 0x0
	.amdhsa_kernel _ZN2at4cuda17kernelHistogram1DIdllLi1ELi2ELin1ELNS0_23CUDAHistogramMemoryTypeE1EZNS0_21CUDA_tensor_histogramIdlLb1EEEbNS_6TensorES4_S4_lNS_14AccumulateTypeIT0_Lb1EE4typeES8_NS0_13TensorArgTypeES9_S9_EUllE0_EEvNS0_6detail10TensorInfoIT_T1_EESF_NSC_IKS6_SE_EElS8_S8_SE_T6_
		.amdhsa_group_segment_fixed_size 0
		.amdhsa_private_segment_fixed_size 0
		.amdhsa_kernarg_size 1544
		.amdhsa_user_sgpr_count 6
		.amdhsa_user_sgpr_private_segment_buffer 1
		.amdhsa_user_sgpr_dispatch_ptr 0
		.amdhsa_user_sgpr_queue_ptr 0
		.amdhsa_user_sgpr_kernarg_segment_ptr 1
		.amdhsa_user_sgpr_dispatch_id 0
		.amdhsa_user_sgpr_flat_scratch_init 0
		.amdhsa_user_sgpr_private_segment_size 0
		.amdhsa_uses_dynamic_stack 0
		.amdhsa_system_sgpr_private_segment_wavefront_offset 0
		.amdhsa_system_sgpr_workgroup_id_x 1
		.amdhsa_system_sgpr_workgroup_id_y 0
		.amdhsa_system_sgpr_workgroup_id_z 0
		.amdhsa_system_sgpr_workgroup_info 0
		.amdhsa_system_vgpr_workitem_id 0
		.amdhsa_next_free_vgpr 18
		.amdhsa_next_free_sgpr 47
		.amdhsa_reserve_vcc 1
		.amdhsa_reserve_flat_scratch 0
		.amdhsa_float_round_mode_32 0
		.amdhsa_float_round_mode_16_64 0
		.amdhsa_float_denorm_mode_32 3
		.amdhsa_float_denorm_mode_16_64 3
		.amdhsa_dx10_clamp 1
		.amdhsa_ieee_mode 1
		.amdhsa_fp16_overflow 0
		.amdhsa_exception_fp_ieee_invalid_op 0
		.amdhsa_exception_fp_denorm_src 0
		.amdhsa_exception_fp_ieee_div_zero 0
		.amdhsa_exception_fp_ieee_overflow 0
		.amdhsa_exception_fp_ieee_underflow 0
		.amdhsa_exception_fp_ieee_inexact 0
		.amdhsa_exception_int_div_zero 0
	.end_amdhsa_kernel
	.section	.text._ZN2at4cuda17kernelHistogram1DIdllLi1ELi2ELin1ELNS0_23CUDAHistogramMemoryTypeE1EZNS0_21CUDA_tensor_histogramIdlLb1EEEbNS_6TensorES4_S4_lNS_14AccumulateTypeIT0_Lb1EE4typeES8_NS0_13TensorArgTypeES9_S9_EUllE0_EEvNS0_6detail10TensorInfoIT_T1_EESF_NSC_IKS6_SE_EElS8_S8_SE_T6_,"axG",@progbits,_ZN2at4cuda17kernelHistogram1DIdllLi1ELi2ELin1ELNS0_23CUDAHistogramMemoryTypeE1EZNS0_21CUDA_tensor_histogramIdlLb1EEEbNS_6TensorES4_S4_lNS_14AccumulateTypeIT0_Lb1EE4typeES8_NS0_13TensorArgTypeES9_S9_EUllE0_EEvNS0_6detail10TensorInfoIT_T1_EESF_NSC_IKS6_SE_EElS8_S8_SE_T6_,comdat
.Lfunc_end47:
	.size	_ZN2at4cuda17kernelHistogram1DIdllLi1ELi2ELin1ELNS0_23CUDAHistogramMemoryTypeE1EZNS0_21CUDA_tensor_histogramIdlLb1EEEbNS_6TensorES4_S4_lNS_14AccumulateTypeIT0_Lb1EE4typeES8_NS0_13TensorArgTypeES9_S9_EUllE0_EEvNS0_6detail10TensorInfoIT_T1_EESF_NSC_IKS6_SE_EElS8_S8_SE_T6_, .Lfunc_end47-_ZN2at4cuda17kernelHistogram1DIdllLi1ELi2ELin1ELNS0_23CUDAHistogramMemoryTypeE1EZNS0_21CUDA_tensor_histogramIdlLb1EEEbNS_6TensorES4_S4_lNS_14AccumulateTypeIT0_Lb1EE4typeES8_NS0_13TensorArgTypeES9_S9_EUllE0_EEvNS0_6detail10TensorInfoIT_T1_EESF_NSC_IKS6_SE_EElS8_S8_SE_T6_
                                        ; -- End function
	.set _ZN2at4cuda17kernelHistogram1DIdllLi1ELi2ELin1ELNS0_23CUDAHistogramMemoryTypeE1EZNS0_21CUDA_tensor_histogramIdlLb1EEEbNS_6TensorES4_S4_lNS_14AccumulateTypeIT0_Lb1EE4typeES8_NS0_13TensorArgTypeES9_S9_EUllE0_EEvNS0_6detail10TensorInfoIT_T1_EESF_NSC_IKS6_SE_EElS8_S8_SE_T6_.num_vgpr, 18
	.set _ZN2at4cuda17kernelHistogram1DIdllLi1ELi2ELin1ELNS0_23CUDAHistogramMemoryTypeE1EZNS0_21CUDA_tensor_histogramIdlLb1EEEbNS_6TensorES4_S4_lNS_14AccumulateTypeIT0_Lb1EE4typeES8_NS0_13TensorArgTypeES9_S9_EUllE0_EEvNS0_6detail10TensorInfoIT_T1_EESF_NSC_IKS6_SE_EElS8_S8_SE_T6_.num_agpr, 0
	.set _ZN2at4cuda17kernelHistogram1DIdllLi1ELi2ELin1ELNS0_23CUDAHistogramMemoryTypeE1EZNS0_21CUDA_tensor_histogramIdlLb1EEEbNS_6TensorES4_S4_lNS_14AccumulateTypeIT0_Lb1EE4typeES8_NS0_13TensorArgTypeES9_S9_EUllE0_EEvNS0_6detail10TensorInfoIT_T1_EESF_NSC_IKS6_SE_EElS8_S8_SE_T6_.numbered_sgpr, 47
	.set _ZN2at4cuda17kernelHistogram1DIdllLi1ELi2ELin1ELNS0_23CUDAHistogramMemoryTypeE1EZNS0_21CUDA_tensor_histogramIdlLb1EEEbNS_6TensorES4_S4_lNS_14AccumulateTypeIT0_Lb1EE4typeES8_NS0_13TensorArgTypeES9_S9_EUllE0_EEvNS0_6detail10TensorInfoIT_T1_EESF_NSC_IKS6_SE_EElS8_S8_SE_T6_.num_named_barrier, 0
	.set _ZN2at4cuda17kernelHistogram1DIdllLi1ELi2ELin1ELNS0_23CUDAHistogramMemoryTypeE1EZNS0_21CUDA_tensor_histogramIdlLb1EEEbNS_6TensorES4_S4_lNS_14AccumulateTypeIT0_Lb1EE4typeES8_NS0_13TensorArgTypeES9_S9_EUllE0_EEvNS0_6detail10TensorInfoIT_T1_EESF_NSC_IKS6_SE_EElS8_S8_SE_T6_.private_seg_size, 0
	.set _ZN2at4cuda17kernelHistogram1DIdllLi1ELi2ELin1ELNS0_23CUDAHistogramMemoryTypeE1EZNS0_21CUDA_tensor_histogramIdlLb1EEEbNS_6TensorES4_S4_lNS_14AccumulateTypeIT0_Lb1EE4typeES8_NS0_13TensorArgTypeES9_S9_EUllE0_EEvNS0_6detail10TensorInfoIT_T1_EESF_NSC_IKS6_SE_EElS8_S8_SE_T6_.uses_vcc, 1
	.set _ZN2at4cuda17kernelHistogram1DIdllLi1ELi2ELin1ELNS0_23CUDAHistogramMemoryTypeE1EZNS0_21CUDA_tensor_histogramIdlLb1EEEbNS_6TensorES4_S4_lNS_14AccumulateTypeIT0_Lb1EE4typeES8_NS0_13TensorArgTypeES9_S9_EUllE0_EEvNS0_6detail10TensorInfoIT_T1_EESF_NSC_IKS6_SE_EElS8_S8_SE_T6_.uses_flat_scratch, 0
	.set _ZN2at4cuda17kernelHistogram1DIdllLi1ELi2ELin1ELNS0_23CUDAHistogramMemoryTypeE1EZNS0_21CUDA_tensor_histogramIdlLb1EEEbNS_6TensorES4_S4_lNS_14AccumulateTypeIT0_Lb1EE4typeES8_NS0_13TensorArgTypeES9_S9_EUllE0_EEvNS0_6detail10TensorInfoIT_T1_EESF_NSC_IKS6_SE_EElS8_S8_SE_T6_.has_dyn_sized_stack, 0
	.set _ZN2at4cuda17kernelHistogram1DIdllLi1ELi2ELin1ELNS0_23CUDAHistogramMemoryTypeE1EZNS0_21CUDA_tensor_histogramIdlLb1EEEbNS_6TensorES4_S4_lNS_14AccumulateTypeIT0_Lb1EE4typeES8_NS0_13TensorArgTypeES9_S9_EUllE0_EEvNS0_6detail10TensorInfoIT_T1_EESF_NSC_IKS6_SE_EElS8_S8_SE_T6_.has_recursion, 0
	.set _ZN2at4cuda17kernelHistogram1DIdllLi1ELi2ELin1ELNS0_23CUDAHistogramMemoryTypeE1EZNS0_21CUDA_tensor_histogramIdlLb1EEEbNS_6TensorES4_S4_lNS_14AccumulateTypeIT0_Lb1EE4typeES8_NS0_13TensorArgTypeES9_S9_EUllE0_EEvNS0_6detail10TensorInfoIT_T1_EESF_NSC_IKS6_SE_EElS8_S8_SE_T6_.has_indirect_call, 0
	.section	.AMDGPU.csdata,"",@progbits
; Kernel info:
; codeLenInByte = 2120
; TotalNumSgprs: 51
; NumVgprs: 18
; ScratchSize: 0
; MemoryBound: 0
; FloatMode: 240
; IeeeMode: 1
; LDSByteSize: 0 bytes/workgroup (compile time only)
; SGPRBlocks: 6
; VGPRBlocks: 4
; NumSGPRsForWavesPerEU: 51
; NumVGPRsForWavesPerEU: 18
; Occupancy: 10
; WaveLimiterHint : 1
; COMPUTE_PGM_RSRC2:SCRATCH_EN: 0
; COMPUTE_PGM_RSRC2:USER_SGPR: 6
; COMPUTE_PGM_RSRC2:TRAP_HANDLER: 0
; COMPUTE_PGM_RSRC2:TGID_X_EN: 1
; COMPUTE_PGM_RSRC2:TGID_Y_EN: 0
; COMPUTE_PGM_RSRC2:TGID_Z_EN: 0
; COMPUTE_PGM_RSRC2:TIDIG_COMP_CNT: 0
	.section	.text._ZN2at4cuda17kernelHistogram1DIfslLi1ELi2ELin1ELNS0_23CUDAHistogramMemoryTypeE0EZNS0_21CUDA_tensor_histogramIfsLb1EEEbNS_6TensorES4_S4_lNS_14AccumulateTypeIT0_Lb1EE4typeES8_NS0_13TensorArgTypeES9_S9_EUllE_EEvNS0_6detail10TensorInfoIT_T1_EESF_NSC_IKS6_SE_EElS8_S8_SE_T6_,"axG",@progbits,_ZN2at4cuda17kernelHistogram1DIfslLi1ELi2ELin1ELNS0_23CUDAHistogramMemoryTypeE0EZNS0_21CUDA_tensor_histogramIfsLb1EEEbNS_6TensorES4_S4_lNS_14AccumulateTypeIT0_Lb1EE4typeES8_NS0_13TensorArgTypeES9_S9_EUllE_EEvNS0_6detail10TensorInfoIT_T1_EESF_NSC_IKS6_SE_EElS8_S8_SE_T6_,comdat
	.protected	_ZN2at4cuda17kernelHistogram1DIfslLi1ELi2ELin1ELNS0_23CUDAHistogramMemoryTypeE0EZNS0_21CUDA_tensor_histogramIfsLb1EEEbNS_6TensorES4_S4_lNS_14AccumulateTypeIT0_Lb1EE4typeES8_NS0_13TensorArgTypeES9_S9_EUllE_EEvNS0_6detail10TensorInfoIT_T1_EESF_NSC_IKS6_SE_EElS8_S8_SE_T6_ ; -- Begin function _ZN2at4cuda17kernelHistogram1DIfslLi1ELi2ELin1ELNS0_23CUDAHistogramMemoryTypeE0EZNS0_21CUDA_tensor_histogramIfsLb1EEEbNS_6TensorES4_S4_lNS_14AccumulateTypeIT0_Lb1EE4typeES8_NS0_13TensorArgTypeES9_S9_EUllE_EEvNS0_6detail10TensorInfoIT_T1_EESF_NSC_IKS6_SE_EElS8_S8_SE_T6_
	.globl	_ZN2at4cuda17kernelHistogram1DIfslLi1ELi2ELin1ELNS0_23CUDAHistogramMemoryTypeE0EZNS0_21CUDA_tensor_histogramIfsLb1EEEbNS_6TensorES4_S4_lNS_14AccumulateTypeIT0_Lb1EE4typeES8_NS0_13TensorArgTypeES9_S9_EUllE_EEvNS0_6detail10TensorInfoIT_T1_EESF_NSC_IKS6_SE_EElS8_S8_SE_T6_
	.p2align	8
	.type	_ZN2at4cuda17kernelHistogram1DIfslLi1ELi2ELin1ELNS0_23CUDAHistogramMemoryTypeE0EZNS0_21CUDA_tensor_histogramIfsLb1EEEbNS_6TensorES4_S4_lNS_14AccumulateTypeIT0_Lb1EE4typeES8_NS0_13TensorArgTypeES9_S9_EUllE_EEvNS0_6detail10TensorInfoIT_T1_EESF_NSC_IKS6_SE_EElS8_S8_SE_T6_,@function
_ZN2at4cuda17kernelHistogram1DIfslLi1ELi2ELin1ELNS0_23CUDAHistogramMemoryTypeE0EZNS0_21CUDA_tensor_histogramIfsLb1EEEbNS_6TensorES4_S4_lNS_14AccumulateTypeIT0_Lb1EE4typeES8_NS0_13TensorArgTypeES9_S9_EUllE_EEvNS0_6detail10TensorInfoIT_T1_EESF_NSC_IKS6_SE_EElS8_S8_SE_T6_: ; @_ZN2at4cuda17kernelHistogram1DIfslLi1ELi2ELin1ELNS0_23CUDAHistogramMemoryTypeE0EZNS0_21CUDA_tensor_histogramIfsLb1EEEbNS_6TensorES4_S4_lNS_14AccumulateTypeIT0_Lb1EE4typeES8_NS0_13TensorArgTypeES9_S9_EUllE_EEvNS0_6detail10TensorInfoIT_T1_EESF_NSC_IKS6_SE_EElS8_S8_SE_T6_
; %bb.0:
	s_load_dwordx4 s[16:19], s[4:5], 0x0
	s_load_dwordx2 s[22:23], s[4:5], 0x500
	s_load_dwordx8 s[8:15], s[4:5], 0x4e0
	v_mov_b32_e32 v1, 0
	s_add_u32 s2, s4, 0x6a0
	s_waitcnt lgkmcnt(0)
	v_cmp_gt_i64_e64 s[0:1], s[18:19], v[0:1]
	v_cmp_le_i64_e32 vcc, s[18:19], v[0:1]
	s_addc_u32 s3, s5, 0
                                        ; implicit-def: $sgpr28
                                        ; implicit-def: $sgpr7
	s_and_saveexec_b64 s[20:21], vcc
	s_xor_b64 s[20:21], exec, s[20:21]
	s_cbranch_execz .LBB48_2
; %bb.1:
	s_load_dword s28, s[2:3], 0xc
	s_waitcnt lgkmcnt(0)
	s_and_b32 s7, s28, 0xffff
.LBB48_2:
	s_or_saveexec_b64 s[26:27], s[20:21]
	s_load_dwordx2 s[20:21], s[4:5], 0xd0
	s_load_dwordx2 s[24:25], s[4:5], 0x5d0
	v_mov_b32_e32 v12, s28
	v_mov_b32_e32 v5, s7
	s_xor_b64 exec, exec, s[26:27]
	s_cbranch_execz .LBB48_6
; %bb.3:
	s_load_dword s7, s[2:3], 0xc
	v_mov_b32_e32 v3, v1
	v_lshl_add_u32 v4, v0, 2, 0
	s_mov_b64 s[28:29], 0
	v_mov_b32_e32 v5, 0
	s_waitcnt lgkmcnt(0)
	s_and_b32 s30, s7, 0xffff
	s_lshl_b32 s31, s30, 2
	v_mov_b32_e32 v2, v0
.LBB48_4:                               ; =>This Inner Loop Header: Depth=1
	v_add_co_u32_e32 v2, vcc, s30, v2
	v_addc_co_u32_e32 v3, vcc, 0, v3, vcc
	v_cmp_le_i64_e32 vcc, s[18:19], v[2:3]
	ds_write_b32 v4, v5
	s_or_b64 s[28:29], vcc, s[28:29]
	v_add_u32_e32 v4, s31, v4
	s_andn2_b64 exec, exec, s[28:29]
	s_cbranch_execnz .LBB48_4
; %bb.5:
	s_or_b64 exec, exec, s[28:29]
	v_mov_b32_e32 v12, s7
	v_mov_b32_e32 v5, s30
.LBB48_6:
	s_or_b64 exec, exec, s[26:27]
	v_mad_u64_u32 v[2:3], s[6:7], s6, v5, v[0:1]
	v_mov_b32_e32 v4, 0
	v_mov_b32_e32 v3, v4
	v_cmp_gt_i64_e32 vcc, s[14:15], v[2:3]
	s_waitcnt lgkmcnt(0)
	s_barrier
	s_and_saveexec_b64 s[6:7], vcc
	s_cbranch_execz .LBB48_22
; %bb.7:
	s_load_dword s30, s[4:5], 0x4d8
	s_load_dwordx2 s[28:29], s[4:5], 0x340
	s_add_u32 s31, s4, 0x340
	s_addc_u32 s35, s5, 0
	s_load_dword s34, s[2:3], 0x0
	s_load_dwordx2 s[26:27], s[4:5], 0x410
	s_waitcnt lgkmcnt(0)
	s_cmp_gt_i32 s30, 1
	s_cselect_b64 s[2:3], -1, 0
	s_sub_u32 s33, s12, s10
	s_subb_u32 s46, s13, s11
	s_mov_b32 s5, 0
	s_add_i32 s4, s30, -1
	s_add_i32 s47, s30, 1
	s_lshl_b64 s[4:5], s[4:5], 3
	v_mul_lo_u32 v13, s34, v5
	s_add_u32 s4, s31, s4
	s_addc_u32 s5, s35, s5
	s_add_u32 s30, s4, 8
	v_cndmask_b32_e64 v5, 0, 1, s[2:3]
	s_addc_u32 s31, s5, 0
	s_mov_b64 s[34:35], 0
	v_cmp_ne_u32_e64 s[2:3], 1, v5
	s_branch .LBB48_10
.LBB48_8:                               ;   in Loop: Header=BB48_10 Depth=1
	s_or_b64 exec, exec, s[4:5]
	v_mul_lo_u32 v7, v3, s24
	v_mul_lo_u32 v9, v2, s25
	v_mad_u64_u32 v[5:6], s[4:5], v2, s24, 0
	v_add3_u32 v6, v6, v9, v7
	v_lshlrev_b64 v[5:6], 2, v[5:6]
	v_mov_b32_e32 v7, s23
	v_add_co_u32_e32 v5, vcc, s22, v5
	v_addc_co_u32_e32 v6, vcc, v7, v6, vcc
	global_load_dword v5, v[5:6], off
	v_ashrrev_i32_e32 v9, 31, v8
	v_cmp_eq_u64_e32 vcc, s[8:9], v[8:9]
	v_subbrev_co_u32_e32 v6, vcc, 0, v8, vcc
	v_lshl_add_u32 v6, v6, 2, 0
	s_waitcnt vmcnt(0)
	ds_add_f32 v6, v5
.LBB48_9:                               ;   in Loop: Header=BB48_10 Depth=1
	s_or_b64 exec, exec, s[36:37]
	v_add_co_u32_e32 v2, vcc, v2, v13
	v_addc_co_u32_e32 v3, vcc, 0, v3, vcc
	v_cmp_le_i64_e32 vcc, s[14:15], v[2:3]
	s_or_b64 s[34:35], vcc, s[34:35]
	s_andn2_b64 exec, exec, s[34:35]
	s_cbranch_execz .LBB48_22
.LBB48_10:                              ; =>This Loop Header: Depth=1
                                        ;     Child Loop BB48_11 Depth 2
	v_mov_b32_e32 v6, 0
	v_mov_b32_e32 v9, v3
	;; [unrolled: 1-line block ×4, first 2 shown]
	s_and_b64 vcc, exec, s[2:3]
	s_mov_b64 s[36:37], s[30:31]
	s_mov_b32 s48, s47
	v_mov_b32_e32 v8, v2
	v_mov_b32_e32 v10, v2
	s_cbranch_vccnz .LBB48_17
.LBB48_11:                              ;   Parent Loop BB48_10 Depth=1
                                        ; =>  This Inner Loop Header: Depth=2
	s_load_dwordx2 s[38:39], s[36:37], 0x0
                                        ; implicit-def: $vgpr10_vgpr11
	s_waitcnt lgkmcnt(0)
	v_or_b32_e32 v5, s39, v9
	v_cmp_ne_u64_e32 vcc, 0, v[4:5]
	s_and_saveexec_b64 s[4:5], vcc
	s_xor_b64 s[40:41], exec, s[4:5]
	s_cbranch_execz .LBB48_13
; %bb.12:                               ;   in Loop: Header=BB48_11 Depth=2
	s_ashr_i32 s42, s39, 31
	s_add_u32 s4, s38, s42
	s_mov_b32 s43, s42
	s_addc_u32 s5, s39, s42
	s_xor_b64 s[44:45], s[4:5], s[42:43]
	v_cvt_f32_u32_e32 v5, s44
	v_cvt_f32_u32_e32 v10, s45
	s_sub_u32 s43, 0, s44
	s_subb_u32 s49, 0, s45
	v_mac_f32_e32 v5, 0x4f800000, v10
	v_rcp_f32_e32 v5, v5
	v_mul_f32_e32 v5, 0x5f7ffffc, v5
	v_mul_f32_e32 v10, 0x2f800000, v5
	v_trunc_f32_e32 v10, v10
	v_mac_f32_e32 v5, 0xcf800000, v10
	v_cvt_u32_f32_e32 v10, v10
	v_cvt_u32_f32_e32 v5, v5
	v_readfirstlane_b32 s50, v10
	v_readfirstlane_b32 s4, v5
	s_mul_i32 s5, s43, s50
	s_mul_hi_u32 s52, s43, s4
	s_mul_i32 s51, s49, s4
	s_add_i32 s5, s52, s5
	s_add_i32 s5, s5, s51
	s_mul_i32 s53, s43, s4
	s_mul_i32 s52, s4, s5
	s_mul_hi_u32 s54, s4, s53
	s_mul_hi_u32 s51, s4, s5
	s_add_u32 s52, s54, s52
	s_addc_u32 s51, 0, s51
	s_mul_hi_u32 s55, s50, s53
	s_mul_i32 s53, s50, s53
	s_add_u32 s52, s52, s53
	s_mul_hi_u32 s54, s50, s5
	s_addc_u32 s51, s51, s55
	s_addc_u32 s52, s54, 0
	s_mul_i32 s5, s50, s5
	s_add_u32 s5, s51, s5
	s_addc_u32 s51, 0, s52
	s_add_u32 s52, s4, s5
	s_cselect_b64 s[4:5], -1, 0
	s_cmp_lg_u64 s[4:5], 0
	s_addc_u32 s50, s50, s51
	s_mul_i32 s4, s43, s50
	s_mul_hi_u32 s5, s43, s52
	s_add_i32 s4, s5, s4
	s_mul_i32 s49, s49, s52
	s_add_i32 s4, s4, s49
	s_mul_i32 s43, s43, s52
	s_mul_hi_u32 s49, s50, s43
	s_mul_i32 s51, s50, s43
	s_mul_i32 s54, s52, s4
	s_mul_hi_u32 s43, s52, s43
	s_mul_hi_u32 s53, s52, s4
	s_add_u32 s43, s43, s54
	s_addc_u32 s53, 0, s53
	s_add_u32 s43, s43, s51
	s_mul_hi_u32 s5, s50, s4
	s_addc_u32 s43, s53, s49
	s_addc_u32 s5, s5, 0
	s_mul_i32 s4, s50, s4
	s_add_u32 s4, s43, s4
	s_addc_u32 s43, 0, s5
	s_add_u32 s49, s52, s4
	s_cselect_b64 s[4:5], -1, 0
	v_ashrrev_i32_e32 v5, 31, v9
	s_cmp_lg_u64 s[4:5], 0
	v_add_co_u32_e32 v10, vcc, v8, v5
	s_addc_u32 s43, s50, s43
	v_xor_b32_e32 v16, v10, v5
	v_mad_u64_u32 v[10:11], s[4:5], v16, s43, 0
	v_mul_hi_u32 v15, v16, s49
	v_addc_co_u32_e32 v14, vcc, v9, v5, vcc
	v_xor_b32_e32 v17, v14, v5
	v_add_co_u32_e32 v18, vcc, v15, v10
	v_addc_co_u32_e32 v19, vcc, 0, v11, vcc
	v_mad_u64_u32 v[10:11], s[4:5], v17, s49, 0
	v_mad_u64_u32 v[14:15], s[4:5], v17, s43, 0
	v_add_co_u32_e32 v10, vcc, v18, v10
	v_addc_co_u32_e32 v10, vcc, v19, v11, vcc
	v_addc_co_u32_e32 v11, vcc, 0, v15, vcc
	v_add_co_u32_e32 v14, vcc, v10, v14
	v_addc_co_u32_e32 v15, vcc, 0, v11, vcc
	v_mul_lo_u32 v18, s45, v14
	v_mul_lo_u32 v19, s44, v15
	v_mad_u64_u32 v[10:11], s[4:5], s44, v14, 0
	v_xor_b32_e32 v5, s42, v5
	v_add3_u32 v11, v11, v19, v18
	v_sub_u32_e32 v18, v17, v11
	v_mov_b32_e32 v19, s45
	v_sub_co_u32_e32 v10, vcc, v16, v10
	v_subb_co_u32_e64 v16, s[4:5], v18, v19, vcc
	v_subrev_co_u32_e64 v18, s[4:5], s44, v10
	v_subbrev_co_u32_e64 v16, s[4:5], 0, v16, s[4:5]
	v_cmp_le_u32_e64 s[4:5], s45, v16
	v_cndmask_b32_e64 v19, 0, -1, s[4:5]
	v_cmp_le_u32_e64 s[4:5], s44, v18
	v_cndmask_b32_e64 v18, 0, -1, s[4:5]
	v_cmp_eq_u32_e64 s[4:5], s45, v16
	v_cndmask_b32_e64 v16, v19, v18, s[4:5]
	v_add_co_u32_e64 v18, s[4:5], 2, v14
	v_subb_co_u32_e32 v11, vcc, v17, v11, vcc
	v_addc_co_u32_e64 v19, s[4:5], 0, v15, s[4:5]
	v_cmp_le_u32_e32 vcc, s45, v11
	v_add_co_u32_e64 v20, s[4:5], 1, v14
	v_cndmask_b32_e64 v17, 0, -1, vcc
	v_cmp_le_u32_e32 vcc, s44, v10
	v_addc_co_u32_e64 v21, s[4:5], 0, v15, s[4:5]
	v_cndmask_b32_e64 v10, 0, -1, vcc
	v_cmp_eq_u32_e32 vcc, s45, v11
	v_cmp_ne_u32_e64 s[4:5], 0, v16
	v_cndmask_b32_e32 v10, v17, v10, vcc
	v_cndmask_b32_e64 v16, v21, v19, s[4:5]
	v_cmp_ne_u32_e32 vcc, 0, v10
	v_cndmask_b32_e64 v11, v20, v18, s[4:5]
	v_cndmask_b32_e32 v10, v15, v16, vcc
	v_cndmask_b32_e32 v11, v14, v11, vcc
	v_xor_b32_e32 v14, v10, v5
	v_xor_b32_e32 v10, v11, v5
	v_sub_co_u32_e32 v10, vcc, v10, v5
	v_subb_co_u32_e32 v11, vcc, v14, v5, vcc
.LBB48_13:                              ;   in Loop: Header=BB48_11 Depth=2
	s_andn2_saveexec_b64 s[4:5], s[40:41]
	s_cbranch_execz .LBB48_15
; %bb.14:                               ;   in Loop: Header=BB48_11 Depth=2
	v_cvt_f32_u32_e32 v5, s38
	s_sub_i32 s40, 0, s38
	v_rcp_iflag_f32_e32 v5, v5
	v_mul_f32_e32 v5, 0x4f7ffffe, v5
	v_cvt_u32_f32_e32 v5, v5
	v_mul_lo_u32 v10, s40, v5
	v_mul_hi_u32 v10, v5, v10
	v_add_u32_e32 v5, v5, v10
	v_mul_hi_u32 v5, v8, v5
	v_mul_lo_u32 v10, v5, s38
	v_add_u32_e32 v11, 1, v5
	v_sub_u32_e32 v10, v8, v10
	v_subrev_u32_e32 v14, s38, v10
	v_cmp_le_u32_e32 vcc, s38, v10
	v_cndmask_b32_e32 v10, v10, v14, vcc
	v_cndmask_b32_e32 v5, v5, v11, vcc
	v_add_u32_e32 v11, 1, v5
	v_cmp_le_u32_e32 vcc, s38, v10
	v_cndmask_b32_e32 v10, v5, v11, vcc
	v_mov_b32_e32 v11, v4
.LBB48_15:                              ;   in Loop: Header=BB48_11 Depth=2
	s_or_b64 exec, exec, s[4:5]
	v_mul_lo_u32 v5, v11, s38
	v_mul_lo_u32 v16, v10, s39
	v_mad_u64_u32 v[14:15], s[4:5], v10, s38, 0
	s_load_dwordx2 s[4:5], s[36:37], 0xc8
	s_add_i32 s48, s48, -1
	v_add3_u32 v5, v15, v16, v5
	v_sub_co_u32_e32 v8, vcc, v8, v14
	v_subb_co_u32_e32 v5, vcc, v9, v5, vcc
	s_waitcnt lgkmcnt(0)
	v_mul_lo_u32 v5, s4, v5
	v_mul_lo_u32 v9, s5, v8
	v_mad_u64_u32 v[6:7], s[4:5], s4, v8, v[6:7]
	s_add_u32 s36, s36, -8
	s_addc_u32 s37, s37, -1
	s_cmp_gt_u32 s48, 2
	v_add3_u32 v7, v9, v7, v5
	s_cbranch_scc0 .LBB48_17
; %bb.16:                               ;   in Loop: Header=BB48_11 Depth=2
	v_mov_b32_e32 v8, v10
	v_mov_b32_e32 v9, v11
	s_branch .LBB48_11
.LBB48_17:                              ;   in Loop: Header=BB48_10 Depth=1
	v_mul_lo_u32 v5, s27, v10
	v_mul_lo_u32 v11, s26, v11
	v_mad_u64_u32 v[8:9], s[4:5], s26, v10, 0
	v_add3_u32 v9, v9, v11, v5
	v_lshlrev_b64 v[8:9], 1, v[8:9]
	v_mov_b32_e32 v5, s29
	v_add_co_u32_e32 v8, vcc, s28, v8
	v_addc_co_u32_e32 v9, vcc, v5, v9, vcc
	v_lshlrev_b64 v[5:6], 1, v[6:7]
	v_add_co_u32_e32 v5, vcc, v8, v5
	v_addc_co_u32_e32 v6, vcc, v9, v6, vcc
	global_load_ushort v5, v[5:6], off
	s_waitcnt vmcnt(0)
	v_bfe_i32 v5, v5, 0, 16
	v_ashrrev_i32_e32 v6, 31, v5
	v_cmp_le_i64_e32 vcc, s[10:11], v[5:6]
	v_cmp_ge_i64_e64 s[4:5], s[12:13], v[5:6]
	s_and_b64 s[4:5], vcc, s[4:5]
	s_and_saveexec_b64 s[36:37], s[4:5]
	s_cbranch_execz .LBB48_9
; %bb.18:                               ;   in Loop: Header=BB48_10 Depth=1
	v_mov_b32_e32 v7, s11
	v_subrev_co_u32_e32 v5, vcc, s10, v5
	v_subb_co_u32_e32 v6, vcc, v6, v7, vcc
	v_mul_lo_u32 v8, v6, s8
	v_mul_lo_u32 v9, v5, s9
	v_mad_u64_u32 v[6:7], s[4:5], v5, s8, 0
	v_add3_u32 v7, v7, v9, v8
	v_or_b32_e32 v5, s46, v7
	v_cmp_ne_u64_e32 vcc, 0, v[4:5]
                                        ; implicit-def: $vgpr8_vgpr9
	s_and_saveexec_b64 s[4:5], vcc
	s_xor_b64 s[38:39], exec, s[4:5]
	s_cbranch_execz .LBB48_20
; %bb.19:                               ;   in Loop: Header=BB48_10 Depth=1
	s_ashr_i32 s40, s46, 31
	s_add_u32 s4, s33, s40
	s_mov_b32 s41, s40
	s_addc_u32 s5, s46, s40
	s_xor_b64 s[42:43], s[4:5], s[40:41]
	v_cvt_f32_u32_e32 v5, s42
	v_cvt_f32_u32_e32 v8, s43
	s_sub_u32 s41, 0, s42
	s_subb_u32 s44, 0, s43
	v_ashrrev_i32_e32 v9, 31, v7
	v_mac_f32_e32 v5, 0x4f800000, v8
	v_rcp_f32_e32 v5, v5
	v_mul_f32_e32 v5, 0x5f7ffffc, v5
	v_mul_f32_e32 v8, 0x2f800000, v5
	v_trunc_f32_e32 v8, v8
	v_mac_f32_e32 v5, 0xcf800000, v8
	v_cvt_u32_f32_e32 v8, v8
	v_cvt_u32_f32_e32 v5, v5
	v_readfirstlane_b32 s45, v8
	v_readfirstlane_b32 s4, v5
	s_mul_i32 s5, s41, s45
	s_mul_hi_u32 s49, s41, s4
	s_mul_i32 s48, s44, s4
	s_add_i32 s5, s49, s5
	s_add_i32 s5, s5, s48
	s_mul_i32 s50, s41, s4
	s_mul_i32 s49, s4, s5
	s_mul_hi_u32 s51, s4, s50
	s_mul_hi_u32 s48, s4, s5
	s_add_u32 s49, s51, s49
	s_addc_u32 s48, 0, s48
	s_mul_hi_u32 s52, s45, s50
	s_mul_i32 s50, s45, s50
	s_add_u32 s49, s49, s50
	s_mul_hi_u32 s51, s45, s5
	s_addc_u32 s48, s48, s52
	s_addc_u32 s49, s51, 0
	s_mul_i32 s5, s45, s5
	s_add_u32 s5, s48, s5
	s_addc_u32 s48, 0, s49
	s_add_u32 s49, s4, s5
	s_cselect_b64 s[4:5], -1, 0
	s_cmp_lg_u64 s[4:5], 0
	s_addc_u32 s45, s45, s48
	s_mul_i32 s4, s41, s45
	s_mul_hi_u32 s5, s41, s49
	s_add_i32 s4, s5, s4
	s_mul_i32 s44, s44, s49
	s_add_i32 s4, s4, s44
	s_mul_i32 s41, s41, s49
	s_mul_hi_u32 s44, s45, s41
	s_mul_i32 s48, s45, s41
	s_mul_i32 s51, s49, s4
	s_mul_hi_u32 s41, s49, s41
	s_mul_hi_u32 s50, s49, s4
	s_add_u32 s41, s41, s51
	s_addc_u32 s50, 0, s50
	s_add_u32 s41, s41, s48
	s_mul_hi_u32 s5, s45, s4
	s_addc_u32 s41, s50, s44
	s_addc_u32 s5, s5, 0
	s_mul_i32 s4, s45, s4
	s_add_u32 s4, s41, s4
	s_addc_u32 s41, 0, s5
	s_add_u32 s44, s49, s4
	s_cselect_b64 s[4:5], -1, 0
	s_cmp_lg_u64 s[4:5], 0
	v_add_co_u32_e32 v5, vcc, v6, v9
	s_addc_u32 s41, s45, s41
	v_xor_b32_e32 v10, v5, v9
	v_mad_u64_u32 v[5:6], s[4:5], v10, s41, 0
	v_mul_hi_u32 v8, v10, s44
	v_addc_co_u32_e32 v7, vcc, v7, v9, vcc
	v_xor_b32_e32 v11, v7, v9
	v_add_co_u32_e32 v14, vcc, v8, v5
	v_addc_co_u32_e32 v15, vcc, 0, v6, vcc
	v_mad_u64_u32 v[5:6], s[4:5], v11, s44, 0
	v_mad_u64_u32 v[7:8], s[4:5], v11, s41, 0
	v_add_co_u32_e32 v5, vcc, v14, v5
	v_addc_co_u32_e32 v5, vcc, v15, v6, vcc
	v_addc_co_u32_e32 v6, vcc, 0, v8, vcc
	v_add_co_u32_e32 v7, vcc, v5, v7
	v_addc_co_u32_e32 v5, vcc, 0, v6, vcc
	v_mul_lo_u32 v8, s43, v7
	v_mul_lo_u32 v14, s42, v5
	v_mad_u64_u32 v[5:6], s[4:5], s42, v7, 0
	v_add3_u32 v6, v6, v14, v8
	v_sub_u32_e32 v8, v11, v6
	v_mov_b32_e32 v14, s43
	v_sub_co_u32_e32 v5, vcc, v10, v5
	v_subb_co_u32_e64 v8, s[4:5], v8, v14, vcc
	v_subrev_co_u32_e64 v10, s[4:5], s42, v5
	v_subbrev_co_u32_e64 v8, s[4:5], 0, v8, s[4:5]
	v_cmp_le_u32_e64 s[4:5], s43, v8
	v_subb_co_u32_e32 v6, vcc, v11, v6, vcc
	v_cndmask_b32_e64 v14, 0, -1, s[4:5]
	v_cmp_le_u32_e64 s[4:5], s42, v10
	v_cmp_le_u32_e32 vcc, s43, v6
	v_cndmask_b32_e64 v10, 0, -1, s[4:5]
	v_cmp_eq_u32_e64 s[4:5], s43, v8
	v_cndmask_b32_e64 v11, 0, -1, vcc
	v_cmp_le_u32_e32 vcc, s42, v5
	v_cndmask_b32_e64 v8, v14, v10, s[4:5]
	v_cndmask_b32_e64 v5, 0, -1, vcc
	v_cmp_eq_u32_e32 vcc, s43, v6
	v_add_co_u32_e64 v10, s[4:5], 2, v7
	v_add_co_u32_e64 v14, s[4:5], 1, v7
	v_cndmask_b32_e32 v5, v11, v5, vcc
	v_cmp_ne_u32_e32 vcc, 0, v8
	v_cndmask_b32_e32 v6, v14, v10, vcc
	v_cmp_ne_u32_e32 vcc, 0, v5
	v_cndmask_b32_e32 v5, v7, v6, vcc
	v_xor_b32_e32 v6, s40, v9
	v_xor_b32_e32 v5, v5, v6
	v_sub_co_u32_e32 v8, vcc, v5, v6
                                        ; implicit-def: $vgpr6_vgpr7
.LBB48_20:                              ;   in Loop: Header=BB48_10 Depth=1
	s_andn2_saveexec_b64 s[4:5], s[38:39]
	s_cbranch_execz .LBB48_8
; %bb.21:                               ;   in Loop: Header=BB48_10 Depth=1
	v_cvt_f32_u32_e32 v5, s33
	s_sub_i32 s38, 0, s33
	v_rcp_iflag_f32_e32 v5, v5
	v_mul_f32_e32 v5, 0x4f7ffffe, v5
	v_cvt_u32_f32_e32 v5, v5
	v_mul_lo_u32 v7, s38, v5
	v_mul_hi_u32 v7, v5, v7
	v_add_u32_e32 v5, v5, v7
	v_mul_hi_u32 v5, v6, v5
	v_mul_lo_u32 v7, v5, s33
	v_add_u32_e32 v8, 1, v5
	v_sub_u32_e32 v6, v6, v7
	v_subrev_u32_e32 v7, s33, v6
	v_cmp_le_u32_e32 vcc, s33, v6
	v_cndmask_b32_e32 v6, v6, v7, vcc
	v_cndmask_b32_e32 v5, v5, v8, vcc
	v_add_u32_e32 v7, 1, v5
	v_cmp_le_u32_e32 vcc, s33, v6
	v_cndmask_b32_e32 v8, v5, v7, vcc
	s_branch .LBB48_8
.LBB48_22:
	s_or_b64 exec, exec, s[6:7]
; %bb.23:
	s_waitcnt lgkmcnt(0)
	s_barrier
	s_and_saveexec_b64 s[2:3], s[0:1]
	s_cbranch_execz .LBB48_28
; %bb.24:
	v_and_b32_e32 v6, 0xffff, v12
	s_mov_b64 s[0:1], 0
	v_mov_b32_e32 v7, s17
.LBB48_25:                              ; =>This Loop Header: Depth=1
                                        ;     Child Loop BB48_26 Depth 2
	v_mul_lo_u32 v4, v1, s20
	v_mul_lo_u32 v5, v0, s21
	v_mad_u64_u32 v[2:3], s[2:3], v0, s20, 0
	s_mov_b64 s[2:3], 0
	v_add3_u32 v3, v3, v5, v4
	v_lshlrev_b64 v[2:3], 2, v[2:3]
	v_lshl_add_u32 v4, v0, 2, 0
	v_add_co_u32_e32 v2, vcc, s16, v2
	v_addc_co_u32_e32 v3, vcc, v7, v3, vcc
	global_load_dword v5, v[2:3], off
	ds_read_b32 v8, v4
.LBB48_26:                              ;   Parent Loop BB48_25 Depth=1
                                        ; =>  This Inner Loop Header: Depth=2
	s_waitcnt vmcnt(0) lgkmcnt(0)
	v_add_f32_e32 v4, v5, v8
	global_atomic_cmpswap v4, v[2:3], v[4:5], off glc
	s_waitcnt vmcnt(0)
	v_cmp_eq_u32_e32 vcc, v4, v5
	s_or_b64 s[2:3], vcc, s[2:3]
	v_mov_b32_e32 v5, v4
	s_andn2_b64 exec, exec, s[2:3]
	s_cbranch_execnz .LBB48_26
; %bb.27:                               ;   in Loop: Header=BB48_25 Depth=1
	s_or_b64 exec, exec, s[2:3]
	v_add_co_u32_e32 v0, vcc, v0, v6
	v_addc_co_u32_e32 v1, vcc, 0, v1, vcc
	v_cmp_le_i64_e32 vcc, s[18:19], v[0:1]
	s_or_b64 s[0:1], vcc, s[0:1]
	s_andn2_b64 exec, exec, s[0:1]
	s_cbranch_execnz .LBB48_25
.LBB48_28:
	s_endpgm
	.section	.rodata,"a",@progbits
	.p2align	6, 0x0
	.amdhsa_kernel _ZN2at4cuda17kernelHistogram1DIfslLi1ELi2ELin1ELNS0_23CUDAHistogramMemoryTypeE0EZNS0_21CUDA_tensor_histogramIfsLb1EEEbNS_6TensorES4_S4_lNS_14AccumulateTypeIT0_Lb1EE4typeES8_NS0_13TensorArgTypeES9_S9_EUllE_EEvNS0_6detail10TensorInfoIT_T1_EESF_NSC_IKS6_SE_EElS8_S8_SE_T6_
		.amdhsa_group_segment_fixed_size 0
		.amdhsa_private_segment_fixed_size 0
		.amdhsa_kernarg_size 1952
		.amdhsa_user_sgpr_count 6
		.amdhsa_user_sgpr_private_segment_buffer 1
		.amdhsa_user_sgpr_dispatch_ptr 0
		.amdhsa_user_sgpr_queue_ptr 0
		.amdhsa_user_sgpr_kernarg_segment_ptr 1
		.amdhsa_user_sgpr_dispatch_id 0
		.amdhsa_user_sgpr_flat_scratch_init 0
		.amdhsa_user_sgpr_private_segment_size 0
		.amdhsa_uses_dynamic_stack 0
		.amdhsa_system_sgpr_private_segment_wavefront_offset 0
		.amdhsa_system_sgpr_workgroup_id_x 1
		.amdhsa_system_sgpr_workgroup_id_y 0
		.amdhsa_system_sgpr_workgroup_id_z 0
		.amdhsa_system_sgpr_workgroup_info 0
		.amdhsa_system_vgpr_workitem_id 0
		.amdhsa_next_free_vgpr 22
		.amdhsa_next_free_sgpr 56
		.amdhsa_reserve_vcc 1
		.amdhsa_reserve_flat_scratch 0
		.amdhsa_float_round_mode_32 0
		.amdhsa_float_round_mode_16_64 0
		.amdhsa_float_denorm_mode_32 3
		.amdhsa_float_denorm_mode_16_64 3
		.amdhsa_dx10_clamp 1
		.amdhsa_ieee_mode 1
		.amdhsa_fp16_overflow 0
		.amdhsa_exception_fp_ieee_invalid_op 0
		.amdhsa_exception_fp_denorm_src 0
		.amdhsa_exception_fp_ieee_div_zero 0
		.amdhsa_exception_fp_ieee_overflow 0
		.amdhsa_exception_fp_ieee_underflow 0
		.amdhsa_exception_fp_ieee_inexact 0
		.amdhsa_exception_int_div_zero 0
	.end_amdhsa_kernel
	.section	.text._ZN2at4cuda17kernelHistogram1DIfslLi1ELi2ELin1ELNS0_23CUDAHistogramMemoryTypeE0EZNS0_21CUDA_tensor_histogramIfsLb1EEEbNS_6TensorES4_S4_lNS_14AccumulateTypeIT0_Lb1EE4typeES8_NS0_13TensorArgTypeES9_S9_EUllE_EEvNS0_6detail10TensorInfoIT_T1_EESF_NSC_IKS6_SE_EElS8_S8_SE_T6_,"axG",@progbits,_ZN2at4cuda17kernelHistogram1DIfslLi1ELi2ELin1ELNS0_23CUDAHistogramMemoryTypeE0EZNS0_21CUDA_tensor_histogramIfsLb1EEEbNS_6TensorES4_S4_lNS_14AccumulateTypeIT0_Lb1EE4typeES8_NS0_13TensorArgTypeES9_S9_EUllE_EEvNS0_6detail10TensorInfoIT_T1_EESF_NSC_IKS6_SE_EElS8_S8_SE_T6_,comdat
.Lfunc_end48:
	.size	_ZN2at4cuda17kernelHistogram1DIfslLi1ELi2ELin1ELNS0_23CUDAHistogramMemoryTypeE0EZNS0_21CUDA_tensor_histogramIfsLb1EEEbNS_6TensorES4_S4_lNS_14AccumulateTypeIT0_Lb1EE4typeES8_NS0_13TensorArgTypeES9_S9_EUllE_EEvNS0_6detail10TensorInfoIT_T1_EESF_NSC_IKS6_SE_EElS8_S8_SE_T6_, .Lfunc_end48-_ZN2at4cuda17kernelHistogram1DIfslLi1ELi2ELin1ELNS0_23CUDAHistogramMemoryTypeE0EZNS0_21CUDA_tensor_histogramIfsLb1EEEbNS_6TensorES4_S4_lNS_14AccumulateTypeIT0_Lb1EE4typeES8_NS0_13TensorArgTypeES9_S9_EUllE_EEvNS0_6detail10TensorInfoIT_T1_EESF_NSC_IKS6_SE_EElS8_S8_SE_T6_
                                        ; -- End function
	.set _ZN2at4cuda17kernelHistogram1DIfslLi1ELi2ELin1ELNS0_23CUDAHistogramMemoryTypeE0EZNS0_21CUDA_tensor_histogramIfsLb1EEEbNS_6TensorES4_S4_lNS_14AccumulateTypeIT0_Lb1EE4typeES8_NS0_13TensorArgTypeES9_S9_EUllE_EEvNS0_6detail10TensorInfoIT_T1_EESF_NSC_IKS6_SE_EElS8_S8_SE_T6_.num_vgpr, 22
	.set _ZN2at4cuda17kernelHistogram1DIfslLi1ELi2ELin1ELNS0_23CUDAHistogramMemoryTypeE0EZNS0_21CUDA_tensor_histogramIfsLb1EEEbNS_6TensorES4_S4_lNS_14AccumulateTypeIT0_Lb1EE4typeES8_NS0_13TensorArgTypeES9_S9_EUllE_EEvNS0_6detail10TensorInfoIT_T1_EESF_NSC_IKS6_SE_EElS8_S8_SE_T6_.num_agpr, 0
	.set _ZN2at4cuda17kernelHistogram1DIfslLi1ELi2ELin1ELNS0_23CUDAHistogramMemoryTypeE0EZNS0_21CUDA_tensor_histogramIfsLb1EEEbNS_6TensorES4_S4_lNS_14AccumulateTypeIT0_Lb1EE4typeES8_NS0_13TensorArgTypeES9_S9_EUllE_EEvNS0_6detail10TensorInfoIT_T1_EESF_NSC_IKS6_SE_EElS8_S8_SE_T6_.numbered_sgpr, 56
	.set _ZN2at4cuda17kernelHistogram1DIfslLi1ELi2ELin1ELNS0_23CUDAHistogramMemoryTypeE0EZNS0_21CUDA_tensor_histogramIfsLb1EEEbNS_6TensorES4_S4_lNS_14AccumulateTypeIT0_Lb1EE4typeES8_NS0_13TensorArgTypeES9_S9_EUllE_EEvNS0_6detail10TensorInfoIT_T1_EESF_NSC_IKS6_SE_EElS8_S8_SE_T6_.num_named_barrier, 0
	.set _ZN2at4cuda17kernelHistogram1DIfslLi1ELi2ELin1ELNS0_23CUDAHistogramMemoryTypeE0EZNS0_21CUDA_tensor_histogramIfsLb1EEEbNS_6TensorES4_S4_lNS_14AccumulateTypeIT0_Lb1EE4typeES8_NS0_13TensorArgTypeES9_S9_EUllE_EEvNS0_6detail10TensorInfoIT_T1_EESF_NSC_IKS6_SE_EElS8_S8_SE_T6_.private_seg_size, 0
	.set _ZN2at4cuda17kernelHistogram1DIfslLi1ELi2ELin1ELNS0_23CUDAHistogramMemoryTypeE0EZNS0_21CUDA_tensor_histogramIfsLb1EEEbNS_6TensorES4_S4_lNS_14AccumulateTypeIT0_Lb1EE4typeES8_NS0_13TensorArgTypeES9_S9_EUllE_EEvNS0_6detail10TensorInfoIT_T1_EESF_NSC_IKS6_SE_EElS8_S8_SE_T6_.uses_vcc, 1
	.set _ZN2at4cuda17kernelHistogram1DIfslLi1ELi2ELin1ELNS0_23CUDAHistogramMemoryTypeE0EZNS0_21CUDA_tensor_histogramIfsLb1EEEbNS_6TensorES4_S4_lNS_14AccumulateTypeIT0_Lb1EE4typeES8_NS0_13TensorArgTypeES9_S9_EUllE_EEvNS0_6detail10TensorInfoIT_T1_EESF_NSC_IKS6_SE_EElS8_S8_SE_T6_.uses_flat_scratch, 0
	.set _ZN2at4cuda17kernelHistogram1DIfslLi1ELi2ELin1ELNS0_23CUDAHistogramMemoryTypeE0EZNS0_21CUDA_tensor_histogramIfsLb1EEEbNS_6TensorES4_S4_lNS_14AccumulateTypeIT0_Lb1EE4typeES8_NS0_13TensorArgTypeES9_S9_EUllE_EEvNS0_6detail10TensorInfoIT_T1_EESF_NSC_IKS6_SE_EElS8_S8_SE_T6_.has_dyn_sized_stack, 0
	.set _ZN2at4cuda17kernelHistogram1DIfslLi1ELi2ELin1ELNS0_23CUDAHistogramMemoryTypeE0EZNS0_21CUDA_tensor_histogramIfsLb1EEEbNS_6TensorES4_S4_lNS_14AccumulateTypeIT0_Lb1EE4typeES8_NS0_13TensorArgTypeES9_S9_EUllE_EEvNS0_6detail10TensorInfoIT_T1_EESF_NSC_IKS6_SE_EElS8_S8_SE_T6_.has_recursion, 0
	.set _ZN2at4cuda17kernelHistogram1DIfslLi1ELi2ELin1ELNS0_23CUDAHistogramMemoryTypeE0EZNS0_21CUDA_tensor_histogramIfsLb1EEEbNS_6TensorES4_S4_lNS_14AccumulateTypeIT0_Lb1EE4typeES8_NS0_13TensorArgTypeES9_S9_EUllE_EEvNS0_6detail10TensorInfoIT_T1_EESF_NSC_IKS6_SE_EElS8_S8_SE_T6_.has_indirect_call, 0
	.section	.AMDGPU.csdata,"",@progbits
; Kernel info:
; codeLenInByte = 2448
; TotalNumSgprs: 60
; NumVgprs: 22
; ScratchSize: 0
; MemoryBound: 0
; FloatMode: 240
; IeeeMode: 1
; LDSByteSize: 0 bytes/workgroup (compile time only)
; SGPRBlocks: 7
; VGPRBlocks: 5
; NumSGPRsForWavesPerEU: 60
; NumVGPRsForWavesPerEU: 22
; Occupancy: 10
; WaveLimiterHint : 1
; COMPUTE_PGM_RSRC2:SCRATCH_EN: 0
; COMPUTE_PGM_RSRC2:USER_SGPR: 6
; COMPUTE_PGM_RSRC2:TRAP_HANDLER: 0
; COMPUTE_PGM_RSRC2:TGID_X_EN: 1
; COMPUTE_PGM_RSRC2:TGID_Y_EN: 0
; COMPUTE_PGM_RSRC2:TGID_Z_EN: 0
; COMPUTE_PGM_RSRC2:TIDIG_COMP_CNT: 0
	.section	.text._ZN2at4cuda17kernelHistogram1DIfslLi1ELi2ELin1ELNS0_23CUDAHistogramMemoryTypeE1EZNS0_21CUDA_tensor_histogramIfsLb1EEEbNS_6TensorES4_S4_lNS_14AccumulateTypeIT0_Lb1EE4typeES8_NS0_13TensorArgTypeES9_S9_EUllE_EEvNS0_6detail10TensorInfoIT_T1_EESF_NSC_IKS6_SE_EElS8_S8_SE_T6_,"axG",@progbits,_ZN2at4cuda17kernelHistogram1DIfslLi1ELi2ELin1ELNS0_23CUDAHistogramMemoryTypeE1EZNS0_21CUDA_tensor_histogramIfsLb1EEEbNS_6TensorES4_S4_lNS_14AccumulateTypeIT0_Lb1EE4typeES8_NS0_13TensorArgTypeES9_S9_EUllE_EEvNS0_6detail10TensorInfoIT_T1_EESF_NSC_IKS6_SE_EElS8_S8_SE_T6_,comdat
	.protected	_ZN2at4cuda17kernelHistogram1DIfslLi1ELi2ELin1ELNS0_23CUDAHistogramMemoryTypeE1EZNS0_21CUDA_tensor_histogramIfsLb1EEEbNS_6TensorES4_S4_lNS_14AccumulateTypeIT0_Lb1EE4typeES8_NS0_13TensorArgTypeES9_S9_EUllE_EEvNS0_6detail10TensorInfoIT_T1_EESF_NSC_IKS6_SE_EElS8_S8_SE_T6_ ; -- Begin function _ZN2at4cuda17kernelHistogram1DIfslLi1ELi2ELin1ELNS0_23CUDAHistogramMemoryTypeE1EZNS0_21CUDA_tensor_histogramIfsLb1EEEbNS_6TensorES4_S4_lNS_14AccumulateTypeIT0_Lb1EE4typeES8_NS0_13TensorArgTypeES9_S9_EUllE_EEvNS0_6detail10TensorInfoIT_T1_EESF_NSC_IKS6_SE_EElS8_S8_SE_T6_
	.globl	_ZN2at4cuda17kernelHistogram1DIfslLi1ELi2ELin1ELNS0_23CUDAHistogramMemoryTypeE1EZNS0_21CUDA_tensor_histogramIfsLb1EEEbNS_6TensorES4_S4_lNS_14AccumulateTypeIT0_Lb1EE4typeES8_NS0_13TensorArgTypeES9_S9_EUllE_EEvNS0_6detail10TensorInfoIT_T1_EESF_NSC_IKS6_SE_EElS8_S8_SE_T6_
	.p2align	8
	.type	_ZN2at4cuda17kernelHistogram1DIfslLi1ELi2ELin1ELNS0_23CUDAHistogramMemoryTypeE1EZNS0_21CUDA_tensor_histogramIfsLb1EEEbNS_6TensorES4_S4_lNS_14AccumulateTypeIT0_Lb1EE4typeES8_NS0_13TensorArgTypeES9_S9_EUllE_EEvNS0_6detail10TensorInfoIT_T1_EESF_NSC_IKS6_SE_EElS8_S8_SE_T6_,@function
_ZN2at4cuda17kernelHistogram1DIfslLi1ELi2ELin1ELNS0_23CUDAHistogramMemoryTypeE1EZNS0_21CUDA_tensor_histogramIfsLb1EEEbNS_6TensorES4_S4_lNS_14AccumulateTypeIT0_Lb1EE4typeES8_NS0_13TensorArgTypeES9_S9_EUllE_EEvNS0_6detail10TensorInfoIT_T1_EESF_NSC_IKS6_SE_EElS8_S8_SE_T6_: ; @_ZN2at4cuda17kernelHistogram1DIfslLi1ELi2ELin1ELNS0_23CUDAHistogramMemoryTypeE1EZNS0_21CUDA_tensor_histogramIfsLb1EEEbNS_6TensorES4_S4_lNS_14AccumulateTypeIT0_Lb1EE4typeES8_NS0_13TensorArgTypeES9_S9_EUllE_EEvNS0_6detail10TensorInfoIT_T1_EESF_NSC_IKS6_SE_EElS8_S8_SE_T6_
; %bb.0:
	s_load_dword s2, s[4:5], 0x6ac
	s_load_dwordx8 s[8:15], s[4:5], 0x4e0
	s_add_u32 s0, s4, 0x6a0
	s_addc_u32 s1, s5, 0
	v_mov_b32_e32 v2, 0
	s_waitcnt lgkmcnt(0)
	s_and_b32 s2, s2, 0xffff
	s_mul_i32 s6, s6, s2
	v_add_u32_e32 v0, s6, v0
	v_mov_b32_e32 v1, v2
	v_cmp_gt_i64_e32 vcc, s[14:15], v[0:1]
	s_and_saveexec_b64 s[6:7], vcc
	s_cbranch_execz .LBB49_17
; %bb.1:
	s_load_dwordx2 s[6:7], s[4:5], 0x5d0
	s_load_dword s26, s[4:5], 0x4d8
	s_load_dwordx2 s[16:17], s[4:5], 0x500
	s_load_dword s3, s[0:1], 0x0
	s_add_u32 s27, s4, 0x340
	s_addc_u32 s28, s5, 0
	s_waitcnt lgkmcnt(0)
	s_cmp_gt_i32 s26, 1
	s_cselect_b64 s[0:1], -1, 0
	s_load_dwordx2 s[18:19], s[4:5], 0x0
	s_load_dwordx2 s[20:21], s[4:5], 0xd0
	;; [unrolled: 1-line block ×4, first 2 shown]
	s_sub_u32 s33, s12, s10
	s_subb_u32 s40, s13, s11
	s_mul_i32 s41, s3, s2
	s_mov_b32 s3, 0
	s_add_i32 s2, s26, -1
	s_add_i32 s42, s26, 1
	s_lshl_b64 s[2:3], s[2:3], 3
	s_add_u32 s2, s27, s2
	s_addc_u32 s3, s28, s3
	s_add_u32 s4, s2, 8
	v_cndmask_b32_e64 v3, 0, 1, s[0:1]
	s_addc_u32 s5, s3, 0
	s_mov_b64 s[26:27], 0
	v_cmp_ne_u32_e64 s[0:1], 1, v3
	s_branch .LBB49_3
.LBB49_2:                               ;   in Loop: Header=BB49_3 Depth=1
	s_or_b64 exec, exec, s[28:29]
	v_add_co_u32_e32 v0, vcc, s41, v0
	v_addc_co_u32_e32 v1, vcc, 0, v1, vcc
	v_cmp_le_i64_e32 vcc, s[14:15], v[0:1]
	s_or_b64 s[26:27], vcc, s[26:27]
	s_andn2_b64 exec, exec, s[26:27]
	s_cbranch_execz .LBB49_17
.LBB49_3:                               ; =>This Loop Header: Depth=1
                                        ;     Child Loop BB49_4 Depth 2
                                        ;     Child Loop BB49_16 Depth 2
	v_mov_b32_e32 v4, 0
	v_mov_b32_e32 v7, v1
	;; [unrolled: 1-line block ×4, first 2 shown]
	s_and_b64 vcc, exec, s[0:1]
	s_mov_b64 s[28:29], s[4:5]
	s_mov_b32 s43, s42
	v_mov_b32_e32 v6, v0
	v_mov_b32_e32 v8, v0
	s_cbranch_vccnz .LBB49_10
.LBB49_4:                               ;   Parent Loop BB49_3 Depth=1
                                        ; =>  This Inner Loop Header: Depth=2
	s_load_dwordx2 s[30:31], s[28:29], 0x0
                                        ; implicit-def: $vgpr8_vgpr9
	s_waitcnt lgkmcnt(0)
	v_or_b32_e32 v3, s31, v7
	v_cmp_ne_u64_e32 vcc, 0, v[2:3]
	s_and_saveexec_b64 s[2:3], vcc
	s_xor_b64 s[34:35], exec, s[2:3]
	s_cbranch_execz .LBB49_6
; %bb.5:                                ;   in Loop: Header=BB49_4 Depth=2
	s_ashr_i32 s36, s31, 31
	s_add_u32 s2, s30, s36
	s_mov_b32 s37, s36
	s_addc_u32 s3, s31, s36
	s_xor_b64 s[38:39], s[2:3], s[36:37]
	v_cvt_f32_u32_e32 v3, s38
	v_cvt_f32_u32_e32 v8, s39
	s_sub_u32 s37, 0, s38
	s_subb_u32 s44, 0, s39
	v_mac_f32_e32 v3, 0x4f800000, v8
	v_rcp_f32_e32 v3, v3
	v_mul_f32_e32 v3, 0x5f7ffffc, v3
	v_mul_f32_e32 v8, 0x2f800000, v3
	v_trunc_f32_e32 v8, v8
	v_mac_f32_e32 v3, 0xcf800000, v8
	v_cvt_u32_f32_e32 v8, v8
	v_cvt_u32_f32_e32 v3, v3
	v_readfirstlane_b32 s45, v8
	v_readfirstlane_b32 s2, v3
	s_mul_i32 s3, s37, s45
	s_mul_hi_u32 s47, s37, s2
	s_mul_i32 s46, s44, s2
	s_add_i32 s3, s47, s3
	s_add_i32 s3, s3, s46
	s_mul_i32 s48, s37, s2
	s_mul_i32 s47, s2, s3
	s_mul_hi_u32 s49, s2, s48
	s_mul_hi_u32 s46, s2, s3
	s_add_u32 s47, s49, s47
	s_addc_u32 s46, 0, s46
	s_mul_hi_u32 s50, s45, s48
	s_mul_i32 s48, s45, s48
	s_add_u32 s47, s47, s48
	s_mul_hi_u32 s49, s45, s3
	s_addc_u32 s46, s46, s50
	s_addc_u32 s47, s49, 0
	s_mul_i32 s3, s45, s3
	s_add_u32 s3, s46, s3
	s_addc_u32 s46, 0, s47
	s_add_u32 s47, s2, s3
	s_cselect_b64 s[2:3], -1, 0
	s_cmp_lg_u64 s[2:3], 0
	s_addc_u32 s45, s45, s46
	s_mul_i32 s2, s37, s45
	s_mul_hi_u32 s3, s37, s47
	s_add_i32 s2, s3, s2
	s_mul_i32 s44, s44, s47
	s_add_i32 s2, s2, s44
	s_mul_i32 s37, s37, s47
	s_mul_hi_u32 s44, s45, s37
	s_mul_i32 s46, s45, s37
	s_mul_i32 s49, s47, s2
	s_mul_hi_u32 s37, s47, s37
	s_mul_hi_u32 s48, s47, s2
	s_add_u32 s37, s37, s49
	s_addc_u32 s48, 0, s48
	s_add_u32 s37, s37, s46
	s_mul_hi_u32 s3, s45, s2
	s_addc_u32 s37, s48, s44
	s_addc_u32 s3, s3, 0
	s_mul_i32 s2, s45, s2
	s_add_u32 s2, s37, s2
	s_addc_u32 s37, 0, s3
	s_add_u32 s44, s47, s2
	s_cselect_b64 s[2:3], -1, 0
	v_ashrrev_i32_e32 v3, 31, v7
	s_cmp_lg_u64 s[2:3], 0
	v_add_co_u32_e32 v8, vcc, v6, v3
	s_addc_u32 s37, s45, s37
	v_xor_b32_e32 v12, v8, v3
	v_mad_u64_u32 v[8:9], s[2:3], v12, s37, 0
	v_mul_hi_u32 v11, v12, s44
	v_addc_co_u32_e32 v10, vcc, v7, v3, vcc
	v_xor_b32_e32 v13, v10, v3
	v_add_co_u32_e32 v14, vcc, v11, v8
	v_addc_co_u32_e32 v15, vcc, 0, v9, vcc
	v_mad_u64_u32 v[8:9], s[2:3], v13, s44, 0
	v_mad_u64_u32 v[10:11], s[2:3], v13, s37, 0
	v_add_co_u32_e32 v8, vcc, v14, v8
	v_addc_co_u32_e32 v8, vcc, v15, v9, vcc
	v_addc_co_u32_e32 v9, vcc, 0, v11, vcc
	v_add_co_u32_e32 v10, vcc, v8, v10
	v_addc_co_u32_e32 v11, vcc, 0, v9, vcc
	v_mul_lo_u32 v14, s39, v10
	v_mul_lo_u32 v15, s38, v11
	v_mad_u64_u32 v[8:9], s[2:3], s38, v10, 0
	v_xor_b32_e32 v3, s36, v3
	v_add3_u32 v9, v9, v15, v14
	v_sub_u32_e32 v14, v13, v9
	v_mov_b32_e32 v15, s39
	v_sub_co_u32_e32 v8, vcc, v12, v8
	v_subb_co_u32_e64 v12, s[2:3], v14, v15, vcc
	v_subrev_co_u32_e64 v14, s[2:3], s38, v8
	v_subbrev_co_u32_e64 v12, s[2:3], 0, v12, s[2:3]
	v_cmp_le_u32_e64 s[2:3], s39, v12
	v_cndmask_b32_e64 v15, 0, -1, s[2:3]
	v_cmp_le_u32_e64 s[2:3], s38, v14
	v_cndmask_b32_e64 v14, 0, -1, s[2:3]
	v_cmp_eq_u32_e64 s[2:3], s39, v12
	v_cndmask_b32_e64 v12, v15, v14, s[2:3]
	v_add_co_u32_e64 v14, s[2:3], 2, v10
	v_subb_co_u32_e32 v9, vcc, v13, v9, vcc
	v_addc_co_u32_e64 v15, s[2:3], 0, v11, s[2:3]
	v_cmp_le_u32_e32 vcc, s39, v9
	v_add_co_u32_e64 v16, s[2:3], 1, v10
	v_cndmask_b32_e64 v13, 0, -1, vcc
	v_cmp_le_u32_e32 vcc, s38, v8
	v_addc_co_u32_e64 v17, s[2:3], 0, v11, s[2:3]
	v_cndmask_b32_e64 v8, 0, -1, vcc
	v_cmp_eq_u32_e32 vcc, s39, v9
	v_cmp_ne_u32_e64 s[2:3], 0, v12
	v_cndmask_b32_e32 v8, v13, v8, vcc
	v_cndmask_b32_e64 v12, v17, v15, s[2:3]
	v_cmp_ne_u32_e32 vcc, 0, v8
	v_cndmask_b32_e64 v9, v16, v14, s[2:3]
	v_cndmask_b32_e32 v8, v11, v12, vcc
	v_cndmask_b32_e32 v9, v10, v9, vcc
	v_xor_b32_e32 v10, v8, v3
	v_xor_b32_e32 v8, v9, v3
	v_sub_co_u32_e32 v8, vcc, v8, v3
	v_subb_co_u32_e32 v9, vcc, v10, v3, vcc
.LBB49_6:                               ;   in Loop: Header=BB49_4 Depth=2
	s_andn2_saveexec_b64 s[2:3], s[34:35]
	s_cbranch_execz .LBB49_8
; %bb.7:                                ;   in Loop: Header=BB49_4 Depth=2
	v_cvt_f32_u32_e32 v3, s30
	s_sub_i32 s34, 0, s30
	v_rcp_iflag_f32_e32 v3, v3
	v_mul_f32_e32 v3, 0x4f7ffffe, v3
	v_cvt_u32_f32_e32 v3, v3
	v_mul_lo_u32 v8, s34, v3
	v_mul_hi_u32 v8, v3, v8
	v_add_u32_e32 v3, v3, v8
	v_mul_hi_u32 v3, v6, v3
	v_mul_lo_u32 v8, v3, s30
	v_add_u32_e32 v9, 1, v3
	v_sub_u32_e32 v8, v6, v8
	v_subrev_u32_e32 v10, s30, v8
	v_cmp_le_u32_e32 vcc, s30, v8
	v_cndmask_b32_e32 v8, v8, v10, vcc
	v_cndmask_b32_e32 v3, v3, v9, vcc
	v_add_u32_e32 v9, 1, v3
	v_cmp_le_u32_e32 vcc, s30, v8
	v_cndmask_b32_e32 v8, v3, v9, vcc
	v_mov_b32_e32 v9, v2
.LBB49_8:                               ;   in Loop: Header=BB49_4 Depth=2
	s_or_b64 exec, exec, s[2:3]
	v_mul_lo_u32 v3, v9, s30
	v_mul_lo_u32 v12, v8, s31
	v_mad_u64_u32 v[10:11], s[2:3], v8, s30, 0
	s_load_dwordx2 s[2:3], s[28:29], 0xc8
	s_add_i32 s43, s43, -1
	v_add3_u32 v3, v11, v12, v3
	v_sub_co_u32_e32 v6, vcc, v6, v10
	v_subb_co_u32_e32 v3, vcc, v7, v3, vcc
	s_waitcnt lgkmcnt(0)
	v_mul_lo_u32 v3, s2, v3
	v_mul_lo_u32 v7, s3, v6
	v_mad_u64_u32 v[4:5], s[2:3], s2, v6, v[4:5]
	s_add_u32 s28, s28, -8
	s_addc_u32 s29, s29, -1
	s_cmp_gt_u32 s43, 2
	v_add3_u32 v5, v7, v5, v3
	s_cbranch_scc0 .LBB49_10
; %bb.9:                                ;   in Loop: Header=BB49_4 Depth=2
	v_mov_b32_e32 v6, v8
	v_mov_b32_e32 v7, v9
	s_branch .LBB49_4
.LBB49_10:                              ;   in Loop: Header=BB49_3 Depth=1
	s_waitcnt lgkmcnt(0)
	v_mul_lo_u32 v3, s23, v8
	v_mul_lo_u32 v9, s22, v9
	v_mad_u64_u32 v[6:7], s[2:3], s22, v8, 0
	v_add3_u32 v7, v7, v9, v3
	v_lshlrev_b64 v[6:7], 1, v[6:7]
	v_mov_b32_e32 v3, s25
	v_add_co_u32_e32 v6, vcc, s24, v6
	v_addc_co_u32_e32 v7, vcc, v3, v7, vcc
	v_lshlrev_b64 v[3:4], 1, v[4:5]
	v_add_co_u32_e32 v3, vcc, v6, v3
	v_addc_co_u32_e32 v4, vcc, v7, v4, vcc
	global_load_ushort v3, v[3:4], off
	s_waitcnt vmcnt(0)
	v_bfe_i32 v3, v3, 0, 16
	v_ashrrev_i32_e32 v4, 31, v3
	v_cmp_le_i64_e32 vcc, s[10:11], v[3:4]
	v_cmp_ge_i64_e64 s[2:3], s[12:13], v[3:4]
	s_and_b64 s[2:3], vcc, s[2:3]
	s_and_saveexec_b64 s[28:29], s[2:3]
	s_cbranch_execz .LBB49_2
; %bb.11:                               ;   in Loop: Header=BB49_3 Depth=1
	v_mov_b32_e32 v5, s11
	v_subrev_co_u32_e32 v3, vcc, s10, v3
	v_subb_co_u32_e32 v4, vcc, v4, v5, vcc
	v_mul_lo_u32 v6, v4, s8
	v_mul_lo_u32 v7, v3, s9
	v_mad_u64_u32 v[4:5], s[2:3], v3, s8, 0
	v_add3_u32 v5, v5, v7, v6
	v_or_b32_e32 v3, s40, v5
	v_cmp_ne_u64_e32 vcc, 0, v[2:3]
                                        ; implicit-def: $vgpr6_vgpr7
	s_and_saveexec_b64 s[2:3], vcc
	s_xor_b64 s[30:31], exec, s[2:3]
	s_cbranch_execz .LBB49_13
; %bb.12:                               ;   in Loop: Header=BB49_3 Depth=1
	s_ashr_i32 s34, s40, 31
	s_add_u32 s2, s33, s34
	s_mov_b32 s35, s34
	s_addc_u32 s3, s40, s34
	s_xor_b64 s[36:37], s[2:3], s[34:35]
	v_cvt_f32_u32_e32 v3, s36
	v_cvt_f32_u32_e32 v6, s37
	s_sub_u32 s35, 0, s36
	s_subb_u32 s38, 0, s37
	v_ashrrev_i32_e32 v7, 31, v5
	v_mac_f32_e32 v3, 0x4f800000, v6
	v_rcp_f32_e32 v3, v3
	v_mul_f32_e32 v3, 0x5f7ffffc, v3
	v_mul_f32_e32 v6, 0x2f800000, v3
	v_trunc_f32_e32 v6, v6
	v_mac_f32_e32 v3, 0xcf800000, v6
	v_cvt_u32_f32_e32 v6, v6
	v_cvt_u32_f32_e32 v3, v3
	v_readfirstlane_b32 s39, v6
	v_readfirstlane_b32 s2, v3
	s_mul_i32 s3, s35, s39
	s_mul_hi_u32 s44, s35, s2
	s_mul_i32 s43, s38, s2
	s_add_i32 s3, s44, s3
	s_add_i32 s3, s3, s43
	s_mul_i32 s45, s35, s2
	s_mul_i32 s44, s2, s3
	s_mul_hi_u32 s46, s2, s45
	s_mul_hi_u32 s43, s2, s3
	s_add_u32 s44, s46, s44
	s_addc_u32 s43, 0, s43
	s_mul_hi_u32 s47, s39, s45
	s_mul_i32 s45, s39, s45
	s_add_u32 s44, s44, s45
	s_mul_hi_u32 s46, s39, s3
	s_addc_u32 s43, s43, s47
	s_addc_u32 s44, s46, 0
	s_mul_i32 s3, s39, s3
	s_add_u32 s3, s43, s3
	s_addc_u32 s43, 0, s44
	s_add_u32 s44, s2, s3
	s_cselect_b64 s[2:3], -1, 0
	s_cmp_lg_u64 s[2:3], 0
	s_addc_u32 s39, s39, s43
	s_mul_i32 s2, s35, s39
	s_mul_hi_u32 s3, s35, s44
	s_add_i32 s2, s3, s2
	s_mul_i32 s38, s38, s44
	s_add_i32 s2, s2, s38
	s_mul_i32 s35, s35, s44
	s_mul_hi_u32 s38, s39, s35
	s_mul_i32 s43, s39, s35
	s_mul_i32 s46, s44, s2
	s_mul_hi_u32 s35, s44, s35
	s_mul_hi_u32 s45, s44, s2
	s_add_u32 s35, s35, s46
	s_addc_u32 s45, 0, s45
	s_add_u32 s35, s35, s43
	s_mul_hi_u32 s3, s39, s2
	s_addc_u32 s35, s45, s38
	s_addc_u32 s3, s3, 0
	s_mul_i32 s2, s39, s2
	s_add_u32 s2, s35, s2
	s_addc_u32 s35, 0, s3
	s_add_u32 s38, s44, s2
	s_cselect_b64 s[2:3], -1, 0
	s_cmp_lg_u64 s[2:3], 0
	v_add_co_u32_e32 v3, vcc, v4, v7
	s_addc_u32 s35, s39, s35
	v_xor_b32_e32 v8, v3, v7
	v_mad_u64_u32 v[3:4], s[2:3], v8, s35, 0
	v_mul_hi_u32 v6, v8, s38
	v_addc_co_u32_e32 v5, vcc, v5, v7, vcc
	v_xor_b32_e32 v9, v5, v7
	v_add_co_u32_e32 v10, vcc, v6, v3
	v_addc_co_u32_e32 v11, vcc, 0, v4, vcc
	v_mad_u64_u32 v[3:4], s[2:3], v9, s38, 0
	v_mad_u64_u32 v[5:6], s[2:3], v9, s35, 0
	v_add_co_u32_e32 v3, vcc, v10, v3
	v_addc_co_u32_e32 v3, vcc, v11, v4, vcc
	v_addc_co_u32_e32 v4, vcc, 0, v6, vcc
	v_add_co_u32_e32 v5, vcc, v3, v5
	v_addc_co_u32_e32 v3, vcc, 0, v4, vcc
	v_mul_lo_u32 v6, s37, v5
	v_mul_lo_u32 v10, s36, v3
	v_mad_u64_u32 v[3:4], s[2:3], s36, v5, 0
	v_add3_u32 v4, v4, v10, v6
	v_sub_u32_e32 v6, v9, v4
	v_mov_b32_e32 v10, s37
	v_sub_co_u32_e32 v3, vcc, v8, v3
	v_subb_co_u32_e64 v6, s[2:3], v6, v10, vcc
	v_subrev_co_u32_e64 v8, s[2:3], s36, v3
	v_subbrev_co_u32_e64 v6, s[2:3], 0, v6, s[2:3]
	v_cmp_le_u32_e64 s[2:3], s37, v6
	v_subb_co_u32_e32 v4, vcc, v9, v4, vcc
	v_cndmask_b32_e64 v10, 0, -1, s[2:3]
	v_cmp_le_u32_e64 s[2:3], s36, v8
	v_cmp_le_u32_e32 vcc, s37, v4
	v_cndmask_b32_e64 v8, 0, -1, s[2:3]
	v_cmp_eq_u32_e64 s[2:3], s37, v6
	v_cndmask_b32_e64 v9, 0, -1, vcc
	v_cmp_le_u32_e32 vcc, s36, v3
	v_cndmask_b32_e64 v6, v10, v8, s[2:3]
	v_cndmask_b32_e64 v3, 0, -1, vcc
	v_cmp_eq_u32_e32 vcc, s37, v4
	v_add_co_u32_e64 v8, s[2:3], 2, v5
	v_add_co_u32_e64 v10, s[2:3], 1, v5
	v_cndmask_b32_e32 v3, v9, v3, vcc
	v_cmp_ne_u32_e32 vcc, 0, v6
	v_cndmask_b32_e32 v4, v10, v8, vcc
	v_cmp_ne_u32_e32 vcc, 0, v3
	v_cndmask_b32_e32 v3, v5, v4, vcc
	v_xor_b32_e32 v4, s34, v7
	v_xor_b32_e32 v3, v3, v4
	v_sub_co_u32_e32 v6, vcc, v3, v4
                                        ; implicit-def: $vgpr4_vgpr5
.LBB49_13:                              ;   in Loop: Header=BB49_3 Depth=1
	s_andn2_saveexec_b64 s[2:3], s[30:31]
	s_cbranch_execz .LBB49_15
; %bb.14:                               ;   in Loop: Header=BB49_3 Depth=1
	v_cvt_f32_u32_e32 v3, s33
	s_sub_i32 s30, 0, s33
	v_rcp_iflag_f32_e32 v3, v3
	v_mul_f32_e32 v3, 0x4f7ffffe, v3
	v_cvt_u32_f32_e32 v3, v3
	v_mul_lo_u32 v5, s30, v3
	v_mul_hi_u32 v5, v3, v5
	v_add_u32_e32 v3, v3, v5
	v_mul_hi_u32 v3, v4, v3
	v_mul_lo_u32 v5, v3, s33
	v_add_u32_e32 v6, 1, v3
	v_sub_u32_e32 v4, v4, v5
	v_subrev_u32_e32 v5, s33, v4
	v_cmp_le_u32_e32 vcc, s33, v4
	v_cndmask_b32_e32 v4, v4, v5, vcc
	v_cndmask_b32_e32 v3, v3, v6, vcc
	v_add_u32_e32 v5, 1, v3
	v_cmp_le_u32_e32 vcc, s33, v4
	v_cndmask_b32_e32 v6, v3, v5, vcc
.LBB49_15:                              ;   in Loop: Header=BB49_3 Depth=1
	s_or_b64 exec, exec, s[2:3]
	v_ashrrev_i32_e32 v7, 31, v6
	v_cmp_eq_u64_e32 vcc, s[8:9], v[6:7]
	v_mul_lo_u32 v8, v1, s6
	v_cndmask_b32_e64 v3, 0, 1, vcc
	v_sub_co_u32_e32 v3, vcc, v6, v3
	v_subbrev_co_u32_e32 v4, vcc, 0, v7, vcc
	v_mul_lo_u32 v5, v4, s20
	v_mul_lo_u32 v6, v3, s21
	v_mad_u64_u32 v[3:4], s[2:3], v3, s20, 0
	v_mul_lo_u32 v9, v0, s7
	v_mov_b32_e32 v7, s19
	v_add3_u32 v4, v4, v6, v5
	v_mad_u64_u32 v[5:6], s[2:3], v0, s6, 0
	v_lshlrev_b64 v[3:4], 2, v[3:4]
	s_mov_b64 s[2:3], 0
	v_add3_u32 v6, v6, v9, v8
	v_add_co_u32_e32 v3, vcc, s18, v3
	v_lshlrev_b64 v[5:6], 2, v[5:6]
	v_addc_co_u32_e32 v4, vcc, v7, v4, vcc
	v_mov_b32_e32 v7, s17
	v_add_co_u32_e32 v8, vcc, s16, v5
	v_addc_co_u32_e32 v9, vcc, v7, v6, vcc
	global_load_dword v7, v[8:9], off
	global_load_dword v6, v[3:4], off
.LBB49_16:                              ;   Parent Loop BB49_3 Depth=1
                                        ; =>  This Inner Loop Header: Depth=2
	s_waitcnt vmcnt(0)
	v_add_f32_e32 v5, v6, v7
	global_atomic_cmpswap v5, v[3:4], v[5:6], off glc
	s_waitcnt vmcnt(0)
	v_cmp_eq_u32_e32 vcc, v5, v6
	s_or_b64 s[2:3], vcc, s[2:3]
	v_mov_b32_e32 v6, v5
	s_andn2_b64 exec, exec, s[2:3]
	s_cbranch_execnz .LBB49_16
	s_branch .LBB49_2
.LBB49_17:
	s_endpgm
	.section	.rodata,"a",@progbits
	.p2align	6, 0x0
	.amdhsa_kernel _ZN2at4cuda17kernelHistogram1DIfslLi1ELi2ELin1ELNS0_23CUDAHistogramMemoryTypeE1EZNS0_21CUDA_tensor_histogramIfsLb1EEEbNS_6TensorES4_S4_lNS_14AccumulateTypeIT0_Lb1EE4typeES8_NS0_13TensorArgTypeES9_S9_EUllE_EEvNS0_6detail10TensorInfoIT_T1_EESF_NSC_IKS6_SE_EElS8_S8_SE_T6_
		.amdhsa_group_segment_fixed_size 0
		.amdhsa_private_segment_fixed_size 0
		.amdhsa_kernarg_size 1952
		.amdhsa_user_sgpr_count 6
		.amdhsa_user_sgpr_private_segment_buffer 1
		.amdhsa_user_sgpr_dispatch_ptr 0
		.amdhsa_user_sgpr_queue_ptr 0
		.amdhsa_user_sgpr_kernarg_segment_ptr 1
		.amdhsa_user_sgpr_dispatch_id 0
		.amdhsa_user_sgpr_flat_scratch_init 0
		.amdhsa_user_sgpr_private_segment_size 0
		.amdhsa_uses_dynamic_stack 0
		.amdhsa_system_sgpr_private_segment_wavefront_offset 0
		.amdhsa_system_sgpr_workgroup_id_x 1
		.amdhsa_system_sgpr_workgroup_id_y 0
		.amdhsa_system_sgpr_workgroup_id_z 0
		.amdhsa_system_sgpr_workgroup_info 0
		.amdhsa_system_vgpr_workitem_id 0
		.amdhsa_next_free_vgpr 18
		.amdhsa_next_free_sgpr 51
		.amdhsa_reserve_vcc 1
		.amdhsa_reserve_flat_scratch 0
		.amdhsa_float_round_mode_32 0
		.amdhsa_float_round_mode_16_64 0
		.amdhsa_float_denorm_mode_32 3
		.amdhsa_float_denorm_mode_16_64 3
		.amdhsa_dx10_clamp 1
		.amdhsa_ieee_mode 1
		.amdhsa_fp16_overflow 0
		.amdhsa_exception_fp_ieee_invalid_op 0
		.amdhsa_exception_fp_denorm_src 0
		.amdhsa_exception_fp_ieee_div_zero 0
		.amdhsa_exception_fp_ieee_overflow 0
		.amdhsa_exception_fp_ieee_underflow 0
		.amdhsa_exception_fp_ieee_inexact 0
		.amdhsa_exception_int_div_zero 0
	.end_amdhsa_kernel
	.section	.text._ZN2at4cuda17kernelHistogram1DIfslLi1ELi2ELin1ELNS0_23CUDAHistogramMemoryTypeE1EZNS0_21CUDA_tensor_histogramIfsLb1EEEbNS_6TensorES4_S4_lNS_14AccumulateTypeIT0_Lb1EE4typeES8_NS0_13TensorArgTypeES9_S9_EUllE_EEvNS0_6detail10TensorInfoIT_T1_EESF_NSC_IKS6_SE_EElS8_S8_SE_T6_,"axG",@progbits,_ZN2at4cuda17kernelHistogram1DIfslLi1ELi2ELin1ELNS0_23CUDAHistogramMemoryTypeE1EZNS0_21CUDA_tensor_histogramIfsLb1EEEbNS_6TensorES4_S4_lNS_14AccumulateTypeIT0_Lb1EE4typeES8_NS0_13TensorArgTypeES9_S9_EUllE_EEvNS0_6detail10TensorInfoIT_T1_EESF_NSC_IKS6_SE_EElS8_S8_SE_T6_,comdat
.Lfunc_end49:
	.size	_ZN2at4cuda17kernelHistogram1DIfslLi1ELi2ELin1ELNS0_23CUDAHistogramMemoryTypeE1EZNS0_21CUDA_tensor_histogramIfsLb1EEEbNS_6TensorES4_S4_lNS_14AccumulateTypeIT0_Lb1EE4typeES8_NS0_13TensorArgTypeES9_S9_EUllE_EEvNS0_6detail10TensorInfoIT_T1_EESF_NSC_IKS6_SE_EElS8_S8_SE_T6_, .Lfunc_end49-_ZN2at4cuda17kernelHistogram1DIfslLi1ELi2ELin1ELNS0_23CUDAHistogramMemoryTypeE1EZNS0_21CUDA_tensor_histogramIfsLb1EEEbNS_6TensorES4_S4_lNS_14AccumulateTypeIT0_Lb1EE4typeES8_NS0_13TensorArgTypeES9_S9_EUllE_EEvNS0_6detail10TensorInfoIT_T1_EESF_NSC_IKS6_SE_EElS8_S8_SE_T6_
                                        ; -- End function
	.set _ZN2at4cuda17kernelHistogram1DIfslLi1ELi2ELin1ELNS0_23CUDAHistogramMemoryTypeE1EZNS0_21CUDA_tensor_histogramIfsLb1EEEbNS_6TensorES4_S4_lNS_14AccumulateTypeIT0_Lb1EE4typeES8_NS0_13TensorArgTypeES9_S9_EUllE_EEvNS0_6detail10TensorInfoIT_T1_EESF_NSC_IKS6_SE_EElS8_S8_SE_T6_.num_vgpr, 18
	.set _ZN2at4cuda17kernelHistogram1DIfslLi1ELi2ELin1ELNS0_23CUDAHistogramMemoryTypeE1EZNS0_21CUDA_tensor_histogramIfsLb1EEEbNS_6TensorES4_S4_lNS_14AccumulateTypeIT0_Lb1EE4typeES8_NS0_13TensorArgTypeES9_S9_EUllE_EEvNS0_6detail10TensorInfoIT_T1_EESF_NSC_IKS6_SE_EElS8_S8_SE_T6_.num_agpr, 0
	.set _ZN2at4cuda17kernelHistogram1DIfslLi1ELi2ELin1ELNS0_23CUDAHistogramMemoryTypeE1EZNS0_21CUDA_tensor_histogramIfsLb1EEEbNS_6TensorES4_S4_lNS_14AccumulateTypeIT0_Lb1EE4typeES8_NS0_13TensorArgTypeES9_S9_EUllE_EEvNS0_6detail10TensorInfoIT_T1_EESF_NSC_IKS6_SE_EElS8_S8_SE_T6_.numbered_sgpr, 51
	.set _ZN2at4cuda17kernelHistogram1DIfslLi1ELi2ELin1ELNS0_23CUDAHistogramMemoryTypeE1EZNS0_21CUDA_tensor_histogramIfsLb1EEEbNS_6TensorES4_S4_lNS_14AccumulateTypeIT0_Lb1EE4typeES8_NS0_13TensorArgTypeES9_S9_EUllE_EEvNS0_6detail10TensorInfoIT_T1_EESF_NSC_IKS6_SE_EElS8_S8_SE_T6_.num_named_barrier, 0
	.set _ZN2at4cuda17kernelHistogram1DIfslLi1ELi2ELin1ELNS0_23CUDAHistogramMemoryTypeE1EZNS0_21CUDA_tensor_histogramIfsLb1EEEbNS_6TensorES4_S4_lNS_14AccumulateTypeIT0_Lb1EE4typeES8_NS0_13TensorArgTypeES9_S9_EUllE_EEvNS0_6detail10TensorInfoIT_T1_EESF_NSC_IKS6_SE_EElS8_S8_SE_T6_.private_seg_size, 0
	.set _ZN2at4cuda17kernelHistogram1DIfslLi1ELi2ELin1ELNS0_23CUDAHistogramMemoryTypeE1EZNS0_21CUDA_tensor_histogramIfsLb1EEEbNS_6TensorES4_S4_lNS_14AccumulateTypeIT0_Lb1EE4typeES8_NS0_13TensorArgTypeES9_S9_EUllE_EEvNS0_6detail10TensorInfoIT_T1_EESF_NSC_IKS6_SE_EElS8_S8_SE_T6_.uses_vcc, 1
	.set _ZN2at4cuda17kernelHistogram1DIfslLi1ELi2ELin1ELNS0_23CUDAHistogramMemoryTypeE1EZNS0_21CUDA_tensor_histogramIfsLb1EEEbNS_6TensorES4_S4_lNS_14AccumulateTypeIT0_Lb1EE4typeES8_NS0_13TensorArgTypeES9_S9_EUllE_EEvNS0_6detail10TensorInfoIT_T1_EESF_NSC_IKS6_SE_EElS8_S8_SE_T6_.uses_flat_scratch, 0
	.set _ZN2at4cuda17kernelHistogram1DIfslLi1ELi2ELin1ELNS0_23CUDAHistogramMemoryTypeE1EZNS0_21CUDA_tensor_histogramIfsLb1EEEbNS_6TensorES4_S4_lNS_14AccumulateTypeIT0_Lb1EE4typeES8_NS0_13TensorArgTypeES9_S9_EUllE_EEvNS0_6detail10TensorInfoIT_T1_EESF_NSC_IKS6_SE_EElS8_S8_SE_T6_.has_dyn_sized_stack, 0
	.set _ZN2at4cuda17kernelHistogram1DIfslLi1ELi2ELin1ELNS0_23CUDAHistogramMemoryTypeE1EZNS0_21CUDA_tensor_histogramIfsLb1EEEbNS_6TensorES4_S4_lNS_14AccumulateTypeIT0_Lb1EE4typeES8_NS0_13TensorArgTypeES9_S9_EUllE_EEvNS0_6detail10TensorInfoIT_T1_EESF_NSC_IKS6_SE_EElS8_S8_SE_T6_.has_recursion, 0
	.set _ZN2at4cuda17kernelHistogram1DIfslLi1ELi2ELin1ELNS0_23CUDAHistogramMemoryTypeE1EZNS0_21CUDA_tensor_histogramIfsLb1EEEbNS_6TensorES4_S4_lNS_14AccumulateTypeIT0_Lb1EE4typeES8_NS0_13TensorArgTypeES9_S9_EUllE_EEvNS0_6detail10TensorInfoIT_T1_EESF_NSC_IKS6_SE_EElS8_S8_SE_T6_.has_indirect_call, 0
	.section	.AMDGPU.csdata,"",@progbits
; Kernel info:
; codeLenInByte = 2204
; TotalNumSgprs: 55
; NumVgprs: 18
; ScratchSize: 0
; MemoryBound: 0
; FloatMode: 240
; IeeeMode: 1
; LDSByteSize: 0 bytes/workgroup (compile time only)
; SGPRBlocks: 6
; VGPRBlocks: 4
; NumSGPRsForWavesPerEU: 55
; NumVGPRsForWavesPerEU: 18
; Occupancy: 10
; WaveLimiterHint : 1
; COMPUTE_PGM_RSRC2:SCRATCH_EN: 0
; COMPUTE_PGM_RSRC2:USER_SGPR: 6
; COMPUTE_PGM_RSRC2:TRAP_HANDLER: 0
; COMPUTE_PGM_RSRC2:TGID_X_EN: 1
; COMPUTE_PGM_RSRC2:TGID_Y_EN: 0
; COMPUTE_PGM_RSRC2:TGID_Z_EN: 0
; COMPUTE_PGM_RSRC2:TIDIG_COMP_CNT: 0
	.section	.text._ZN2at4cuda17kernelHistogram1DIfslLi1ELi2ELin1ELNS0_23CUDAHistogramMemoryTypeE0EZNS0_21CUDA_tensor_histogramIfsLb1EEEbNS_6TensorES4_S4_lNS_14AccumulateTypeIT0_Lb1EE4typeES8_NS0_13TensorArgTypeES9_S9_EUllE0_EEvNS0_6detail10TensorInfoIT_T1_EESF_NSC_IKS6_SE_EElS8_S8_SE_T6_,"axG",@progbits,_ZN2at4cuda17kernelHistogram1DIfslLi1ELi2ELin1ELNS0_23CUDAHistogramMemoryTypeE0EZNS0_21CUDA_tensor_histogramIfsLb1EEEbNS_6TensorES4_S4_lNS_14AccumulateTypeIT0_Lb1EE4typeES8_NS0_13TensorArgTypeES9_S9_EUllE0_EEvNS0_6detail10TensorInfoIT_T1_EESF_NSC_IKS6_SE_EElS8_S8_SE_T6_,comdat
	.protected	_ZN2at4cuda17kernelHistogram1DIfslLi1ELi2ELin1ELNS0_23CUDAHistogramMemoryTypeE0EZNS0_21CUDA_tensor_histogramIfsLb1EEEbNS_6TensorES4_S4_lNS_14AccumulateTypeIT0_Lb1EE4typeES8_NS0_13TensorArgTypeES9_S9_EUllE0_EEvNS0_6detail10TensorInfoIT_T1_EESF_NSC_IKS6_SE_EElS8_S8_SE_T6_ ; -- Begin function _ZN2at4cuda17kernelHistogram1DIfslLi1ELi2ELin1ELNS0_23CUDAHistogramMemoryTypeE0EZNS0_21CUDA_tensor_histogramIfsLb1EEEbNS_6TensorES4_S4_lNS_14AccumulateTypeIT0_Lb1EE4typeES8_NS0_13TensorArgTypeES9_S9_EUllE0_EEvNS0_6detail10TensorInfoIT_T1_EESF_NSC_IKS6_SE_EElS8_S8_SE_T6_
	.globl	_ZN2at4cuda17kernelHistogram1DIfslLi1ELi2ELin1ELNS0_23CUDAHistogramMemoryTypeE0EZNS0_21CUDA_tensor_histogramIfsLb1EEEbNS_6TensorES4_S4_lNS_14AccumulateTypeIT0_Lb1EE4typeES8_NS0_13TensorArgTypeES9_S9_EUllE0_EEvNS0_6detail10TensorInfoIT_T1_EESF_NSC_IKS6_SE_EElS8_S8_SE_T6_
	.p2align	8
	.type	_ZN2at4cuda17kernelHistogram1DIfslLi1ELi2ELin1ELNS0_23CUDAHistogramMemoryTypeE0EZNS0_21CUDA_tensor_histogramIfsLb1EEEbNS_6TensorES4_S4_lNS_14AccumulateTypeIT0_Lb1EE4typeES8_NS0_13TensorArgTypeES9_S9_EUllE0_EEvNS0_6detail10TensorInfoIT_T1_EESF_NSC_IKS6_SE_EElS8_S8_SE_T6_,@function
_ZN2at4cuda17kernelHistogram1DIfslLi1ELi2ELin1ELNS0_23CUDAHistogramMemoryTypeE0EZNS0_21CUDA_tensor_histogramIfsLb1EEEbNS_6TensorES4_S4_lNS_14AccumulateTypeIT0_Lb1EE4typeES8_NS0_13TensorArgTypeES9_S9_EUllE0_EEvNS0_6detail10TensorInfoIT_T1_EESF_NSC_IKS6_SE_EElS8_S8_SE_T6_: ; @_ZN2at4cuda17kernelHistogram1DIfslLi1ELi2ELin1ELNS0_23CUDAHistogramMemoryTypeE0EZNS0_21CUDA_tensor_histogramIfsLb1EEEbNS_6TensorES4_S4_lNS_14AccumulateTypeIT0_Lb1EE4typeES8_NS0_13TensorArgTypeES9_S9_EUllE0_EEvNS0_6detail10TensorInfoIT_T1_EESF_NSC_IKS6_SE_EElS8_S8_SE_T6_
; %bb.0:
	s_load_dwordx4 s[16:19], s[4:5], 0x0
	v_mov_b32_e32 v1, 0
	s_add_u32 s2, s4, 0x508
	s_addc_u32 s3, s5, 0
                                        ; implicit-def: $sgpr10
                                        ; implicit-def: $sgpr7
	s_waitcnt lgkmcnt(0)
	v_cmp_gt_i64_e64 s[0:1], s[18:19], v[0:1]
	v_cmp_le_i64_e32 vcc, s[18:19], v[0:1]
	s_and_saveexec_b64 s[8:9], vcc
	s_xor_b64 s[8:9], exec, s[8:9]
	s_cbranch_execz .LBB50_2
; %bb.1:
	s_load_dword s10, s[2:3], 0xc
	s_waitcnt lgkmcnt(0)
	s_and_b32 s7, s10, 0xffff
.LBB50_2:
	s_or_saveexec_b64 s[8:9], s[8:9]
	s_load_dwordx2 s[20:21], s[4:5], 0xd0
	v_mov_b32_e32 v12, s10
	v_mov_b32_e32 v5, s7
	s_xor_b64 exec, exec, s[8:9]
	s_cbranch_execz .LBB50_6
; %bb.3:
	s_load_dword s7, s[2:3], 0xc
	v_mov_b32_e32 v3, v1
	v_lshl_add_u32 v4, v0, 2, 0
	s_mov_b64 s[10:11], 0
	v_mov_b32_e32 v5, 0
	s_waitcnt lgkmcnt(0)
	s_and_b32 s12, s7, 0xffff
	s_lshl_b32 s13, s12, 2
	v_mov_b32_e32 v2, v0
.LBB50_4:                               ; =>This Inner Loop Header: Depth=1
	v_add_co_u32_e32 v2, vcc, s12, v2
	v_addc_co_u32_e32 v3, vcc, 0, v3, vcc
	v_cmp_le_i64_e32 vcc, s[18:19], v[2:3]
	ds_write_b32 v4, v5
	s_or_b64 s[10:11], vcc, s[10:11]
	v_add_u32_e32 v4, s13, v4
	s_andn2_b64 exec, exec, s[10:11]
	s_cbranch_execnz .LBB50_4
; %bb.5:
	s_or_b64 exec, exec, s[10:11]
	v_mov_b32_e32 v12, s7
	v_mov_b32_e32 v5, s12
.LBB50_6:
	s_or_b64 exec, exec, s[8:9]
	s_load_dwordx8 s[8:15], s[4:5], 0x4e0
	v_mad_u64_u32 v[2:3], s[6:7], s6, v5, v[0:1]
	v_mov_b32_e32 v4, 0
	v_mov_b32_e32 v3, v4
	s_waitcnt lgkmcnt(0)
	v_cmp_gt_i64_e32 vcc, s[14:15], v[2:3]
	s_barrier
	s_and_saveexec_b64 s[6:7], vcc
	s_cbranch_execz .LBB50_22
; %bb.7:
	s_load_dword s26, s[4:5], 0x4d8
	s_load_dwordx2 s[24:25], s[4:5], 0x340
	s_add_u32 s27, s4, 0x340
	s_addc_u32 s29, s5, 0
	s_load_dword s28, s[2:3], 0x0
	s_load_dwordx2 s[22:23], s[4:5], 0x410
	s_waitcnt lgkmcnt(0)
	s_cmp_gt_i32 s26, 1
	s_cselect_b64 s[2:3], -1, 0
	s_sub_u32 s33, s12, s10
	s_subb_u32 s42, s13, s11
	s_mov_b32 s5, 0
	s_add_i32 s4, s26, -1
	s_add_i32 s43, s26, 1
	s_lshl_b64 s[4:5], s[4:5], 3
	v_mul_lo_u32 v13, s28, v5
	s_add_u32 s4, s27, s4
	s_addc_u32 s5, s29, s5
	s_add_u32 s26, s4, 8
	v_cndmask_b32_e64 v5, 0, 1, s[2:3]
	s_addc_u32 s27, s5, 0
	s_mov_b64 s[28:29], 0
	v_mov_b32_e32 v14, 1.0
	v_cmp_ne_u32_e64 s[2:3], 1, v5
	s_branch .LBB50_10
.LBB50_8:                               ;   in Loop: Header=BB50_10 Depth=1
	s_or_b64 exec, exec, s[4:5]
	v_ashrrev_i32_e32 v9, 31, v8
	v_cmp_eq_u64_e32 vcc, s[8:9], v[8:9]
	v_subbrev_co_u32_e32 v5, vcc, 0, v8, vcc
	v_lshl_add_u32 v5, v5, 2, 0
	ds_add_f32 v5, v14
.LBB50_9:                               ;   in Loop: Header=BB50_10 Depth=1
	s_or_b64 exec, exec, s[30:31]
	v_add_co_u32_e32 v2, vcc, v2, v13
	v_addc_co_u32_e32 v3, vcc, 0, v3, vcc
	v_cmp_le_i64_e32 vcc, s[14:15], v[2:3]
	s_or_b64 s[28:29], vcc, s[28:29]
	s_andn2_b64 exec, exec, s[28:29]
	s_cbranch_execz .LBB50_22
.LBB50_10:                              ; =>This Loop Header: Depth=1
                                        ;     Child Loop BB50_11 Depth 2
	v_mov_b32_e32 v6, 0
	v_mov_b32_e32 v9, v3
	;; [unrolled: 1-line block ×4, first 2 shown]
	s_and_b64 vcc, exec, s[2:3]
	s_mov_b64 s[30:31], s[26:27]
	s_mov_b32 s44, s43
	v_mov_b32_e32 v8, v2
	v_mov_b32_e32 v10, v2
	s_cbranch_vccnz .LBB50_17
.LBB50_11:                              ;   Parent Loop BB50_10 Depth=1
                                        ; =>  This Inner Loop Header: Depth=2
	s_load_dwordx2 s[34:35], s[30:31], 0x0
                                        ; implicit-def: $vgpr10_vgpr11
	s_waitcnt lgkmcnt(0)
	v_or_b32_e32 v5, s35, v9
	v_cmp_ne_u64_e32 vcc, 0, v[4:5]
	s_and_saveexec_b64 s[4:5], vcc
	s_xor_b64 s[36:37], exec, s[4:5]
	s_cbranch_execz .LBB50_13
; %bb.12:                               ;   in Loop: Header=BB50_11 Depth=2
	s_ashr_i32 s38, s35, 31
	s_add_u32 s4, s34, s38
	s_mov_b32 s39, s38
	s_addc_u32 s5, s35, s38
	s_xor_b64 s[40:41], s[4:5], s[38:39]
	v_cvt_f32_u32_e32 v5, s40
	v_cvt_f32_u32_e32 v10, s41
	s_sub_u32 s39, 0, s40
	s_subb_u32 s45, 0, s41
	v_mac_f32_e32 v5, 0x4f800000, v10
	v_rcp_f32_e32 v5, v5
	v_mul_f32_e32 v5, 0x5f7ffffc, v5
	v_mul_f32_e32 v10, 0x2f800000, v5
	v_trunc_f32_e32 v10, v10
	v_mac_f32_e32 v5, 0xcf800000, v10
	v_cvt_u32_f32_e32 v10, v10
	v_cvt_u32_f32_e32 v5, v5
	v_readfirstlane_b32 s46, v10
	v_readfirstlane_b32 s4, v5
	s_mul_i32 s5, s39, s46
	s_mul_hi_u32 s48, s39, s4
	s_mul_i32 s47, s45, s4
	s_add_i32 s5, s48, s5
	s_add_i32 s5, s5, s47
	s_mul_i32 s49, s39, s4
	s_mul_i32 s48, s4, s5
	s_mul_hi_u32 s50, s4, s49
	s_mul_hi_u32 s47, s4, s5
	s_add_u32 s48, s50, s48
	s_addc_u32 s47, 0, s47
	s_mul_hi_u32 s51, s46, s49
	s_mul_i32 s49, s46, s49
	s_add_u32 s48, s48, s49
	s_mul_hi_u32 s50, s46, s5
	s_addc_u32 s47, s47, s51
	s_addc_u32 s48, s50, 0
	s_mul_i32 s5, s46, s5
	s_add_u32 s5, s47, s5
	s_addc_u32 s47, 0, s48
	s_add_u32 s48, s4, s5
	s_cselect_b64 s[4:5], -1, 0
	s_cmp_lg_u64 s[4:5], 0
	s_addc_u32 s46, s46, s47
	s_mul_i32 s4, s39, s46
	s_mul_hi_u32 s5, s39, s48
	s_add_i32 s4, s5, s4
	s_mul_i32 s45, s45, s48
	s_add_i32 s4, s4, s45
	s_mul_i32 s39, s39, s48
	s_mul_hi_u32 s45, s46, s39
	s_mul_i32 s47, s46, s39
	s_mul_i32 s50, s48, s4
	s_mul_hi_u32 s39, s48, s39
	s_mul_hi_u32 s49, s48, s4
	s_add_u32 s39, s39, s50
	s_addc_u32 s49, 0, s49
	s_add_u32 s39, s39, s47
	s_mul_hi_u32 s5, s46, s4
	s_addc_u32 s39, s49, s45
	s_addc_u32 s5, s5, 0
	s_mul_i32 s4, s46, s4
	s_add_u32 s4, s39, s4
	s_addc_u32 s39, 0, s5
	s_add_u32 s45, s48, s4
	s_cselect_b64 s[4:5], -1, 0
	v_ashrrev_i32_e32 v5, 31, v9
	s_cmp_lg_u64 s[4:5], 0
	v_add_co_u32_e32 v10, vcc, v8, v5
	s_addc_u32 s39, s46, s39
	v_xor_b32_e32 v17, v10, v5
	v_mad_u64_u32 v[10:11], s[4:5], v17, s39, 0
	v_mul_hi_u32 v16, v17, s45
	v_addc_co_u32_e32 v15, vcc, v9, v5, vcc
	v_xor_b32_e32 v18, v15, v5
	v_add_co_u32_e32 v19, vcc, v16, v10
	v_addc_co_u32_e32 v20, vcc, 0, v11, vcc
	v_mad_u64_u32 v[10:11], s[4:5], v18, s45, 0
	v_mad_u64_u32 v[15:16], s[4:5], v18, s39, 0
	v_add_co_u32_e32 v10, vcc, v19, v10
	v_addc_co_u32_e32 v10, vcc, v20, v11, vcc
	v_addc_co_u32_e32 v11, vcc, 0, v16, vcc
	v_add_co_u32_e32 v15, vcc, v10, v15
	v_addc_co_u32_e32 v16, vcc, 0, v11, vcc
	v_mul_lo_u32 v19, s41, v15
	v_mul_lo_u32 v20, s40, v16
	v_mad_u64_u32 v[10:11], s[4:5], s40, v15, 0
	v_xor_b32_e32 v5, s38, v5
	v_add3_u32 v11, v11, v20, v19
	v_sub_u32_e32 v19, v18, v11
	v_mov_b32_e32 v20, s41
	v_sub_co_u32_e32 v10, vcc, v17, v10
	v_subb_co_u32_e64 v17, s[4:5], v19, v20, vcc
	v_subrev_co_u32_e64 v19, s[4:5], s40, v10
	v_subbrev_co_u32_e64 v17, s[4:5], 0, v17, s[4:5]
	v_cmp_le_u32_e64 s[4:5], s41, v17
	v_cndmask_b32_e64 v20, 0, -1, s[4:5]
	v_cmp_le_u32_e64 s[4:5], s40, v19
	v_cndmask_b32_e64 v19, 0, -1, s[4:5]
	v_cmp_eq_u32_e64 s[4:5], s41, v17
	v_cndmask_b32_e64 v17, v20, v19, s[4:5]
	v_add_co_u32_e64 v19, s[4:5], 2, v15
	v_subb_co_u32_e32 v11, vcc, v18, v11, vcc
	v_addc_co_u32_e64 v20, s[4:5], 0, v16, s[4:5]
	v_cmp_le_u32_e32 vcc, s41, v11
	v_add_co_u32_e64 v21, s[4:5], 1, v15
	v_cndmask_b32_e64 v18, 0, -1, vcc
	v_cmp_le_u32_e32 vcc, s40, v10
	v_addc_co_u32_e64 v22, s[4:5], 0, v16, s[4:5]
	v_cndmask_b32_e64 v10, 0, -1, vcc
	v_cmp_eq_u32_e32 vcc, s41, v11
	v_cmp_ne_u32_e64 s[4:5], 0, v17
	v_cndmask_b32_e32 v10, v18, v10, vcc
	v_cndmask_b32_e64 v17, v22, v20, s[4:5]
	v_cmp_ne_u32_e32 vcc, 0, v10
	v_cndmask_b32_e64 v11, v21, v19, s[4:5]
	v_cndmask_b32_e32 v10, v16, v17, vcc
	v_cndmask_b32_e32 v11, v15, v11, vcc
	v_xor_b32_e32 v15, v10, v5
	v_xor_b32_e32 v10, v11, v5
	v_sub_co_u32_e32 v10, vcc, v10, v5
	v_subb_co_u32_e32 v11, vcc, v15, v5, vcc
.LBB50_13:                              ;   in Loop: Header=BB50_11 Depth=2
	s_andn2_saveexec_b64 s[4:5], s[36:37]
	s_cbranch_execz .LBB50_15
; %bb.14:                               ;   in Loop: Header=BB50_11 Depth=2
	v_cvt_f32_u32_e32 v5, s34
	s_sub_i32 s36, 0, s34
	v_rcp_iflag_f32_e32 v5, v5
	v_mul_f32_e32 v5, 0x4f7ffffe, v5
	v_cvt_u32_f32_e32 v5, v5
	v_mul_lo_u32 v10, s36, v5
	v_mul_hi_u32 v10, v5, v10
	v_add_u32_e32 v5, v5, v10
	v_mul_hi_u32 v5, v8, v5
	v_mul_lo_u32 v10, v5, s34
	v_add_u32_e32 v11, 1, v5
	v_sub_u32_e32 v10, v8, v10
	v_subrev_u32_e32 v15, s34, v10
	v_cmp_le_u32_e32 vcc, s34, v10
	v_cndmask_b32_e32 v10, v10, v15, vcc
	v_cndmask_b32_e32 v5, v5, v11, vcc
	v_add_u32_e32 v11, 1, v5
	v_cmp_le_u32_e32 vcc, s34, v10
	v_cndmask_b32_e32 v10, v5, v11, vcc
	v_mov_b32_e32 v11, v4
.LBB50_15:                              ;   in Loop: Header=BB50_11 Depth=2
	s_or_b64 exec, exec, s[4:5]
	v_mul_lo_u32 v5, v11, s34
	v_mul_lo_u32 v17, v10, s35
	v_mad_u64_u32 v[15:16], s[4:5], v10, s34, 0
	s_load_dwordx2 s[4:5], s[30:31], 0xc8
	s_add_i32 s44, s44, -1
	v_add3_u32 v5, v16, v17, v5
	v_sub_co_u32_e32 v8, vcc, v8, v15
	v_subb_co_u32_e32 v5, vcc, v9, v5, vcc
	s_waitcnt lgkmcnt(0)
	v_mul_lo_u32 v5, s4, v5
	v_mul_lo_u32 v9, s5, v8
	v_mad_u64_u32 v[6:7], s[4:5], s4, v8, v[6:7]
	s_add_u32 s30, s30, -8
	s_addc_u32 s31, s31, -1
	s_cmp_gt_u32 s44, 2
	v_add3_u32 v7, v9, v7, v5
	s_cbranch_scc0 .LBB50_17
; %bb.16:                               ;   in Loop: Header=BB50_11 Depth=2
	v_mov_b32_e32 v8, v10
	v_mov_b32_e32 v9, v11
	s_branch .LBB50_11
.LBB50_17:                              ;   in Loop: Header=BB50_10 Depth=1
	v_mul_lo_u32 v5, s23, v10
	v_mul_lo_u32 v11, s22, v11
	v_mad_u64_u32 v[8:9], s[4:5], s22, v10, 0
	v_add3_u32 v9, v9, v11, v5
	v_lshlrev_b64 v[8:9], 1, v[8:9]
	v_mov_b32_e32 v5, s25
	v_add_co_u32_e32 v8, vcc, s24, v8
	v_addc_co_u32_e32 v9, vcc, v5, v9, vcc
	v_lshlrev_b64 v[5:6], 1, v[6:7]
	v_add_co_u32_e32 v5, vcc, v8, v5
	v_addc_co_u32_e32 v6, vcc, v9, v6, vcc
	global_load_ushort v5, v[5:6], off
	s_waitcnt vmcnt(0)
	v_bfe_i32 v5, v5, 0, 16
	v_ashrrev_i32_e32 v6, 31, v5
	v_cmp_le_i64_e32 vcc, s[10:11], v[5:6]
	v_cmp_ge_i64_e64 s[4:5], s[12:13], v[5:6]
	s_and_b64 s[4:5], vcc, s[4:5]
	s_and_saveexec_b64 s[30:31], s[4:5]
	s_cbranch_execz .LBB50_9
; %bb.18:                               ;   in Loop: Header=BB50_10 Depth=1
	v_mov_b32_e32 v7, s11
	v_subrev_co_u32_e32 v5, vcc, s10, v5
	v_subb_co_u32_e32 v6, vcc, v6, v7, vcc
	v_mul_lo_u32 v8, v6, s8
	v_mul_lo_u32 v9, v5, s9
	v_mad_u64_u32 v[6:7], s[4:5], v5, s8, 0
	v_add3_u32 v7, v7, v9, v8
	v_or_b32_e32 v5, s42, v7
	v_cmp_ne_u64_e32 vcc, 0, v[4:5]
                                        ; implicit-def: $vgpr8_vgpr9
	s_and_saveexec_b64 s[4:5], vcc
	s_xor_b64 s[34:35], exec, s[4:5]
	s_cbranch_execz .LBB50_20
; %bb.19:                               ;   in Loop: Header=BB50_10 Depth=1
	s_ashr_i32 s36, s42, 31
	s_add_u32 s4, s33, s36
	s_mov_b32 s37, s36
	s_addc_u32 s5, s42, s36
	s_xor_b64 s[38:39], s[4:5], s[36:37]
	v_cvt_f32_u32_e32 v5, s38
	v_cvt_f32_u32_e32 v8, s39
	s_sub_u32 s37, 0, s38
	s_subb_u32 s40, 0, s39
	v_ashrrev_i32_e32 v9, 31, v7
	v_mac_f32_e32 v5, 0x4f800000, v8
	v_rcp_f32_e32 v5, v5
	v_mul_f32_e32 v5, 0x5f7ffffc, v5
	v_mul_f32_e32 v8, 0x2f800000, v5
	v_trunc_f32_e32 v8, v8
	v_mac_f32_e32 v5, 0xcf800000, v8
	v_cvt_u32_f32_e32 v8, v8
	v_cvt_u32_f32_e32 v5, v5
	v_readfirstlane_b32 s41, v8
	v_readfirstlane_b32 s4, v5
	s_mul_i32 s5, s37, s41
	s_mul_hi_u32 s45, s37, s4
	s_mul_i32 s44, s40, s4
	s_add_i32 s5, s45, s5
	s_add_i32 s5, s5, s44
	s_mul_i32 s46, s37, s4
	s_mul_i32 s45, s4, s5
	s_mul_hi_u32 s47, s4, s46
	s_mul_hi_u32 s44, s4, s5
	s_add_u32 s45, s47, s45
	s_addc_u32 s44, 0, s44
	s_mul_hi_u32 s48, s41, s46
	s_mul_i32 s46, s41, s46
	s_add_u32 s45, s45, s46
	s_mul_hi_u32 s47, s41, s5
	s_addc_u32 s44, s44, s48
	s_addc_u32 s45, s47, 0
	s_mul_i32 s5, s41, s5
	s_add_u32 s5, s44, s5
	s_addc_u32 s44, 0, s45
	s_add_u32 s45, s4, s5
	s_cselect_b64 s[4:5], -1, 0
	s_cmp_lg_u64 s[4:5], 0
	s_addc_u32 s41, s41, s44
	s_mul_i32 s4, s37, s41
	s_mul_hi_u32 s5, s37, s45
	s_add_i32 s4, s5, s4
	s_mul_i32 s40, s40, s45
	s_add_i32 s4, s4, s40
	s_mul_i32 s37, s37, s45
	s_mul_hi_u32 s40, s41, s37
	s_mul_i32 s44, s41, s37
	s_mul_i32 s47, s45, s4
	s_mul_hi_u32 s37, s45, s37
	s_mul_hi_u32 s46, s45, s4
	s_add_u32 s37, s37, s47
	s_addc_u32 s46, 0, s46
	s_add_u32 s37, s37, s44
	s_mul_hi_u32 s5, s41, s4
	s_addc_u32 s37, s46, s40
	s_addc_u32 s5, s5, 0
	s_mul_i32 s4, s41, s4
	s_add_u32 s4, s37, s4
	s_addc_u32 s37, 0, s5
	s_add_u32 s40, s45, s4
	s_cselect_b64 s[4:5], -1, 0
	s_cmp_lg_u64 s[4:5], 0
	v_add_co_u32_e32 v5, vcc, v6, v9
	s_addc_u32 s37, s41, s37
	v_xor_b32_e32 v10, v5, v9
	v_mad_u64_u32 v[5:6], s[4:5], v10, s37, 0
	v_mul_hi_u32 v8, v10, s40
	v_addc_co_u32_e32 v7, vcc, v7, v9, vcc
	v_xor_b32_e32 v11, v7, v9
	v_add_co_u32_e32 v15, vcc, v8, v5
	v_addc_co_u32_e32 v16, vcc, 0, v6, vcc
	v_mad_u64_u32 v[5:6], s[4:5], v11, s40, 0
	v_mad_u64_u32 v[7:8], s[4:5], v11, s37, 0
	v_add_co_u32_e32 v5, vcc, v15, v5
	v_addc_co_u32_e32 v5, vcc, v16, v6, vcc
	v_addc_co_u32_e32 v6, vcc, 0, v8, vcc
	v_add_co_u32_e32 v7, vcc, v5, v7
	v_addc_co_u32_e32 v5, vcc, 0, v6, vcc
	v_mul_lo_u32 v8, s39, v7
	v_mul_lo_u32 v15, s38, v5
	v_mad_u64_u32 v[5:6], s[4:5], s38, v7, 0
	v_add3_u32 v6, v6, v15, v8
	v_sub_u32_e32 v8, v11, v6
	v_mov_b32_e32 v15, s39
	v_sub_co_u32_e32 v5, vcc, v10, v5
	v_subb_co_u32_e64 v8, s[4:5], v8, v15, vcc
	v_subrev_co_u32_e64 v10, s[4:5], s38, v5
	v_subbrev_co_u32_e64 v8, s[4:5], 0, v8, s[4:5]
	v_cmp_le_u32_e64 s[4:5], s39, v8
	v_subb_co_u32_e32 v6, vcc, v11, v6, vcc
	v_cndmask_b32_e64 v15, 0, -1, s[4:5]
	v_cmp_le_u32_e64 s[4:5], s38, v10
	v_cmp_le_u32_e32 vcc, s39, v6
	v_cndmask_b32_e64 v10, 0, -1, s[4:5]
	v_cmp_eq_u32_e64 s[4:5], s39, v8
	v_cndmask_b32_e64 v11, 0, -1, vcc
	v_cmp_le_u32_e32 vcc, s38, v5
	v_cndmask_b32_e64 v8, v15, v10, s[4:5]
	v_cndmask_b32_e64 v5, 0, -1, vcc
	v_cmp_eq_u32_e32 vcc, s39, v6
	v_add_co_u32_e64 v10, s[4:5], 2, v7
	v_add_co_u32_e64 v15, s[4:5], 1, v7
	v_cndmask_b32_e32 v5, v11, v5, vcc
	v_cmp_ne_u32_e32 vcc, 0, v8
	v_cndmask_b32_e32 v6, v15, v10, vcc
	v_cmp_ne_u32_e32 vcc, 0, v5
	v_cndmask_b32_e32 v5, v7, v6, vcc
	v_xor_b32_e32 v6, s36, v9
	v_xor_b32_e32 v5, v5, v6
	v_sub_co_u32_e32 v8, vcc, v5, v6
                                        ; implicit-def: $vgpr6_vgpr7
.LBB50_20:                              ;   in Loop: Header=BB50_10 Depth=1
	s_andn2_saveexec_b64 s[4:5], s[34:35]
	s_cbranch_execz .LBB50_8
; %bb.21:                               ;   in Loop: Header=BB50_10 Depth=1
	v_cvt_f32_u32_e32 v5, s33
	s_sub_i32 s34, 0, s33
	v_rcp_iflag_f32_e32 v5, v5
	v_mul_f32_e32 v5, 0x4f7ffffe, v5
	v_cvt_u32_f32_e32 v5, v5
	v_mul_lo_u32 v7, s34, v5
	v_mul_hi_u32 v7, v5, v7
	v_add_u32_e32 v5, v5, v7
	v_mul_hi_u32 v5, v6, v5
	v_mul_lo_u32 v7, v5, s33
	v_add_u32_e32 v8, 1, v5
	v_sub_u32_e32 v6, v6, v7
	v_subrev_u32_e32 v7, s33, v6
	v_cmp_le_u32_e32 vcc, s33, v6
	v_cndmask_b32_e32 v6, v6, v7, vcc
	v_cndmask_b32_e32 v5, v5, v8, vcc
	v_add_u32_e32 v7, 1, v5
	v_cmp_le_u32_e32 vcc, s33, v6
	v_cndmask_b32_e32 v8, v5, v7, vcc
	s_branch .LBB50_8
.LBB50_22:
	s_or_b64 exec, exec, s[6:7]
; %bb.23:
	s_waitcnt lgkmcnt(0)
	s_barrier
	s_and_saveexec_b64 s[2:3], s[0:1]
	s_cbranch_execz .LBB50_28
; %bb.24:
	v_and_b32_e32 v6, 0xffff, v12
	s_mov_b64 s[0:1], 0
	v_mov_b32_e32 v7, s17
.LBB50_25:                              ; =>This Loop Header: Depth=1
                                        ;     Child Loop BB50_26 Depth 2
	v_mul_lo_u32 v4, v1, s20
	v_mul_lo_u32 v5, v0, s21
	v_mad_u64_u32 v[2:3], s[2:3], v0, s20, 0
	s_mov_b64 s[2:3], 0
	v_add3_u32 v3, v3, v5, v4
	v_lshlrev_b64 v[2:3], 2, v[2:3]
	v_lshl_add_u32 v4, v0, 2, 0
	v_add_co_u32_e32 v2, vcc, s16, v2
	v_addc_co_u32_e32 v3, vcc, v7, v3, vcc
	global_load_dword v5, v[2:3], off
	ds_read_b32 v8, v4
.LBB50_26:                              ;   Parent Loop BB50_25 Depth=1
                                        ; =>  This Inner Loop Header: Depth=2
	s_waitcnt vmcnt(0) lgkmcnt(0)
	v_add_f32_e32 v4, v5, v8
	global_atomic_cmpswap v4, v[2:3], v[4:5], off glc
	s_waitcnt vmcnt(0)
	v_cmp_eq_u32_e32 vcc, v4, v5
	s_or_b64 s[2:3], vcc, s[2:3]
	v_mov_b32_e32 v5, v4
	s_andn2_b64 exec, exec, s[2:3]
	s_cbranch_execnz .LBB50_26
; %bb.27:                               ;   in Loop: Header=BB50_25 Depth=1
	s_or_b64 exec, exec, s[2:3]
	v_add_co_u32_e32 v0, vcc, v0, v6
	v_addc_co_u32_e32 v1, vcc, 0, v1, vcc
	v_cmp_le_i64_e32 vcc, s[18:19], v[0:1]
	s_or_b64 s[0:1], vcc, s[0:1]
	s_andn2_b64 exec, exec, s[0:1]
	s_cbranch_execnz .LBB50_25
.LBB50_28:
	s_endpgm
	.section	.rodata,"a",@progbits
	.p2align	6, 0x0
	.amdhsa_kernel _ZN2at4cuda17kernelHistogram1DIfslLi1ELi2ELin1ELNS0_23CUDAHistogramMemoryTypeE0EZNS0_21CUDA_tensor_histogramIfsLb1EEEbNS_6TensorES4_S4_lNS_14AccumulateTypeIT0_Lb1EE4typeES8_NS0_13TensorArgTypeES9_S9_EUllE0_EEvNS0_6detail10TensorInfoIT_T1_EESF_NSC_IKS6_SE_EElS8_S8_SE_T6_
		.amdhsa_group_segment_fixed_size 0
		.amdhsa_private_segment_fixed_size 0
		.amdhsa_kernarg_size 1544
		.amdhsa_user_sgpr_count 6
		.amdhsa_user_sgpr_private_segment_buffer 1
		.amdhsa_user_sgpr_dispatch_ptr 0
		.amdhsa_user_sgpr_queue_ptr 0
		.amdhsa_user_sgpr_kernarg_segment_ptr 1
		.amdhsa_user_sgpr_dispatch_id 0
		.amdhsa_user_sgpr_flat_scratch_init 0
		.amdhsa_user_sgpr_private_segment_size 0
		.amdhsa_uses_dynamic_stack 0
		.amdhsa_system_sgpr_private_segment_wavefront_offset 0
		.amdhsa_system_sgpr_workgroup_id_x 1
		.amdhsa_system_sgpr_workgroup_id_y 0
		.amdhsa_system_sgpr_workgroup_id_z 0
		.amdhsa_system_sgpr_workgroup_info 0
		.amdhsa_system_vgpr_workitem_id 0
		.amdhsa_next_free_vgpr 23
		.amdhsa_next_free_sgpr 52
		.amdhsa_reserve_vcc 1
		.amdhsa_reserve_flat_scratch 0
		.amdhsa_float_round_mode_32 0
		.amdhsa_float_round_mode_16_64 0
		.amdhsa_float_denorm_mode_32 3
		.amdhsa_float_denorm_mode_16_64 3
		.amdhsa_dx10_clamp 1
		.amdhsa_ieee_mode 1
		.amdhsa_fp16_overflow 0
		.amdhsa_exception_fp_ieee_invalid_op 0
		.amdhsa_exception_fp_denorm_src 0
		.amdhsa_exception_fp_ieee_div_zero 0
		.amdhsa_exception_fp_ieee_overflow 0
		.amdhsa_exception_fp_ieee_underflow 0
		.amdhsa_exception_fp_ieee_inexact 0
		.amdhsa_exception_int_div_zero 0
	.end_amdhsa_kernel
	.section	.text._ZN2at4cuda17kernelHistogram1DIfslLi1ELi2ELin1ELNS0_23CUDAHistogramMemoryTypeE0EZNS0_21CUDA_tensor_histogramIfsLb1EEEbNS_6TensorES4_S4_lNS_14AccumulateTypeIT0_Lb1EE4typeES8_NS0_13TensorArgTypeES9_S9_EUllE0_EEvNS0_6detail10TensorInfoIT_T1_EESF_NSC_IKS6_SE_EElS8_S8_SE_T6_,"axG",@progbits,_ZN2at4cuda17kernelHistogram1DIfslLi1ELi2ELin1ELNS0_23CUDAHistogramMemoryTypeE0EZNS0_21CUDA_tensor_histogramIfsLb1EEEbNS_6TensorES4_S4_lNS_14AccumulateTypeIT0_Lb1EE4typeES8_NS0_13TensorArgTypeES9_S9_EUllE0_EEvNS0_6detail10TensorInfoIT_T1_EESF_NSC_IKS6_SE_EElS8_S8_SE_T6_,comdat
.Lfunc_end50:
	.size	_ZN2at4cuda17kernelHistogram1DIfslLi1ELi2ELin1ELNS0_23CUDAHistogramMemoryTypeE0EZNS0_21CUDA_tensor_histogramIfsLb1EEEbNS_6TensorES4_S4_lNS_14AccumulateTypeIT0_Lb1EE4typeES8_NS0_13TensorArgTypeES9_S9_EUllE0_EEvNS0_6detail10TensorInfoIT_T1_EESF_NSC_IKS6_SE_EElS8_S8_SE_T6_, .Lfunc_end50-_ZN2at4cuda17kernelHistogram1DIfslLi1ELi2ELin1ELNS0_23CUDAHistogramMemoryTypeE0EZNS0_21CUDA_tensor_histogramIfsLb1EEEbNS_6TensorES4_S4_lNS_14AccumulateTypeIT0_Lb1EE4typeES8_NS0_13TensorArgTypeES9_S9_EUllE0_EEvNS0_6detail10TensorInfoIT_T1_EESF_NSC_IKS6_SE_EElS8_S8_SE_T6_
                                        ; -- End function
	.set _ZN2at4cuda17kernelHistogram1DIfslLi1ELi2ELin1ELNS0_23CUDAHistogramMemoryTypeE0EZNS0_21CUDA_tensor_histogramIfsLb1EEEbNS_6TensorES4_S4_lNS_14AccumulateTypeIT0_Lb1EE4typeES8_NS0_13TensorArgTypeES9_S9_EUllE0_EEvNS0_6detail10TensorInfoIT_T1_EESF_NSC_IKS6_SE_EElS8_S8_SE_T6_.num_vgpr, 23
	.set _ZN2at4cuda17kernelHistogram1DIfslLi1ELi2ELin1ELNS0_23CUDAHistogramMemoryTypeE0EZNS0_21CUDA_tensor_histogramIfsLb1EEEbNS_6TensorES4_S4_lNS_14AccumulateTypeIT0_Lb1EE4typeES8_NS0_13TensorArgTypeES9_S9_EUllE0_EEvNS0_6detail10TensorInfoIT_T1_EESF_NSC_IKS6_SE_EElS8_S8_SE_T6_.num_agpr, 0
	.set _ZN2at4cuda17kernelHistogram1DIfslLi1ELi2ELin1ELNS0_23CUDAHistogramMemoryTypeE0EZNS0_21CUDA_tensor_histogramIfsLb1EEEbNS_6TensorES4_S4_lNS_14AccumulateTypeIT0_Lb1EE4typeES8_NS0_13TensorArgTypeES9_S9_EUllE0_EEvNS0_6detail10TensorInfoIT_T1_EESF_NSC_IKS6_SE_EElS8_S8_SE_T6_.numbered_sgpr, 52
	.set _ZN2at4cuda17kernelHistogram1DIfslLi1ELi2ELin1ELNS0_23CUDAHistogramMemoryTypeE0EZNS0_21CUDA_tensor_histogramIfsLb1EEEbNS_6TensorES4_S4_lNS_14AccumulateTypeIT0_Lb1EE4typeES8_NS0_13TensorArgTypeES9_S9_EUllE0_EEvNS0_6detail10TensorInfoIT_T1_EESF_NSC_IKS6_SE_EElS8_S8_SE_T6_.num_named_barrier, 0
	.set _ZN2at4cuda17kernelHistogram1DIfslLi1ELi2ELin1ELNS0_23CUDAHistogramMemoryTypeE0EZNS0_21CUDA_tensor_histogramIfsLb1EEEbNS_6TensorES4_S4_lNS_14AccumulateTypeIT0_Lb1EE4typeES8_NS0_13TensorArgTypeES9_S9_EUllE0_EEvNS0_6detail10TensorInfoIT_T1_EESF_NSC_IKS6_SE_EElS8_S8_SE_T6_.private_seg_size, 0
	.set _ZN2at4cuda17kernelHistogram1DIfslLi1ELi2ELin1ELNS0_23CUDAHistogramMemoryTypeE0EZNS0_21CUDA_tensor_histogramIfsLb1EEEbNS_6TensorES4_S4_lNS_14AccumulateTypeIT0_Lb1EE4typeES8_NS0_13TensorArgTypeES9_S9_EUllE0_EEvNS0_6detail10TensorInfoIT_T1_EESF_NSC_IKS6_SE_EElS8_S8_SE_T6_.uses_vcc, 1
	.set _ZN2at4cuda17kernelHistogram1DIfslLi1ELi2ELin1ELNS0_23CUDAHistogramMemoryTypeE0EZNS0_21CUDA_tensor_histogramIfsLb1EEEbNS_6TensorES4_S4_lNS_14AccumulateTypeIT0_Lb1EE4typeES8_NS0_13TensorArgTypeES9_S9_EUllE0_EEvNS0_6detail10TensorInfoIT_T1_EESF_NSC_IKS6_SE_EElS8_S8_SE_T6_.uses_flat_scratch, 0
	.set _ZN2at4cuda17kernelHistogram1DIfslLi1ELi2ELin1ELNS0_23CUDAHistogramMemoryTypeE0EZNS0_21CUDA_tensor_histogramIfsLb1EEEbNS_6TensorES4_S4_lNS_14AccumulateTypeIT0_Lb1EE4typeES8_NS0_13TensorArgTypeES9_S9_EUllE0_EEvNS0_6detail10TensorInfoIT_T1_EESF_NSC_IKS6_SE_EElS8_S8_SE_T6_.has_dyn_sized_stack, 0
	.set _ZN2at4cuda17kernelHistogram1DIfslLi1ELi2ELin1ELNS0_23CUDAHistogramMemoryTypeE0EZNS0_21CUDA_tensor_histogramIfsLb1EEEbNS_6TensorES4_S4_lNS_14AccumulateTypeIT0_Lb1EE4typeES8_NS0_13TensorArgTypeES9_S9_EUllE0_EEvNS0_6detail10TensorInfoIT_T1_EESF_NSC_IKS6_SE_EElS8_S8_SE_T6_.has_recursion, 0
	.set _ZN2at4cuda17kernelHistogram1DIfslLi1ELi2ELin1ELNS0_23CUDAHistogramMemoryTypeE0EZNS0_21CUDA_tensor_histogramIfsLb1EEEbNS_6TensorES4_S4_lNS_14AccumulateTypeIT0_Lb1EE4typeES8_NS0_13TensorArgTypeES9_S9_EUllE0_EEvNS0_6detail10TensorInfoIT_T1_EESF_NSC_IKS6_SE_EElS8_S8_SE_T6_.has_indirect_call, 0
	.section	.AMDGPU.csdata,"",@progbits
; Kernel info:
; codeLenInByte = 2372
; TotalNumSgprs: 56
; NumVgprs: 23
; ScratchSize: 0
; MemoryBound: 0
; FloatMode: 240
; IeeeMode: 1
; LDSByteSize: 0 bytes/workgroup (compile time only)
; SGPRBlocks: 6
; VGPRBlocks: 5
; NumSGPRsForWavesPerEU: 56
; NumVGPRsForWavesPerEU: 23
; Occupancy: 10
; WaveLimiterHint : 1
; COMPUTE_PGM_RSRC2:SCRATCH_EN: 0
; COMPUTE_PGM_RSRC2:USER_SGPR: 6
; COMPUTE_PGM_RSRC2:TRAP_HANDLER: 0
; COMPUTE_PGM_RSRC2:TGID_X_EN: 1
; COMPUTE_PGM_RSRC2:TGID_Y_EN: 0
; COMPUTE_PGM_RSRC2:TGID_Z_EN: 0
; COMPUTE_PGM_RSRC2:TIDIG_COMP_CNT: 0
	.section	.text._ZN2at4cuda17kernelHistogram1DIfslLi1ELi2ELin1ELNS0_23CUDAHistogramMemoryTypeE1EZNS0_21CUDA_tensor_histogramIfsLb1EEEbNS_6TensorES4_S4_lNS_14AccumulateTypeIT0_Lb1EE4typeES8_NS0_13TensorArgTypeES9_S9_EUllE0_EEvNS0_6detail10TensorInfoIT_T1_EESF_NSC_IKS6_SE_EElS8_S8_SE_T6_,"axG",@progbits,_ZN2at4cuda17kernelHistogram1DIfslLi1ELi2ELin1ELNS0_23CUDAHistogramMemoryTypeE1EZNS0_21CUDA_tensor_histogramIfsLb1EEEbNS_6TensorES4_S4_lNS_14AccumulateTypeIT0_Lb1EE4typeES8_NS0_13TensorArgTypeES9_S9_EUllE0_EEvNS0_6detail10TensorInfoIT_T1_EESF_NSC_IKS6_SE_EElS8_S8_SE_T6_,comdat
	.protected	_ZN2at4cuda17kernelHistogram1DIfslLi1ELi2ELin1ELNS0_23CUDAHistogramMemoryTypeE1EZNS0_21CUDA_tensor_histogramIfsLb1EEEbNS_6TensorES4_S4_lNS_14AccumulateTypeIT0_Lb1EE4typeES8_NS0_13TensorArgTypeES9_S9_EUllE0_EEvNS0_6detail10TensorInfoIT_T1_EESF_NSC_IKS6_SE_EElS8_S8_SE_T6_ ; -- Begin function _ZN2at4cuda17kernelHistogram1DIfslLi1ELi2ELin1ELNS0_23CUDAHistogramMemoryTypeE1EZNS0_21CUDA_tensor_histogramIfsLb1EEEbNS_6TensorES4_S4_lNS_14AccumulateTypeIT0_Lb1EE4typeES8_NS0_13TensorArgTypeES9_S9_EUllE0_EEvNS0_6detail10TensorInfoIT_T1_EESF_NSC_IKS6_SE_EElS8_S8_SE_T6_
	.globl	_ZN2at4cuda17kernelHistogram1DIfslLi1ELi2ELin1ELNS0_23CUDAHistogramMemoryTypeE1EZNS0_21CUDA_tensor_histogramIfsLb1EEEbNS_6TensorES4_S4_lNS_14AccumulateTypeIT0_Lb1EE4typeES8_NS0_13TensorArgTypeES9_S9_EUllE0_EEvNS0_6detail10TensorInfoIT_T1_EESF_NSC_IKS6_SE_EElS8_S8_SE_T6_
	.p2align	8
	.type	_ZN2at4cuda17kernelHistogram1DIfslLi1ELi2ELin1ELNS0_23CUDAHistogramMemoryTypeE1EZNS0_21CUDA_tensor_histogramIfsLb1EEEbNS_6TensorES4_S4_lNS_14AccumulateTypeIT0_Lb1EE4typeES8_NS0_13TensorArgTypeES9_S9_EUllE0_EEvNS0_6detail10TensorInfoIT_T1_EESF_NSC_IKS6_SE_EElS8_S8_SE_T6_,@function
_ZN2at4cuda17kernelHistogram1DIfslLi1ELi2ELin1ELNS0_23CUDAHistogramMemoryTypeE1EZNS0_21CUDA_tensor_histogramIfsLb1EEEbNS_6TensorES4_S4_lNS_14AccumulateTypeIT0_Lb1EE4typeES8_NS0_13TensorArgTypeES9_S9_EUllE0_EEvNS0_6detail10TensorInfoIT_T1_EESF_NSC_IKS6_SE_EElS8_S8_SE_T6_: ; @_ZN2at4cuda17kernelHistogram1DIfslLi1ELi2ELin1ELNS0_23CUDAHistogramMemoryTypeE1EZNS0_21CUDA_tensor_histogramIfsLb1EEEbNS_6TensorES4_S4_lNS_14AccumulateTypeIT0_Lb1EE4typeES8_NS0_13TensorArgTypeES9_S9_EUllE0_EEvNS0_6detail10TensorInfoIT_T1_EESF_NSC_IKS6_SE_EElS8_S8_SE_T6_
; %bb.0:
	s_load_dword s2, s[4:5], 0x514
	s_load_dwordx8 s[8:15], s[4:5], 0x4e0
	s_add_u32 s0, s4, 0x508
	s_addc_u32 s1, s5, 0
	v_mov_b32_e32 v2, 0
	s_waitcnt lgkmcnt(0)
	s_and_b32 s2, s2, 0xffff
	s_mul_i32 s6, s6, s2
	v_add_u32_e32 v0, s6, v0
	v_mov_b32_e32 v1, v2
	v_cmp_gt_i64_e32 vcc, s[14:15], v[0:1]
	s_and_saveexec_b64 s[6:7], vcc
	s_cbranch_execz .LBB51_17
; %bb.1:
	s_load_dword s22, s[4:5], 0x4d8
	s_load_dword s3, s[0:1], 0x0
	s_add_u32 s23, s4, 0x340
	s_addc_u32 s24, s5, 0
	s_load_dwordx2 s[6:7], s[4:5], 0x0
	s_load_dwordx2 s[16:17], s[4:5], 0xd0
	;; [unrolled: 1-line block ×4, first 2 shown]
	s_waitcnt lgkmcnt(0)
	s_cmp_gt_i32 s22, 1
	s_cselect_b64 s[0:1], -1, 0
	s_sub_u32 s33, s12, s10
	s_subb_u32 s36, s13, s11
	s_mul_i32 s37, s3, s2
	s_mov_b32 s3, 0
	s_add_i32 s2, s22, -1
	s_add_i32 s38, s22, 1
	s_lshl_b64 s[2:3], s[2:3], 3
	s_add_u32 s2, s23, s2
	s_addc_u32 s3, s24, s3
	s_add_u32 s4, s2, 8
	v_cndmask_b32_e64 v3, 0, 1, s[0:1]
	s_addc_u32 s5, s3, 0
	s_mov_b64 s[22:23], 0
	v_cmp_ne_u32_e64 s[0:1], 1, v3
	s_branch .LBB51_3
.LBB51_2:                               ;   in Loop: Header=BB51_3 Depth=1
	s_or_b64 exec, exec, s[24:25]
	v_add_co_u32_e32 v0, vcc, s37, v0
	v_addc_co_u32_e32 v1, vcc, 0, v1, vcc
	v_cmp_le_i64_e32 vcc, s[14:15], v[0:1]
	s_or_b64 s[22:23], vcc, s[22:23]
	s_andn2_b64 exec, exec, s[22:23]
	s_cbranch_execz .LBB51_17
.LBB51_3:                               ; =>This Loop Header: Depth=1
                                        ;     Child Loop BB51_4 Depth 2
                                        ;     Child Loop BB51_16 Depth 2
	v_mov_b32_e32 v4, 0
	v_mov_b32_e32 v7, v1
	;; [unrolled: 1-line block ×4, first 2 shown]
	s_and_b64 vcc, exec, s[0:1]
	s_mov_b64 s[24:25], s[4:5]
	s_mov_b32 s39, s38
	v_mov_b32_e32 v6, v0
	v_mov_b32_e32 v8, v0
	s_cbranch_vccnz .LBB51_10
.LBB51_4:                               ;   Parent Loop BB51_3 Depth=1
                                        ; =>  This Inner Loop Header: Depth=2
	s_load_dwordx2 s[26:27], s[24:25], 0x0
                                        ; implicit-def: $vgpr8_vgpr9
	s_waitcnt lgkmcnt(0)
	v_or_b32_e32 v3, s27, v7
	v_cmp_ne_u64_e32 vcc, 0, v[2:3]
	s_and_saveexec_b64 s[2:3], vcc
	s_xor_b64 s[28:29], exec, s[2:3]
	s_cbranch_execz .LBB51_6
; %bb.5:                                ;   in Loop: Header=BB51_4 Depth=2
	s_ashr_i32 s30, s27, 31
	s_add_u32 s2, s26, s30
	s_mov_b32 s31, s30
	s_addc_u32 s3, s27, s30
	s_xor_b64 s[34:35], s[2:3], s[30:31]
	v_cvt_f32_u32_e32 v3, s34
	v_cvt_f32_u32_e32 v8, s35
	s_sub_u32 s31, 0, s34
	s_subb_u32 s40, 0, s35
	v_mac_f32_e32 v3, 0x4f800000, v8
	v_rcp_f32_e32 v3, v3
	v_mul_f32_e32 v3, 0x5f7ffffc, v3
	v_mul_f32_e32 v8, 0x2f800000, v3
	v_trunc_f32_e32 v8, v8
	v_mac_f32_e32 v3, 0xcf800000, v8
	v_cvt_u32_f32_e32 v8, v8
	v_cvt_u32_f32_e32 v3, v3
	v_readfirstlane_b32 s41, v8
	v_readfirstlane_b32 s2, v3
	s_mul_i32 s3, s31, s41
	s_mul_hi_u32 s43, s31, s2
	s_mul_i32 s42, s40, s2
	s_add_i32 s3, s43, s3
	s_add_i32 s3, s3, s42
	s_mul_i32 s44, s31, s2
	s_mul_i32 s43, s2, s3
	s_mul_hi_u32 s45, s2, s44
	s_mul_hi_u32 s42, s2, s3
	s_add_u32 s43, s45, s43
	s_addc_u32 s42, 0, s42
	s_mul_hi_u32 s46, s41, s44
	s_mul_i32 s44, s41, s44
	s_add_u32 s43, s43, s44
	s_mul_hi_u32 s45, s41, s3
	s_addc_u32 s42, s42, s46
	s_addc_u32 s43, s45, 0
	s_mul_i32 s3, s41, s3
	s_add_u32 s3, s42, s3
	s_addc_u32 s42, 0, s43
	s_add_u32 s43, s2, s3
	s_cselect_b64 s[2:3], -1, 0
	s_cmp_lg_u64 s[2:3], 0
	s_addc_u32 s41, s41, s42
	s_mul_i32 s2, s31, s41
	s_mul_hi_u32 s3, s31, s43
	s_add_i32 s2, s3, s2
	s_mul_i32 s40, s40, s43
	s_add_i32 s2, s2, s40
	s_mul_i32 s31, s31, s43
	s_mul_hi_u32 s40, s41, s31
	s_mul_i32 s42, s41, s31
	s_mul_i32 s45, s43, s2
	s_mul_hi_u32 s31, s43, s31
	s_mul_hi_u32 s44, s43, s2
	s_add_u32 s31, s31, s45
	s_addc_u32 s44, 0, s44
	s_add_u32 s31, s31, s42
	s_mul_hi_u32 s3, s41, s2
	s_addc_u32 s31, s44, s40
	s_addc_u32 s3, s3, 0
	s_mul_i32 s2, s41, s2
	s_add_u32 s2, s31, s2
	s_addc_u32 s31, 0, s3
	s_add_u32 s40, s43, s2
	s_cselect_b64 s[2:3], -1, 0
	v_ashrrev_i32_e32 v3, 31, v7
	s_cmp_lg_u64 s[2:3], 0
	v_add_co_u32_e32 v8, vcc, v6, v3
	s_addc_u32 s31, s41, s31
	v_xor_b32_e32 v12, v8, v3
	v_mad_u64_u32 v[8:9], s[2:3], v12, s31, 0
	v_mul_hi_u32 v11, v12, s40
	v_addc_co_u32_e32 v10, vcc, v7, v3, vcc
	v_xor_b32_e32 v13, v10, v3
	v_add_co_u32_e32 v14, vcc, v11, v8
	v_addc_co_u32_e32 v15, vcc, 0, v9, vcc
	v_mad_u64_u32 v[8:9], s[2:3], v13, s40, 0
	v_mad_u64_u32 v[10:11], s[2:3], v13, s31, 0
	v_add_co_u32_e32 v8, vcc, v14, v8
	v_addc_co_u32_e32 v8, vcc, v15, v9, vcc
	v_addc_co_u32_e32 v9, vcc, 0, v11, vcc
	v_add_co_u32_e32 v10, vcc, v8, v10
	v_addc_co_u32_e32 v11, vcc, 0, v9, vcc
	v_mul_lo_u32 v14, s35, v10
	v_mul_lo_u32 v15, s34, v11
	v_mad_u64_u32 v[8:9], s[2:3], s34, v10, 0
	v_xor_b32_e32 v3, s30, v3
	v_add3_u32 v9, v9, v15, v14
	v_sub_u32_e32 v14, v13, v9
	v_mov_b32_e32 v15, s35
	v_sub_co_u32_e32 v8, vcc, v12, v8
	v_subb_co_u32_e64 v12, s[2:3], v14, v15, vcc
	v_subrev_co_u32_e64 v14, s[2:3], s34, v8
	v_subbrev_co_u32_e64 v12, s[2:3], 0, v12, s[2:3]
	v_cmp_le_u32_e64 s[2:3], s35, v12
	v_cndmask_b32_e64 v15, 0, -1, s[2:3]
	v_cmp_le_u32_e64 s[2:3], s34, v14
	v_cndmask_b32_e64 v14, 0, -1, s[2:3]
	v_cmp_eq_u32_e64 s[2:3], s35, v12
	v_cndmask_b32_e64 v12, v15, v14, s[2:3]
	v_add_co_u32_e64 v14, s[2:3], 2, v10
	v_subb_co_u32_e32 v9, vcc, v13, v9, vcc
	v_addc_co_u32_e64 v15, s[2:3], 0, v11, s[2:3]
	v_cmp_le_u32_e32 vcc, s35, v9
	v_add_co_u32_e64 v16, s[2:3], 1, v10
	v_cndmask_b32_e64 v13, 0, -1, vcc
	v_cmp_le_u32_e32 vcc, s34, v8
	v_addc_co_u32_e64 v17, s[2:3], 0, v11, s[2:3]
	v_cndmask_b32_e64 v8, 0, -1, vcc
	v_cmp_eq_u32_e32 vcc, s35, v9
	v_cmp_ne_u32_e64 s[2:3], 0, v12
	v_cndmask_b32_e32 v8, v13, v8, vcc
	v_cndmask_b32_e64 v12, v17, v15, s[2:3]
	v_cmp_ne_u32_e32 vcc, 0, v8
	v_cndmask_b32_e64 v9, v16, v14, s[2:3]
	v_cndmask_b32_e32 v8, v11, v12, vcc
	v_cndmask_b32_e32 v9, v10, v9, vcc
	v_xor_b32_e32 v10, v8, v3
	v_xor_b32_e32 v8, v9, v3
	v_sub_co_u32_e32 v8, vcc, v8, v3
	v_subb_co_u32_e32 v9, vcc, v10, v3, vcc
.LBB51_6:                               ;   in Loop: Header=BB51_4 Depth=2
	s_andn2_saveexec_b64 s[2:3], s[28:29]
	s_cbranch_execz .LBB51_8
; %bb.7:                                ;   in Loop: Header=BB51_4 Depth=2
	v_cvt_f32_u32_e32 v3, s26
	s_sub_i32 s28, 0, s26
	v_rcp_iflag_f32_e32 v3, v3
	v_mul_f32_e32 v3, 0x4f7ffffe, v3
	v_cvt_u32_f32_e32 v3, v3
	v_mul_lo_u32 v8, s28, v3
	v_mul_hi_u32 v8, v3, v8
	v_add_u32_e32 v3, v3, v8
	v_mul_hi_u32 v3, v6, v3
	v_mul_lo_u32 v8, v3, s26
	v_add_u32_e32 v9, 1, v3
	v_sub_u32_e32 v8, v6, v8
	v_subrev_u32_e32 v10, s26, v8
	v_cmp_le_u32_e32 vcc, s26, v8
	v_cndmask_b32_e32 v8, v8, v10, vcc
	v_cndmask_b32_e32 v3, v3, v9, vcc
	v_add_u32_e32 v9, 1, v3
	v_cmp_le_u32_e32 vcc, s26, v8
	v_cndmask_b32_e32 v8, v3, v9, vcc
	v_mov_b32_e32 v9, v2
.LBB51_8:                               ;   in Loop: Header=BB51_4 Depth=2
	s_or_b64 exec, exec, s[2:3]
	v_mul_lo_u32 v3, v9, s26
	v_mul_lo_u32 v12, v8, s27
	v_mad_u64_u32 v[10:11], s[2:3], v8, s26, 0
	s_load_dwordx2 s[2:3], s[24:25], 0xc8
	s_add_i32 s39, s39, -1
	v_add3_u32 v3, v11, v12, v3
	v_sub_co_u32_e32 v6, vcc, v6, v10
	v_subb_co_u32_e32 v3, vcc, v7, v3, vcc
	s_waitcnt lgkmcnt(0)
	v_mul_lo_u32 v3, s2, v3
	v_mul_lo_u32 v7, s3, v6
	v_mad_u64_u32 v[4:5], s[2:3], s2, v6, v[4:5]
	s_add_u32 s24, s24, -8
	s_addc_u32 s25, s25, -1
	s_cmp_gt_u32 s39, 2
	v_add3_u32 v5, v7, v5, v3
	s_cbranch_scc0 .LBB51_10
; %bb.9:                                ;   in Loop: Header=BB51_4 Depth=2
	v_mov_b32_e32 v6, v8
	v_mov_b32_e32 v7, v9
	s_branch .LBB51_4
.LBB51_10:                              ;   in Loop: Header=BB51_3 Depth=1
	v_mul_lo_u32 v3, s19, v8
	v_mul_lo_u32 v9, s18, v9
	v_mad_u64_u32 v[6:7], s[2:3], s18, v8, 0
	v_add3_u32 v7, v7, v9, v3
	v_lshlrev_b64 v[6:7], 1, v[6:7]
	v_mov_b32_e32 v3, s21
	v_add_co_u32_e32 v6, vcc, s20, v6
	v_addc_co_u32_e32 v7, vcc, v3, v7, vcc
	v_lshlrev_b64 v[3:4], 1, v[4:5]
	v_add_co_u32_e32 v3, vcc, v6, v3
	v_addc_co_u32_e32 v4, vcc, v7, v4, vcc
	global_load_ushort v3, v[3:4], off
	s_waitcnt vmcnt(0)
	v_bfe_i32 v3, v3, 0, 16
	v_ashrrev_i32_e32 v4, 31, v3
	v_cmp_le_i64_e32 vcc, s[10:11], v[3:4]
	v_cmp_ge_i64_e64 s[2:3], s[12:13], v[3:4]
	s_and_b64 s[2:3], vcc, s[2:3]
	s_and_saveexec_b64 s[24:25], s[2:3]
	s_cbranch_execz .LBB51_2
; %bb.11:                               ;   in Loop: Header=BB51_3 Depth=1
	v_mov_b32_e32 v5, s11
	v_subrev_co_u32_e32 v3, vcc, s10, v3
	v_subb_co_u32_e32 v4, vcc, v4, v5, vcc
	v_mul_lo_u32 v6, v4, s8
	v_mul_lo_u32 v7, v3, s9
	v_mad_u64_u32 v[4:5], s[2:3], v3, s8, 0
	v_add3_u32 v5, v5, v7, v6
	v_or_b32_e32 v3, s36, v5
	v_cmp_ne_u64_e32 vcc, 0, v[2:3]
                                        ; implicit-def: $vgpr6_vgpr7
	s_and_saveexec_b64 s[2:3], vcc
	s_xor_b64 s[26:27], exec, s[2:3]
	s_cbranch_execz .LBB51_13
; %bb.12:                               ;   in Loop: Header=BB51_3 Depth=1
	s_ashr_i32 s28, s36, 31
	s_add_u32 s2, s33, s28
	s_mov_b32 s29, s28
	s_addc_u32 s3, s36, s28
	s_xor_b64 s[30:31], s[2:3], s[28:29]
	v_cvt_f32_u32_e32 v3, s30
	v_cvt_f32_u32_e32 v6, s31
	s_sub_u32 s29, 0, s30
	s_subb_u32 s34, 0, s31
	v_ashrrev_i32_e32 v7, 31, v5
	v_mac_f32_e32 v3, 0x4f800000, v6
	v_rcp_f32_e32 v3, v3
	v_mul_f32_e32 v3, 0x5f7ffffc, v3
	v_mul_f32_e32 v6, 0x2f800000, v3
	v_trunc_f32_e32 v6, v6
	v_mac_f32_e32 v3, 0xcf800000, v6
	v_cvt_u32_f32_e32 v6, v6
	v_cvt_u32_f32_e32 v3, v3
	v_readfirstlane_b32 s35, v6
	v_readfirstlane_b32 s2, v3
	s_mul_i32 s3, s29, s35
	s_mul_hi_u32 s40, s29, s2
	s_mul_i32 s39, s34, s2
	s_add_i32 s3, s40, s3
	s_add_i32 s3, s3, s39
	s_mul_i32 s41, s29, s2
	s_mul_i32 s40, s2, s3
	s_mul_hi_u32 s42, s2, s41
	s_mul_hi_u32 s39, s2, s3
	s_add_u32 s40, s42, s40
	s_addc_u32 s39, 0, s39
	s_mul_hi_u32 s43, s35, s41
	s_mul_i32 s41, s35, s41
	s_add_u32 s40, s40, s41
	s_mul_hi_u32 s42, s35, s3
	s_addc_u32 s39, s39, s43
	s_addc_u32 s40, s42, 0
	s_mul_i32 s3, s35, s3
	s_add_u32 s3, s39, s3
	s_addc_u32 s39, 0, s40
	s_add_u32 s40, s2, s3
	s_cselect_b64 s[2:3], -1, 0
	s_cmp_lg_u64 s[2:3], 0
	s_addc_u32 s35, s35, s39
	s_mul_i32 s2, s29, s35
	s_mul_hi_u32 s3, s29, s40
	s_add_i32 s2, s3, s2
	s_mul_i32 s34, s34, s40
	s_add_i32 s2, s2, s34
	s_mul_i32 s29, s29, s40
	s_mul_hi_u32 s34, s35, s29
	s_mul_i32 s39, s35, s29
	s_mul_i32 s42, s40, s2
	s_mul_hi_u32 s29, s40, s29
	s_mul_hi_u32 s41, s40, s2
	s_add_u32 s29, s29, s42
	s_addc_u32 s41, 0, s41
	s_add_u32 s29, s29, s39
	s_mul_hi_u32 s3, s35, s2
	s_addc_u32 s29, s41, s34
	s_addc_u32 s3, s3, 0
	s_mul_i32 s2, s35, s2
	s_add_u32 s2, s29, s2
	s_addc_u32 s29, 0, s3
	s_add_u32 s34, s40, s2
	s_cselect_b64 s[2:3], -1, 0
	s_cmp_lg_u64 s[2:3], 0
	v_add_co_u32_e32 v3, vcc, v4, v7
	s_addc_u32 s29, s35, s29
	v_xor_b32_e32 v8, v3, v7
	v_mad_u64_u32 v[3:4], s[2:3], v8, s29, 0
	v_mul_hi_u32 v6, v8, s34
	v_addc_co_u32_e32 v5, vcc, v5, v7, vcc
	v_xor_b32_e32 v9, v5, v7
	v_add_co_u32_e32 v10, vcc, v6, v3
	v_addc_co_u32_e32 v11, vcc, 0, v4, vcc
	v_mad_u64_u32 v[3:4], s[2:3], v9, s34, 0
	v_mad_u64_u32 v[5:6], s[2:3], v9, s29, 0
	v_add_co_u32_e32 v3, vcc, v10, v3
	v_addc_co_u32_e32 v3, vcc, v11, v4, vcc
	v_addc_co_u32_e32 v4, vcc, 0, v6, vcc
	v_add_co_u32_e32 v5, vcc, v3, v5
	v_addc_co_u32_e32 v3, vcc, 0, v4, vcc
	v_mul_lo_u32 v6, s31, v5
	v_mul_lo_u32 v10, s30, v3
	v_mad_u64_u32 v[3:4], s[2:3], s30, v5, 0
	v_add3_u32 v4, v4, v10, v6
	v_sub_u32_e32 v6, v9, v4
	v_mov_b32_e32 v10, s31
	v_sub_co_u32_e32 v3, vcc, v8, v3
	v_subb_co_u32_e64 v6, s[2:3], v6, v10, vcc
	v_subrev_co_u32_e64 v8, s[2:3], s30, v3
	v_subbrev_co_u32_e64 v6, s[2:3], 0, v6, s[2:3]
	v_cmp_le_u32_e64 s[2:3], s31, v6
	v_subb_co_u32_e32 v4, vcc, v9, v4, vcc
	v_cndmask_b32_e64 v10, 0, -1, s[2:3]
	v_cmp_le_u32_e64 s[2:3], s30, v8
	v_cmp_le_u32_e32 vcc, s31, v4
	v_cndmask_b32_e64 v8, 0, -1, s[2:3]
	v_cmp_eq_u32_e64 s[2:3], s31, v6
	v_cndmask_b32_e64 v9, 0, -1, vcc
	v_cmp_le_u32_e32 vcc, s30, v3
	v_cndmask_b32_e64 v6, v10, v8, s[2:3]
	v_cndmask_b32_e64 v3, 0, -1, vcc
	v_cmp_eq_u32_e32 vcc, s31, v4
	v_add_co_u32_e64 v8, s[2:3], 2, v5
	v_add_co_u32_e64 v10, s[2:3], 1, v5
	v_cndmask_b32_e32 v3, v9, v3, vcc
	v_cmp_ne_u32_e32 vcc, 0, v6
	v_cndmask_b32_e32 v4, v10, v8, vcc
	v_cmp_ne_u32_e32 vcc, 0, v3
	v_cndmask_b32_e32 v3, v5, v4, vcc
	v_xor_b32_e32 v4, s28, v7
	v_xor_b32_e32 v3, v3, v4
	v_sub_co_u32_e32 v6, vcc, v3, v4
                                        ; implicit-def: $vgpr4_vgpr5
.LBB51_13:                              ;   in Loop: Header=BB51_3 Depth=1
	s_andn2_saveexec_b64 s[2:3], s[26:27]
	s_cbranch_execz .LBB51_15
; %bb.14:                               ;   in Loop: Header=BB51_3 Depth=1
	v_cvt_f32_u32_e32 v3, s33
	s_sub_i32 s26, 0, s33
	v_rcp_iflag_f32_e32 v3, v3
	v_mul_f32_e32 v3, 0x4f7ffffe, v3
	v_cvt_u32_f32_e32 v3, v3
	v_mul_lo_u32 v5, s26, v3
	v_mul_hi_u32 v5, v3, v5
	v_add_u32_e32 v3, v3, v5
	v_mul_hi_u32 v3, v4, v3
	v_mul_lo_u32 v5, v3, s33
	v_add_u32_e32 v6, 1, v3
	v_sub_u32_e32 v4, v4, v5
	v_subrev_u32_e32 v5, s33, v4
	v_cmp_le_u32_e32 vcc, s33, v4
	v_cndmask_b32_e32 v4, v4, v5, vcc
	v_cndmask_b32_e32 v3, v3, v6, vcc
	v_add_u32_e32 v5, 1, v3
	v_cmp_le_u32_e32 vcc, s33, v4
	v_cndmask_b32_e32 v6, v3, v5, vcc
.LBB51_15:                              ;   in Loop: Header=BB51_3 Depth=1
	s_or_b64 exec, exec, s[2:3]
	v_ashrrev_i32_e32 v7, 31, v6
	v_cmp_eq_u64_e32 vcc, s[8:9], v[6:7]
	v_cndmask_b32_e64 v3, 0, 1, vcc
	v_sub_co_u32_e32 v3, vcc, v6, v3
	v_subbrev_co_u32_e32 v4, vcc, 0, v7, vcc
	v_mul_lo_u32 v5, v4, s16
	v_mul_lo_u32 v6, v3, s17
	v_mad_u64_u32 v[3:4], s[2:3], v3, s16, 0
	s_mov_b64 s[2:3], 0
	v_add3_u32 v4, v4, v6, v5
	v_lshlrev_b64 v[3:4], 2, v[3:4]
	v_mov_b32_e32 v5, s7
	v_add_co_u32_e32 v3, vcc, s6, v3
	v_addc_co_u32_e32 v4, vcc, v5, v4, vcc
	global_load_dword v6, v[3:4], off
.LBB51_16:                              ;   Parent Loop BB51_3 Depth=1
                                        ; =>  This Inner Loop Header: Depth=2
	s_waitcnt vmcnt(0)
	v_add_f32_e32 v5, 1.0, v6
	global_atomic_cmpswap v5, v[3:4], v[5:6], off glc
	s_waitcnt vmcnt(0)
	v_cmp_eq_u32_e32 vcc, v5, v6
	s_or_b64 s[2:3], vcc, s[2:3]
	v_mov_b32_e32 v6, v5
	s_andn2_b64 exec, exec, s[2:3]
	s_cbranch_execnz .LBB51_16
	s_branch .LBB51_2
.LBB51_17:
	s_endpgm
	.section	.rodata,"a",@progbits
	.p2align	6, 0x0
	.amdhsa_kernel _ZN2at4cuda17kernelHistogram1DIfslLi1ELi2ELin1ELNS0_23CUDAHistogramMemoryTypeE1EZNS0_21CUDA_tensor_histogramIfsLb1EEEbNS_6TensorES4_S4_lNS_14AccumulateTypeIT0_Lb1EE4typeES8_NS0_13TensorArgTypeES9_S9_EUllE0_EEvNS0_6detail10TensorInfoIT_T1_EESF_NSC_IKS6_SE_EElS8_S8_SE_T6_
		.amdhsa_group_segment_fixed_size 0
		.amdhsa_private_segment_fixed_size 0
		.amdhsa_kernarg_size 1544
		.amdhsa_user_sgpr_count 6
		.amdhsa_user_sgpr_private_segment_buffer 1
		.amdhsa_user_sgpr_dispatch_ptr 0
		.amdhsa_user_sgpr_queue_ptr 0
		.amdhsa_user_sgpr_kernarg_segment_ptr 1
		.amdhsa_user_sgpr_dispatch_id 0
		.amdhsa_user_sgpr_flat_scratch_init 0
		.amdhsa_user_sgpr_private_segment_size 0
		.amdhsa_uses_dynamic_stack 0
		.amdhsa_system_sgpr_private_segment_wavefront_offset 0
		.amdhsa_system_sgpr_workgroup_id_x 1
		.amdhsa_system_sgpr_workgroup_id_y 0
		.amdhsa_system_sgpr_workgroup_id_z 0
		.amdhsa_system_sgpr_workgroup_info 0
		.amdhsa_system_vgpr_workitem_id 0
		.amdhsa_next_free_vgpr 18
		.amdhsa_next_free_sgpr 47
		.amdhsa_reserve_vcc 1
		.amdhsa_reserve_flat_scratch 0
		.amdhsa_float_round_mode_32 0
		.amdhsa_float_round_mode_16_64 0
		.amdhsa_float_denorm_mode_32 3
		.amdhsa_float_denorm_mode_16_64 3
		.amdhsa_dx10_clamp 1
		.amdhsa_ieee_mode 1
		.amdhsa_fp16_overflow 0
		.amdhsa_exception_fp_ieee_invalid_op 0
		.amdhsa_exception_fp_denorm_src 0
		.amdhsa_exception_fp_ieee_div_zero 0
		.amdhsa_exception_fp_ieee_overflow 0
		.amdhsa_exception_fp_ieee_underflow 0
		.amdhsa_exception_fp_ieee_inexact 0
		.amdhsa_exception_int_div_zero 0
	.end_amdhsa_kernel
	.section	.text._ZN2at4cuda17kernelHistogram1DIfslLi1ELi2ELin1ELNS0_23CUDAHistogramMemoryTypeE1EZNS0_21CUDA_tensor_histogramIfsLb1EEEbNS_6TensorES4_S4_lNS_14AccumulateTypeIT0_Lb1EE4typeES8_NS0_13TensorArgTypeES9_S9_EUllE0_EEvNS0_6detail10TensorInfoIT_T1_EESF_NSC_IKS6_SE_EElS8_S8_SE_T6_,"axG",@progbits,_ZN2at4cuda17kernelHistogram1DIfslLi1ELi2ELin1ELNS0_23CUDAHistogramMemoryTypeE1EZNS0_21CUDA_tensor_histogramIfsLb1EEEbNS_6TensorES4_S4_lNS_14AccumulateTypeIT0_Lb1EE4typeES8_NS0_13TensorArgTypeES9_S9_EUllE0_EEvNS0_6detail10TensorInfoIT_T1_EESF_NSC_IKS6_SE_EElS8_S8_SE_T6_,comdat
.Lfunc_end51:
	.size	_ZN2at4cuda17kernelHistogram1DIfslLi1ELi2ELin1ELNS0_23CUDAHistogramMemoryTypeE1EZNS0_21CUDA_tensor_histogramIfsLb1EEEbNS_6TensorES4_S4_lNS_14AccumulateTypeIT0_Lb1EE4typeES8_NS0_13TensorArgTypeES9_S9_EUllE0_EEvNS0_6detail10TensorInfoIT_T1_EESF_NSC_IKS6_SE_EElS8_S8_SE_T6_, .Lfunc_end51-_ZN2at4cuda17kernelHistogram1DIfslLi1ELi2ELin1ELNS0_23CUDAHistogramMemoryTypeE1EZNS0_21CUDA_tensor_histogramIfsLb1EEEbNS_6TensorES4_S4_lNS_14AccumulateTypeIT0_Lb1EE4typeES8_NS0_13TensorArgTypeES9_S9_EUllE0_EEvNS0_6detail10TensorInfoIT_T1_EESF_NSC_IKS6_SE_EElS8_S8_SE_T6_
                                        ; -- End function
	.set _ZN2at4cuda17kernelHistogram1DIfslLi1ELi2ELin1ELNS0_23CUDAHistogramMemoryTypeE1EZNS0_21CUDA_tensor_histogramIfsLb1EEEbNS_6TensorES4_S4_lNS_14AccumulateTypeIT0_Lb1EE4typeES8_NS0_13TensorArgTypeES9_S9_EUllE0_EEvNS0_6detail10TensorInfoIT_T1_EESF_NSC_IKS6_SE_EElS8_S8_SE_T6_.num_vgpr, 18
	.set _ZN2at4cuda17kernelHistogram1DIfslLi1ELi2ELin1ELNS0_23CUDAHistogramMemoryTypeE1EZNS0_21CUDA_tensor_histogramIfsLb1EEEbNS_6TensorES4_S4_lNS_14AccumulateTypeIT0_Lb1EE4typeES8_NS0_13TensorArgTypeES9_S9_EUllE0_EEvNS0_6detail10TensorInfoIT_T1_EESF_NSC_IKS6_SE_EElS8_S8_SE_T6_.num_agpr, 0
	.set _ZN2at4cuda17kernelHistogram1DIfslLi1ELi2ELin1ELNS0_23CUDAHistogramMemoryTypeE1EZNS0_21CUDA_tensor_histogramIfsLb1EEEbNS_6TensorES4_S4_lNS_14AccumulateTypeIT0_Lb1EE4typeES8_NS0_13TensorArgTypeES9_S9_EUllE0_EEvNS0_6detail10TensorInfoIT_T1_EESF_NSC_IKS6_SE_EElS8_S8_SE_T6_.numbered_sgpr, 47
	.set _ZN2at4cuda17kernelHistogram1DIfslLi1ELi2ELin1ELNS0_23CUDAHistogramMemoryTypeE1EZNS0_21CUDA_tensor_histogramIfsLb1EEEbNS_6TensorES4_S4_lNS_14AccumulateTypeIT0_Lb1EE4typeES8_NS0_13TensorArgTypeES9_S9_EUllE0_EEvNS0_6detail10TensorInfoIT_T1_EESF_NSC_IKS6_SE_EElS8_S8_SE_T6_.num_named_barrier, 0
	.set _ZN2at4cuda17kernelHistogram1DIfslLi1ELi2ELin1ELNS0_23CUDAHistogramMemoryTypeE1EZNS0_21CUDA_tensor_histogramIfsLb1EEEbNS_6TensorES4_S4_lNS_14AccumulateTypeIT0_Lb1EE4typeES8_NS0_13TensorArgTypeES9_S9_EUllE0_EEvNS0_6detail10TensorInfoIT_T1_EESF_NSC_IKS6_SE_EElS8_S8_SE_T6_.private_seg_size, 0
	.set _ZN2at4cuda17kernelHistogram1DIfslLi1ELi2ELin1ELNS0_23CUDAHistogramMemoryTypeE1EZNS0_21CUDA_tensor_histogramIfsLb1EEEbNS_6TensorES4_S4_lNS_14AccumulateTypeIT0_Lb1EE4typeES8_NS0_13TensorArgTypeES9_S9_EUllE0_EEvNS0_6detail10TensorInfoIT_T1_EESF_NSC_IKS6_SE_EElS8_S8_SE_T6_.uses_vcc, 1
	.set _ZN2at4cuda17kernelHistogram1DIfslLi1ELi2ELin1ELNS0_23CUDAHistogramMemoryTypeE1EZNS0_21CUDA_tensor_histogramIfsLb1EEEbNS_6TensorES4_S4_lNS_14AccumulateTypeIT0_Lb1EE4typeES8_NS0_13TensorArgTypeES9_S9_EUllE0_EEvNS0_6detail10TensorInfoIT_T1_EESF_NSC_IKS6_SE_EElS8_S8_SE_T6_.uses_flat_scratch, 0
	.set _ZN2at4cuda17kernelHistogram1DIfslLi1ELi2ELin1ELNS0_23CUDAHistogramMemoryTypeE1EZNS0_21CUDA_tensor_histogramIfsLb1EEEbNS_6TensorES4_S4_lNS_14AccumulateTypeIT0_Lb1EE4typeES8_NS0_13TensorArgTypeES9_S9_EUllE0_EEvNS0_6detail10TensorInfoIT_T1_EESF_NSC_IKS6_SE_EElS8_S8_SE_T6_.has_dyn_sized_stack, 0
	.set _ZN2at4cuda17kernelHistogram1DIfslLi1ELi2ELin1ELNS0_23CUDAHistogramMemoryTypeE1EZNS0_21CUDA_tensor_histogramIfsLb1EEEbNS_6TensorES4_S4_lNS_14AccumulateTypeIT0_Lb1EE4typeES8_NS0_13TensorArgTypeES9_S9_EUllE0_EEvNS0_6detail10TensorInfoIT_T1_EESF_NSC_IKS6_SE_EElS8_S8_SE_T6_.has_recursion, 0
	.set _ZN2at4cuda17kernelHistogram1DIfslLi1ELi2ELin1ELNS0_23CUDAHistogramMemoryTypeE1EZNS0_21CUDA_tensor_histogramIfsLb1EEEbNS_6TensorES4_S4_lNS_14AccumulateTypeIT0_Lb1EE4typeES8_NS0_13TensorArgTypeES9_S9_EUllE0_EEvNS0_6detail10TensorInfoIT_T1_EESF_NSC_IKS6_SE_EElS8_S8_SE_T6_.has_indirect_call, 0
	.section	.AMDGPU.csdata,"",@progbits
; Kernel info:
; codeLenInByte = 2124
; TotalNumSgprs: 51
; NumVgprs: 18
; ScratchSize: 0
; MemoryBound: 0
; FloatMode: 240
; IeeeMode: 1
; LDSByteSize: 0 bytes/workgroup (compile time only)
; SGPRBlocks: 6
; VGPRBlocks: 4
; NumSGPRsForWavesPerEU: 51
; NumVGPRsForWavesPerEU: 18
; Occupancy: 10
; WaveLimiterHint : 1
; COMPUTE_PGM_RSRC2:SCRATCH_EN: 0
; COMPUTE_PGM_RSRC2:USER_SGPR: 6
; COMPUTE_PGM_RSRC2:TRAP_HANDLER: 0
; COMPUTE_PGM_RSRC2:TGID_X_EN: 1
; COMPUTE_PGM_RSRC2:TGID_Y_EN: 0
; COMPUTE_PGM_RSRC2:TGID_Z_EN: 0
; COMPUTE_PGM_RSRC2:TIDIG_COMP_CNT: 0
	.section	.text._ZN2at4cuda17kernelHistogram1DIlslLi1ELi2ELin1ELNS0_23CUDAHistogramMemoryTypeE0EZNS0_21CUDA_tensor_histogramIlsLb0EEEbNS_6TensorES4_S4_lNS_14AccumulateTypeIT0_Lb1EE4typeES8_NS0_13TensorArgTypeES9_S9_EUllE_EEvNS0_6detail10TensorInfoIT_T1_EESF_NSC_IKS6_SE_EElS8_S8_SE_T6_,"axG",@progbits,_ZN2at4cuda17kernelHistogram1DIlslLi1ELi2ELin1ELNS0_23CUDAHistogramMemoryTypeE0EZNS0_21CUDA_tensor_histogramIlsLb0EEEbNS_6TensorES4_S4_lNS_14AccumulateTypeIT0_Lb1EE4typeES8_NS0_13TensorArgTypeES9_S9_EUllE_EEvNS0_6detail10TensorInfoIT_T1_EESF_NSC_IKS6_SE_EElS8_S8_SE_T6_,comdat
	.protected	_ZN2at4cuda17kernelHistogram1DIlslLi1ELi2ELin1ELNS0_23CUDAHistogramMemoryTypeE0EZNS0_21CUDA_tensor_histogramIlsLb0EEEbNS_6TensorES4_S4_lNS_14AccumulateTypeIT0_Lb1EE4typeES8_NS0_13TensorArgTypeES9_S9_EUllE_EEvNS0_6detail10TensorInfoIT_T1_EESF_NSC_IKS6_SE_EElS8_S8_SE_T6_ ; -- Begin function _ZN2at4cuda17kernelHistogram1DIlslLi1ELi2ELin1ELNS0_23CUDAHistogramMemoryTypeE0EZNS0_21CUDA_tensor_histogramIlsLb0EEEbNS_6TensorES4_S4_lNS_14AccumulateTypeIT0_Lb1EE4typeES8_NS0_13TensorArgTypeES9_S9_EUllE_EEvNS0_6detail10TensorInfoIT_T1_EESF_NSC_IKS6_SE_EElS8_S8_SE_T6_
	.globl	_ZN2at4cuda17kernelHistogram1DIlslLi1ELi2ELin1ELNS0_23CUDAHistogramMemoryTypeE0EZNS0_21CUDA_tensor_histogramIlsLb0EEEbNS_6TensorES4_S4_lNS_14AccumulateTypeIT0_Lb1EE4typeES8_NS0_13TensorArgTypeES9_S9_EUllE_EEvNS0_6detail10TensorInfoIT_T1_EESF_NSC_IKS6_SE_EElS8_S8_SE_T6_
	.p2align	8
	.type	_ZN2at4cuda17kernelHistogram1DIlslLi1ELi2ELin1ELNS0_23CUDAHistogramMemoryTypeE0EZNS0_21CUDA_tensor_histogramIlsLb0EEEbNS_6TensorES4_S4_lNS_14AccumulateTypeIT0_Lb1EE4typeES8_NS0_13TensorArgTypeES9_S9_EUllE_EEvNS0_6detail10TensorInfoIT_T1_EESF_NSC_IKS6_SE_EElS8_S8_SE_T6_,@function
_ZN2at4cuda17kernelHistogram1DIlslLi1ELi2ELin1ELNS0_23CUDAHistogramMemoryTypeE0EZNS0_21CUDA_tensor_histogramIlsLb0EEEbNS_6TensorES4_S4_lNS_14AccumulateTypeIT0_Lb1EE4typeES8_NS0_13TensorArgTypeES9_S9_EUllE_EEvNS0_6detail10TensorInfoIT_T1_EESF_NSC_IKS6_SE_EElS8_S8_SE_T6_: ; @_ZN2at4cuda17kernelHistogram1DIlslLi1ELi2ELin1ELNS0_23CUDAHistogramMemoryTypeE0EZNS0_21CUDA_tensor_histogramIlsLb0EEEbNS_6TensorES4_S4_lNS_14AccumulateTypeIT0_Lb1EE4typeES8_NS0_13TensorArgTypeES9_S9_EUllE_EEvNS0_6detail10TensorInfoIT_T1_EESF_NSC_IKS6_SE_EElS8_S8_SE_T6_
; %bb.0:
	s_load_dwordx4 s[16:19], s[4:5], 0x0
	s_load_dwordx2 s[20:21], s[4:5], 0x500
	s_load_dwordx8 s[8:15], s[4:5], 0x4e0
	v_mov_b32_e32 v1, 0
	s_add_u32 s2, s4, 0x6a0
	s_waitcnt lgkmcnt(0)
	v_cmp_gt_i64_e64 s[0:1], s[18:19], v[0:1]
	v_cmp_le_i64_e32 vcc, s[18:19], v[0:1]
	s_addc_u32 s3, s5, 0
                                        ; implicit-def: $sgpr7
                                        ; implicit-def: $sgpr28
	s_and_saveexec_b64 s[22:23], vcc
	s_xor_b64 s[22:23], exec, s[22:23]
	s_cbranch_execz .LBB52_2
; %bb.1:
	s_load_dword s7, s[2:3], 0xc
	s_waitcnt lgkmcnt(0)
	s_and_b32 s28, s7, 0xffff
.LBB52_2:
	s_or_saveexec_b64 s[26:27], s[22:23]
	s_load_dwordx2 s[22:23], s[4:5], 0xd0
	s_load_dwordx2 s[24:25], s[4:5], 0x5d0
	v_mov_b32_e32 v14, s7
	v_mov_b32_e32 v13, s28
	v_lshl_add_u32 v12, v0, 3, 0
	s_xor_b64 exec, exec, s[26:27]
	s_cbranch_execz .LBB52_6
; %bb.3:
	s_load_dword s7, s[2:3], 0xc
	v_mov_b32_e32 v2, 0
	v_mov_b32_e32 v5, v1
	v_lshl_add_u32 v6, v0, 3, 0
	s_mov_b64 s[28:29], 0
	s_waitcnt lgkmcnt(0)
	s_and_b32 s30, s7, 0xffff
	v_mov_b32_e32 v3, v2
	s_lshl_b32 s31, s30, 3
	v_mov_b32_e32 v4, v0
.LBB52_4:                               ; =>This Inner Loop Header: Depth=1
	v_add_co_u32_e32 v4, vcc, s30, v4
	v_addc_co_u32_e32 v5, vcc, 0, v5, vcc
	v_cmp_le_i64_e32 vcc, s[18:19], v[4:5]
	ds_write_b64 v6, v[2:3]
	s_or_b64 s[28:29], vcc, s[28:29]
	v_add_u32_e32 v6, s31, v6
	s_andn2_b64 exec, exec, s[28:29]
	s_cbranch_execnz .LBB52_4
; %bb.5:
	s_or_b64 exec, exec, s[28:29]
	v_mov_b32_e32 v14, s7
	v_mov_b32_e32 v13, s30
.LBB52_6:
	s_or_b64 exec, exec, s[26:27]
	v_mad_u64_u32 v[2:3], s[6:7], s6, v13, v[0:1]
	v_mov_b32_e32 v4, 0
	v_mov_b32_e32 v3, v4
	v_cmp_gt_i64_e32 vcc, s[14:15], v[2:3]
	s_waitcnt lgkmcnt(0)
	s_barrier
	s_and_saveexec_b64 s[6:7], vcc
	s_cbranch_execz .LBB52_22
; %bb.7:
	s_load_dword s30, s[4:5], 0x4d8
	s_load_dwordx2 s[28:29], s[4:5], 0x340
	s_add_u32 s31, s4, 0x340
	s_addc_u32 s35, s5, 0
	s_load_dword s34, s[2:3], 0x0
	s_load_dwordx2 s[26:27], s[4:5], 0x410
	s_waitcnt lgkmcnt(0)
	s_cmp_gt_i32 s30, 1
	s_cselect_b64 s[2:3], -1, 0
	s_sub_u32 s33, s12, s10
	s_subb_u32 s46, s13, s11
	s_mov_b32 s5, 0
	s_add_i32 s4, s30, -1
	s_add_i32 s47, s30, 1
	s_lshl_b64 s[4:5], s[4:5], 3
	v_mul_lo_u32 v15, s34, v13
	s_add_u32 s4, s31, s4
	s_addc_u32 s5, s35, s5
	s_add_u32 s30, s4, 8
	v_cndmask_b32_e64 v5, 0, 1, s[2:3]
	s_addc_u32 s31, s5, 0
	s_mov_b64 s[34:35], 0
	v_cmp_ne_u32_e64 s[2:3], 1, v5
	s_branch .LBB52_10
.LBB52_8:                               ;   in Loop: Header=BB52_10 Depth=1
	s_or_b64 exec, exec, s[4:5]
	v_mul_lo_u32 v7, v3, s24
	v_mul_lo_u32 v9, v2, s25
	v_mad_u64_u32 v[5:6], s[4:5], v2, s24, 0
	v_add3_u32 v6, v6, v9, v7
	v_lshlrev_b64 v[5:6], 3, v[5:6]
	v_mov_b32_e32 v7, s21
	v_add_co_u32_e32 v5, vcc, s20, v5
	v_addc_co_u32_e32 v6, vcc, v7, v6, vcc
	global_load_dwordx2 v[5:6], v[5:6], off
	v_ashrrev_i32_e32 v9, 31, v8
	v_cmp_eq_u64_e32 vcc, s[8:9], v[8:9]
	v_subbrev_co_u32_e32 v7, vcc, 0, v8, vcc
	v_lshl_add_u32 v7, v7, 3, 0
	s_waitcnt vmcnt(0)
	ds_add_u64 v7, v[5:6]
.LBB52_9:                               ;   in Loop: Header=BB52_10 Depth=1
	s_or_b64 exec, exec, s[36:37]
	v_add_co_u32_e32 v2, vcc, v2, v15
	v_addc_co_u32_e32 v3, vcc, 0, v3, vcc
	v_cmp_le_i64_e32 vcc, s[14:15], v[2:3]
	s_or_b64 s[34:35], vcc, s[34:35]
	s_andn2_b64 exec, exec, s[34:35]
	s_cbranch_execz .LBB52_22
.LBB52_10:                              ; =>This Loop Header: Depth=1
                                        ;     Child Loop BB52_11 Depth 2
	v_mov_b32_e32 v6, 0
	v_mov_b32_e32 v9, v3
	;; [unrolled: 1-line block ×4, first 2 shown]
	s_and_b64 vcc, exec, s[2:3]
	s_mov_b64 s[36:37], s[30:31]
	s_mov_b32 s48, s47
	v_mov_b32_e32 v8, v2
	v_mov_b32_e32 v10, v2
	s_cbranch_vccnz .LBB52_17
.LBB52_11:                              ;   Parent Loop BB52_10 Depth=1
                                        ; =>  This Inner Loop Header: Depth=2
	s_load_dwordx2 s[38:39], s[36:37], 0x0
                                        ; implicit-def: $vgpr10_vgpr11
	s_waitcnt lgkmcnt(0)
	v_or_b32_e32 v5, s39, v9
	v_cmp_ne_u64_e32 vcc, 0, v[4:5]
	s_and_saveexec_b64 s[4:5], vcc
	s_xor_b64 s[40:41], exec, s[4:5]
	s_cbranch_execz .LBB52_13
; %bb.12:                               ;   in Loop: Header=BB52_11 Depth=2
	s_ashr_i32 s42, s39, 31
	s_add_u32 s4, s38, s42
	s_mov_b32 s43, s42
	s_addc_u32 s5, s39, s42
	s_xor_b64 s[44:45], s[4:5], s[42:43]
	v_cvt_f32_u32_e32 v5, s44
	v_cvt_f32_u32_e32 v10, s45
	s_sub_u32 s43, 0, s44
	s_subb_u32 s49, 0, s45
	v_mac_f32_e32 v5, 0x4f800000, v10
	v_rcp_f32_e32 v5, v5
	v_mul_f32_e32 v5, 0x5f7ffffc, v5
	v_mul_f32_e32 v10, 0x2f800000, v5
	v_trunc_f32_e32 v10, v10
	v_mac_f32_e32 v5, 0xcf800000, v10
	v_cvt_u32_f32_e32 v10, v10
	v_cvt_u32_f32_e32 v5, v5
	v_readfirstlane_b32 s50, v10
	v_readfirstlane_b32 s4, v5
	s_mul_i32 s5, s43, s50
	s_mul_hi_u32 s52, s43, s4
	s_mul_i32 s51, s49, s4
	s_add_i32 s5, s52, s5
	s_add_i32 s5, s5, s51
	s_mul_i32 s53, s43, s4
	s_mul_i32 s52, s4, s5
	s_mul_hi_u32 s54, s4, s53
	s_mul_hi_u32 s51, s4, s5
	s_add_u32 s52, s54, s52
	s_addc_u32 s51, 0, s51
	s_mul_hi_u32 s55, s50, s53
	s_mul_i32 s53, s50, s53
	s_add_u32 s52, s52, s53
	s_mul_hi_u32 s54, s50, s5
	s_addc_u32 s51, s51, s55
	s_addc_u32 s52, s54, 0
	s_mul_i32 s5, s50, s5
	s_add_u32 s5, s51, s5
	s_addc_u32 s51, 0, s52
	s_add_u32 s52, s4, s5
	s_cselect_b64 s[4:5], -1, 0
	s_cmp_lg_u64 s[4:5], 0
	s_addc_u32 s50, s50, s51
	s_mul_i32 s4, s43, s50
	s_mul_hi_u32 s5, s43, s52
	s_add_i32 s4, s5, s4
	s_mul_i32 s49, s49, s52
	s_add_i32 s4, s4, s49
	s_mul_i32 s43, s43, s52
	s_mul_hi_u32 s49, s50, s43
	s_mul_i32 s51, s50, s43
	s_mul_i32 s54, s52, s4
	s_mul_hi_u32 s43, s52, s43
	s_mul_hi_u32 s53, s52, s4
	s_add_u32 s43, s43, s54
	s_addc_u32 s53, 0, s53
	s_add_u32 s43, s43, s51
	s_mul_hi_u32 s5, s50, s4
	s_addc_u32 s43, s53, s49
	s_addc_u32 s5, s5, 0
	s_mul_i32 s4, s50, s4
	s_add_u32 s4, s43, s4
	s_addc_u32 s43, 0, s5
	s_add_u32 s49, s52, s4
	s_cselect_b64 s[4:5], -1, 0
	v_ashrrev_i32_e32 v5, 31, v9
	s_cmp_lg_u64 s[4:5], 0
	v_add_co_u32_e32 v10, vcc, v8, v5
	s_addc_u32 s43, s50, s43
	v_xor_b32_e32 v18, v10, v5
	v_mad_u64_u32 v[10:11], s[4:5], v18, s43, 0
	v_mul_hi_u32 v17, v18, s49
	v_addc_co_u32_e32 v16, vcc, v9, v5, vcc
	v_xor_b32_e32 v19, v16, v5
	v_add_co_u32_e32 v20, vcc, v17, v10
	v_addc_co_u32_e32 v21, vcc, 0, v11, vcc
	v_mad_u64_u32 v[10:11], s[4:5], v19, s49, 0
	v_mad_u64_u32 v[16:17], s[4:5], v19, s43, 0
	v_add_co_u32_e32 v10, vcc, v20, v10
	v_addc_co_u32_e32 v10, vcc, v21, v11, vcc
	v_addc_co_u32_e32 v11, vcc, 0, v17, vcc
	v_add_co_u32_e32 v16, vcc, v10, v16
	v_addc_co_u32_e32 v17, vcc, 0, v11, vcc
	v_mul_lo_u32 v20, s45, v16
	v_mul_lo_u32 v21, s44, v17
	v_mad_u64_u32 v[10:11], s[4:5], s44, v16, 0
	v_xor_b32_e32 v5, s42, v5
	v_add3_u32 v11, v11, v21, v20
	v_sub_u32_e32 v20, v19, v11
	v_mov_b32_e32 v21, s45
	v_sub_co_u32_e32 v10, vcc, v18, v10
	v_subb_co_u32_e64 v18, s[4:5], v20, v21, vcc
	v_subrev_co_u32_e64 v20, s[4:5], s44, v10
	v_subbrev_co_u32_e64 v18, s[4:5], 0, v18, s[4:5]
	v_cmp_le_u32_e64 s[4:5], s45, v18
	v_cndmask_b32_e64 v21, 0, -1, s[4:5]
	v_cmp_le_u32_e64 s[4:5], s44, v20
	v_cndmask_b32_e64 v20, 0, -1, s[4:5]
	v_cmp_eq_u32_e64 s[4:5], s45, v18
	v_cndmask_b32_e64 v18, v21, v20, s[4:5]
	v_add_co_u32_e64 v20, s[4:5], 2, v16
	v_subb_co_u32_e32 v11, vcc, v19, v11, vcc
	v_addc_co_u32_e64 v21, s[4:5], 0, v17, s[4:5]
	v_cmp_le_u32_e32 vcc, s45, v11
	v_add_co_u32_e64 v22, s[4:5], 1, v16
	v_cndmask_b32_e64 v19, 0, -1, vcc
	v_cmp_le_u32_e32 vcc, s44, v10
	v_addc_co_u32_e64 v23, s[4:5], 0, v17, s[4:5]
	v_cndmask_b32_e64 v10, 0, -1, vcc
	v_cmp_eq_u32_e32 vcc, s45, v11
	v_cmp_ne_u32_e64 s[4:5], 0, v18
	v_cndmask_b32_e32 v10, v19, v10, vcc
	v_cndmask_b32_e64 v18, v23, v21, s[4:5]
	v_cmp_ne_u32_e32 vcc, 0, v10
	v_cndmask_b32_e64 v11, v22, v20, s[4:5]
	v_cndmask_b32_e32 v10, v17, v18, vcc
	v_cndmask_b32_e32 v11, v16, v11, vcc
	v_xor_b32_e32 v16, v10, v5
	v_xor_b32_e32 v10, v11, v5
	v_sub_co_u32_e32 v10, vcc, v10, v5
	v_subb_co_u32_e32 v11, vcc, v16, v5, vcc
.LBB52_13:                              ;   in Loop: Header=BB52_11 Depth=2
	s_andn2_saveexec_b64 s[4:5], s[40:41]
	s_cbranch_execz .LBB52_15
; %bb.14:                               ;   in Loop: Header=BB52_11 Depth=2
	v_cvt_f32_u32_e32 v5, s38
	s_sub_i32 s40, 0, s38
	v_rcp_iflag_f32_e32 v5, v5
	v_mul_f32_e32 v5, 0x4f7ffffe, v5
	v_cvt_u32_f32_e32 v5, v5
	v_mul_lo_u32 v10, s40, v5
	v_mul_hi_u32 v10, v5, v10
	v_add_u32_e32 v5, v5, v10
	v_mul_hi_u32 v5, v8, v5
	v_mul_lo_u32 v10, v5, s38
	v_add_u32_e32 v11, 1, v5
	v_sub_u32_e32 v10, v8, v10
	v_subrev_u32_e32 v16, s38, v10
	v_cmp_le_u32_e32 vcc, s38, v10
	v_cndmask_b32_e32 v10, v10, v16, vcc
	v_cndmask_b32_e32 v5, v5, v11, vcc
	v_add_u32_e32 v11, 1, v5
	v_cmp_le_u32_e32 vcc, s38, v10
	v_cndmask_b32_e32 v10, v5, v11, vcc
	v_mov_b32_e32 v11, v4
.LBB52_15:                              ;   in Loop: Header=BB52_11 Depth=2
	s_or_b64 exec, exec, s[4:5]
	v_mul_lo_u32 v5, v11, s38
	v_mul_lo_u32 v18, v10, s39
	v_mad_u64_u32 v[16:17], s[4:5], v10, s38, 0
	s_load_dwordx2 s[4:5], s[36:37], 0xc8
	s_add_i32 s48, s48, -1
	v_add3_u32 v5, v17, v18, v5
	v_sub_co_u32_e32 v8, vcc, v8, v16
	v_subb_co_u32_e32 v5, vcc, v9, v5, vcc
	s_waitcnt lgkmcnt(0)
	v_mul_lo_u32 v5, s4, v5
	v_mul_lo_u32 v9, s5, v8
	v_mad_u64_u32 v[6:7], s[4:5], s4, v8, v[6:7]
	s_add_u32 s36, s36, -8
	s_addc_u32 s37, s37, -1
	s_cmp_gt_u32 s48, 2
	v_add3_u32 v7, v9, v7, v5
	s_cbranch_scc0 .LBB52_17
; %bb.16:                               ;   in Loop: Header=BB52_11 Depth=2
	v_mov_b32_e32 v8, v10
	v_mov_b32_e32 v9, v11
	s_branch .LBB52_11
.LBB52_17:                              ;   in Loop: Header=BB52_10 Depth=1
	v_mul_lo_u32 v5, s27, v10
	v_mul_lo_u32 v11, s26, v11
	v_mad_u64_u32 v[8:9], s[4:5], s26, v10, 0
	v_add3_u32 v9, v9, v11, v5
	v_lshlrev_b64 v[8:9], 1, v[8:9]
	v_mov_b32_e32 v5, s29
	v_add_co_u32_e32 v8, vcc, s28, v8
	v_addc_co_u32_e32 v9, vcc, v5, v9, vcc
	v_lshlrev_b64 v[5:6], 1, v[6:7]
	v_add_co_u32_e32 v5, vcc, v8, v5
	v_addc_co_u32_e32 v6, vcc, v9, v6, vcc
	global_load_ushort v5, v[5:6], off
	s_waitcnt vmcnt(0)
	v_bfe_i32 v5, v5, 0, 16
	v_ashrrev_i32_e32 v6, 31, v5
	v_cmp_le_i64_e32 vcc, s[10:11], v[5:6]
	v_cmp_ge_i64_e64 s[4:5], s[12:13], v[5:6]
	s_and_b64 s[4:5], vcc, s[4:5]
	s_and_saveexec_b64 s[36:37], s[4:5]
	s_cbranch_execz .LBB52_9
; %bb.18:                               ;   in Loop: Header=BB52_10 Depth=1
	v_mov_b32_e32 v7, s11
	v_subrev_co_u32_e32 v5, vcc, s10, v5
	v_subb_co_u32_e32 v6, vcc, v6, v7, vcc
	v_mul_lo_u32 v8, v6, s8
	v_mul_lo_u32 v9, v5, s9
	v_mad_u64_u32 v[6:7], s[4:5], v5, s8, 0
	v_add3_u32 v7, v7, v9, v8
	v_or_b32_e32 v5, s46, v7
	v_cmp_ne_u64_e32 vcc, 0, v[4:5]
                                        ; implicit-def: $vgpr8_vgpr9
	s_and_saveexec_b64 s[4:5], vcc
	s_xor_b64 s[38:39], exec, s[4:5]
	s_cbranch_execz .LBB52_20
; %bb.19:                               ;   in Loop: Header=BB52_10 Depth=1
	s_ashr_i32 s40, s46, 31
	s_add_u32 s4, s33, s40
	s_mov_b32 s41, s40
	s_addc_u32 s5, s46, s40
	s_xor_b64 s[42:43], s[4:5], s[40:41]
	v_cvt_f32_u32_e32 v5, s42
	v_cvt_f32_u32_e32 v8, s43
	s_sub_u32 s41, 0, s42
	s_subb_u32 s44, 0, s43
	v_ashrrev_i32_e32 v9, 31, v7
	v_mac_f32_e32 v5, 0x4f800000, v8
	v_rcp_f32_e32 v5, v5
	v_mul_f32_e32 v5, 0x5f7ffffc, v5
	v_mul_f32_e32 v8, 0x2f800000, v5
	v_trunc_f32_e32 v8, v8
	v_mac_f32_e32 v5, 0xcf800000, v8
	v_cvt_u32_f32_e32 v8, v8
	v_cvt_u32_f32_e32 v5, v5
	v_readfirstlane_b32 s45, v8
	v_readfirstlane_b32 s4, v5
	s_mul_i32 s5, s41, s45
	s_mul_hi_u32 s49, s41, s4
	s_mul_i32 s48, s44, s4
	s_add_i32 s5, s49, s5
	s_add_i32 s5, s5, s48
	s_mul_i32 s50, s41, s4
	s_mul_i32 s49, s4, s5
	s_mul_hi_u32 s51, s4, s50
	s_mul_hi_u32 s48, s4, s5
	s_add_u32 s49, s51, s49
	s_addc_u32 s48, 0, s48
	s_mul_hi_u32 s52, s45, s50
	s_mul_i32 s50, s45, s50
	s_add_u32 s49, s49, s50
	s_mul_hi_u32 s51, s45, s5
	s_addc_u32 s48, s48, s52
	s_addc_u32 s49, s51, 0
	s_mul_i32 s5, s45, s5
	s_add_u32 s5, s48, s5
	s_addc_u32 s48, 0, s49
	s_add_u32 s49, s4, s5
	s_cselect_b64 s[4:5], -1, 0
	s_cmp_lg_u64 s[4:5], 0
	s_addc_u32 s45, s45, s48
	s_mul_i32 s4, s41, s45
	s_mul_hi_u32 s5, s41, s49
	s_add_i32 s4, s5, s4
	s_mul_i32 s44, s44, s49
	s_add_i32 s4, s4, s44
	s_mul_i32 s41, s41, s49
	s_mul_hi_u32 s44, s45, s41
	s_mul_i32 s48, s45, s41
	s_mul_i32 s51, s49, s4
	s_mul_hi_u32 s41, s49, s41
	s_mul_hi_u32 s50, s49, s4
	s_add_u32 s41, s41, s51
	s_addc_u32 s50, 0, s50
	s_add_u32 s41, s41, s48
	s_mul_hi_u32 s5, s45, s4
	s_addc_u32 s41, s50, s44
	s_addc_u32 s5, s5, 0
	s_mul_i32 s4, s45, s4
	s_add_u32 s4, s41, s4
	s_addc_u32 s41, 0, s5
	s_add_u32 s44, s49, s4
	s_cselect_b64 s[4:5], -1, 0
	s_cmp_lg_u64 s[4:5], 0
	v_add_co_u32_e32 v5, vcc, v6, v9
	s_addc_u32 s41, s45, s41
	v_xor_b32_e32 v10, v5, v9
	v_mad_u64_u32 v[5:6], s[4:5], v10, s41, 0
	v_mul_hi_u32 v8, v10, s44
	v_addc_co_u32_e32 v7, vcc, v7, v9, vcc
	v_xor_b32_e32 v11, v7, v9
	v_add_co_u32_e32 v16, vcc, v8, v5
	v_addc_co_u32_e32 v17, vcc, 0, v6, vcc
	v_mad_u64_u32 v[5:6], s[4:5], v11, s44, 0
	v_mad_u64_u32 v[7:8], s[4:5], v11, s41, 0
	v_add_co_u32_e32 v5, vcc, v16, v5
	v_addc_co_u32_e32 v5, vcc, v17, v6, vcc
	v_addc_co_u32_e32 v6, vcc, 0, v8, vcc
	v_add_co_u32_e32 v7, vcc, v5, v7
	v_addc_co_u32_e32 v5, vcc, 0, v6, vcc
	v_mul_lo_u32 v8, s43, v7
	v_mul_lo_u32 v16, s42, v5
	v_mad_u64_u32 v[5:6], s[4:5], s42, v7, 0
	v_add3_u32 v6, v6, v16, v8
	v_sub_u32_e32 v8, v11, v6
	v_mov_b32_e32 v16, s43
	v_sub_co_u32_e32 v5, vcc, v10, v5
	v_subb_co_u32_e64 v8, s[4:5], v8, v16, vcc
	v_subrev_co_u32_e64 v10, s[4:5], s42, v5
	v_subbrev_co_u32_e64 v8, s[4:5], 0, v8, s[4:5]
	v_cmp_le_u32_e64 s[4:5], s43, v8
	v_subb_co_u32_e32 v6, vcc, v11, v6, vcc
	v_cndmask_b32_e64 v16, 0, -1, s[4:5]
	v_cmp_le_u32_e64 s[4:5], s42, v10
	v_cmp_le_u32_e32 vcc, s43, v6
	v_cndmask_b32_e64 v10, 0, -1, s[4:5]
	v_cmp_eq_u32_e64 s[4:5], s43, v8
	v_cndmask_b32_e64 v11, 0, -1, vcc
	v_cmp_le_u32_e32 vcc, s42, v5
	v_cndmask_b32_e64 v8, v16, v10, s[4:5]
	v_cndmask_b32_e64 v5, 0, -1, vcc
	v_cmp_eq_u32_e32 vcc, s43, v6
	v_add_co_u32_e64 v10, s[4:5], 2, v7
	v_add_co_u32_e64 v16, s[4:5], 1, v7
	v_cndmask_b32_e32 v5, v11, v5, vcc
	v_cmp_ne_u32_e32 vcc, 0, v8
	v_cndmask_b32_e32 v6, v16, v10, vcc
	v_cmp_ne_u32_e32 vcc, 0, v5
	v_cndmask_b32_e32 v5, v7, v6, vcc
	v_xor_b32_e32 v6, s40, v9
	v_xor_b32_e32 v5, v5, v6
	v_sub_co_u32_e32 v8, vcc, v5, v6
                                        ; implicit-def: $vgpr6_vgpr7
.LBB52_20:                              ;   in Loop: Header=BB52_10 Depth=1
	s_andn2_saveexec_b64 s[4:5], s[38:39]
	s_cbranch_execz .LBB52_8
; %bb.21:                               ;   in Loop: Header=BB52_10 Depth=1
	v_cvt_f32_u32_e32 v5, s33
	s_sub_i32 s38, 0, s33
	v_rcp_iflag_f32_e32 v5, v5
	v_mul_f32_e32 v5, 0x4f7ffffe, v5
	v_cvt_u32_f32_e32 v5, v5
	v_mul_lo_u32 v7, s38, v5
	v_mul_hi_u32 v7, v5, v7
	v_add_u32_e32 v5, v5, v7
	v_mul_hi_u32 v5, v6, v5
	v_mul_lo_u32 v7, v5, s33
	v_add_u32_e32 v8, 1, v5
	v_sub_u32_e32 v6, v6, v7
	v_subrev_u32_e32 v7, s33, v6
	v_cmp_le_u32_e32 vcc, s33, v6
	v_cndmask_b32_e32 v6, v6, v7, vcc
	v_cndmask_b32_e32 v5, v5, v8, vcc
	v_add_u32_e32 v7, 1, v5
	v_cmp_le_u32_e32 vcc, s33, v6
	v_cndmask_b32_e32 v8, v5, v7, vcc
	s_branch .LBB52_8
.LBB52_22:
	s_or_b64 exec, exec, s[6:7]
; %bb.23:
	s_waitcnt lgkmcnt(0)
	s_barrier
	s_and_saveexec_b64 s[2:3], s[0:1]
	s_cbranch_execz .LBB52_26
; %bb.24:
	v_mad_u64_u32 v[2:3], s[0:1], s22, v0, 0
	v_and_b32_e32 v6, 0xffff, v14
	v_mov_b32_e32 v9, s17
	v_mad_u64_u32 v[3:4], s[0:1], s23, v0, v[3:4]
	v_mad_u64_u32 v[4:5], s[0:1], s22, v6, 0
	v_lshlrev_b64 v[2:3], 3, v[2:3]
	v_mad_u64_u32 v[7:8], s[0:1], s23, v6, v[5:6]
	v_add_co_u32_e32 v2, vcc, s16, v2
	v_mov_b32_e32 v5, v7
	v_lshlrev_b64 v[4:5], 3, v[4:5]
	v_addc_co_u32_e32 v3, vcc, v9, v3, vcc
	v_lshlrev_b32_e32 v7, 3, v13
	s_mov_b64 s[0:1], 0
.LBB52_25:                              ; =>This Inner Loop Header: Depth=1
	ds_read_b64 v[8:9], v12
	v_add_co_u32_e32 v0, vcc, v0, v6
	v_addc_co_u32_e32 v1, vcc, 0, v1, vcc
	s_waitcnt lgkmcnt(0)
	global_atomic_add_x2 v[2:3], v[8:9], off
	v_cmp_le_i64_e32 vcc, s[18:19], v[0:1]
	v_add_u32_e32 v12, v12, v7
	s_or_b64 s[0:1], vcc, s[0:1]
	v_add_co_u32_e32 v2, vcc, v2, v4
	v_addc_co_u32_e32 v3, vcc, v3, v5, vcc
	s_andn2_b64 exec, exec, s[0:1]
	s_cbranch_execnz .LBB52_25
.LBB52_26:
	s_endpgm
	.section	.rodata,"a",@progbits
	.p2align	6, 0x0
	.amdhsa_kernel _ZN2at4cuda17kernelHistogram1DIlslLi1ELi2ELin1ELNS0_23CUDAHistogramMemoryTypeE0EZNS0_21CUDA_tensor_histogramIlsLb0EEEbNS_6TensorES4_S4_lNS_14AccumulateTypeIT0_Lb1EE4typeES8_NS0_13TensorArgTypeES9_S9_EUllE_EEvNS0_6detail10TensorInfoIT_T1_EESF_NSC_IKS6_SE_EElS8_S8_SE_T6_
		.amdhsa_group_segment_fixed_size 0
		.amdhsa_private_segment_fixed_size 0
		.amdhsa_kernarg_size 1952
		.amdhsa_user_sgpr_count 6
		.amdhsa_user_sgpr_private_segment_buffer 1
		.amdhsa_user_sgpr_dispatch_ptr 0
		.amdhsa_user_sgpr_queue_ptr 0
		.amdhsa_user_sgpr_kernarg_segment_ptr 1
		.amdhsa_user_sgpr_dispatch_id 0
		.amdhsa_user_sgpr_flat_scratch_init 0
		.amdhsa_user_sgpr_private_segment_size 0
		.amdhsa_uses_dynamic_stack 0
		.amdhsa_system_sgpr_private_segment_wavefront_offset 0
		.amdhsa_system_sgpr_workgroup_id_x 1
		.amdhsa_system_sgpr_workgroup_id_y 0
		.amdhsa_system_sgpr_workgroup_id_z 0
		.amdhsa_system_sgpr_workgroup_info 0
		.amdhsa_system_vgpr_workitem_id 0
		.amdhsa_next_free_vgpr 24
		.amdhsa_next_free_sgpr 56
		.amdhsa_reserve_vcc 1
		.amdhsa_reserve_flat_scratch 0
		.amdhsa_float_round_mode_32 0
		.amdhsa_float_round_mode_16_64 0
		.amdhsa_float_denorm_mode_32 3
		.amdhsa_float_denorm_mode_16_64 3
		.amdhsa_dx10_clamp 1
		.amdhsa_ieee_mode 1
		.amdhsa_fp16_overflow 0
		.amdhsa_exception_fp_ieee_invalid_op 0
		.amdhsa_exception_fp_denorm_src 0
		.amdhsa_exception_fp_ieee_div_zero 0
		.amdhsa_exception_fp_ieee_overflow 0
		.amdhsa_exception_fp_ieee_underflow 0
		.amdhsa_exception_fp_ieee_inexact 0
		.amdhsa_exception_int_div_zero 0
	.end_amdhsa_kernel
	.section	.text._ZN2at4cuda17kernelHistogram1DIlslLi1ELi2ELin1ELNS0_23CUDAHistogramMemoryTypeE0EZNS0_21CUDA_tensor_histogramIlsLb0EEEbNS_6TensorES4_S4_lNS_14AccumulateTypeIT0_Lb1EE4typeES8_NS0_13TensorArgTypeES9_S9_EUllE_EEvNS0_6detail10TensorInfoIT_T1_EESF_NSC_IKS6_SE_EElS8_S8_SE_T6_,"axG",@progbits,_ZN2at4cuda17kernelHistogram1DIlslLi1ELi2ELin1ELNS0_23CUDAHistogramMemoryTypeE0EZNS0_21CUDA_tensor_histogramIlsLb0EEEbNS_6TensorES4_S4_lNS_14AccumulateTypeIT0_Lb1EE4typeES8_NS0_13TensorArgTypeES9_S9_EUllE_EEvNS0_6detail10TensorInfoIT_T1_EESF_NSC_IKS6_SE_EElS8_S8_SE_T6_,comdat
.Lfunc_end52:
	.size	_ZN2at4cuda17kernelHistogram1DIlslLi1ELi2ELin1ELNS0_23CUDAHistogramMemoryTypeE0EZNS0_21CUDA_tensor_histogramIlsLb0EEEbNS_6TensorES4_S4_lNS_14AccumulateTypeIT0_Lb1EE4typeES8_NS0_13TensorArgTypeES9_S9_EUllE_EEvNS0_6detail10TensorInfoIT_T1_EESF_NSC_IKS6_SE_EElS8_S8_SE_T6_, .Lfunc_end52-_ZN2at4cuda17kernelHistogram1DIlslLi1ELi2ELin1ELNS0_23CUDAHistogramMemoryTypeE0EZNS0_21CUDA_tensor_histogramIlsLb0EEEbNS_6TensorES4_S4_lNS_14AccumulateTypeIT0_Lb1EE4typeES8_NS0_13TensorArgTypeES9_S9_EUllE_EEvNS0_6detail10TensorInfoIT_T1_EESF_NSC_IKS6_SE_EElS8_S8_SE_T6_
                                        ; -- End function
	.set _ZN2at4cuda17kernelHistogram1DIlslLi1ELi2ELin1ELNS0_23CUDAHistogramMemoryTypeE0EZNS0_21CUDA_tensor_histogramIlsLb0EEEbNS_6TensorES4_S4_lNS_14AccumulateTypeIT0_Lb1EE4typeES8_NS0_13TensorArgTypeES9_S9_EUllE_EEvNS0_6detail10TensorInfoIT_T1_EESF_NSC_IKS6_SE_EElS8_S8_SE_T6_.num_vgpr, 24
	.set _ZN2at4cuda17kernelHistogram1DIlslLi1ELi2ELin1ELNS0_23CUDAHistogramMemoryTypeE0EZNS0_21CUDA_tensor_histogramIlsLb0EEEbNS_6TensorES4_S4_lNS_14AccumulateTypeIT0_Lb1EE4typeES8_NS0_13TensorArgTypeES9_S9_EUllE_EEvNS0_6detail10TensorInfoIT_T1_EESF_NSC_IKS6_SE_EElS8_S8_SE_T6_.num_agpr, 0
	.set _ZN2at4cuda17kernelHistogram1DIlslLi1ELi2ELin1ELNS0_23CUDAHistogramMemoryTypeE0EZNS0_21CUDA_tensor_histogramIlsLb0EEEbNS_6TensorES4_S4_lNS_14AccumulateTypeIT0_Lb1EE4typeES8_NS0_13TensorArgTypeES9_S9_EUllE_EEvNS0_6detail10TensorInfoIT_T1_EESF_NSC_IKS6_SE_EElS8_S8_SE_T6_.numbered_sgpr, 56
	.set _ZN2at4cuda17kernelHistogram1DIlslLi1ELi2ELin1ELNS0_23CUDAHistogramMemoryTypeE0EZNS0_21CUDA_tensor_histogramIlsLb0EEEbNS_6TensorES4_S4_lNS_14AccumulateTypeIT0_Lb1EE4typeES8_NS0_13TensorArgTypeES9_S9_EUllE_EEvNS0_6detail10TensorInfoIT_T1_EESF_NSC_IKS6_SE_EElS8_S8_SE_T6_.num_named_barrier, 0
	.set _ZN2at4cuda17kernelHistogram1DIlslLi1ELi2ELin1ELNS0_23CUDAHistogramMemoryTypeE0EZNS0_21CUDA_tensor_histogramIlsLb0EEEbNS_6TensorES4_S4_lNS_14AccumulateTypeIT0_Lb1EE4typeES8_NS0_13TensorArgTypeES9_S9_EUllE_EEvNS0_6detail10TensorInfoIT_T1_EESF_NSC_IKS6_SE_EElS8_S8_SE_T6_.private_seg_size, 0
	.set _ZN2at4cuda17kernelHistogram1DIlslLi1ELi2ELin1ELNS0_23CUDAHistogramMemoryTypeE0EZNS0_21CUDA_tensor_histogramIlsLb0EEEbNS_6TensorES4_S4_lNS_14AccumulateTypeIT0_Lb1EE4typeES8_NS0_13TensorArgTypeES9_S9_EUllE_EEvNS0_6detail10TensorInfoIT_T1_EESF_NSC_IKS6_SE_EElS8_S8_SE_T6_.uses_vcc, 1
	.set _ZN2at4cuda17kernelHistogram1DIlslLi1ELi2ELin1ELNS0_23CUDAHistogramMemoryTypeE0EZNS0_21CUDA_tensor_histogramIlsLb0EEEbNS_6TensorES4_S4_lNS_14AccumulateTypeIT0_Lb1EE4typeES8_NS0_13TensorArgTypeES9_S9_EUllE_EEvNS0_6detail10TensorInfoIT_T1_EESF_NSC_IKS6_SE_EElS8_S8_SE_T6_.uses_flat_scratch, 0
	.set _ZN2at4cuda17kernelHistogram1DIlslLi1ELi2ELin1ELNS0_23CUDAHistogramMemoryTypeE0EZNS0_21CUDA_tensor_histogramIlsLb0EEEbNS_6TensorES4_S4_lNS_14AccumulateTypeIT0_Lb1EE4typeES8_NS0_13TensorArgTypeES9_S9_EUllE_EEvNS0_6detail10TensorInfoIT_T1_EESF_NSC_IKS6_SE_EElS8_S8_SE_T6_.has_dyn_sized_stack, 0
	.set _ZN2at4cuda17kernelHistogram1DIlslLi1ELi2ELin1ELNS0_23CUDAHistogramMemoryTypeE0EZNS0_21CUDA_tensor_histogramIlsLb0EEEbNS_6TensorES4_S4_lNS_14AccumulateTypeIT0_Lb1EE4typeES8_NS0_13TensorArgTypeES9_S9_EUllE_EEvNS0_6detail10TensorInfoIT_T1_EESF_NSC_IKS6_SE_EElS8_S8_SE_T6_.has_recursion, 0
	.set _ZN2at4cuda17kernelHistogram1DIlslLi1ELi2ELin1ELNS0_23CUDAHistogramMemoryTypeE0EZNS0_21CUDA_tensor_histogramIlsLb0EEEbNS_6TensorES4_S4_lNS_14AccumulateTypeIT0_Lb1EE4typeES8_NS0_13TensorArgTypeES9_S9_EUllE_EEvNS0_6detail10TensorInfoIT_T1_EESF_NSC_IKS6_SE_EElS8_S8_SE_T6_.has_indirect_call, 0
	.section	.AMDGPU.csdata,"",@progbits
; Kernel info:
; codeLenInByte = 2436
; TotalNumSgprs: 60
; NumVgprs: 24
; ScratchSize: 0
; MemoryBound: 0
; FloatMode: 240
; IeeeMode: 1
; LDSByteSize: 0 bytes/workgroup (compile time only)
; SGPRBlocks: 7
; VGPRBlocks: 5
; NumSGPRsForWavesPerEU: 60
; NumVGPRsForWavesPerEU: 24
; Occupancy: 10
; WaveLimiterHint : 1
; COMPUTE_PGM_RSRC2:SCRATCH_EN: 0
; COMPUTE_PGM_RSRC2:USER_SGPR: 6
; COMPUTE_PGM_RSRC2:TRAP_HANDLER: 0
; COMPUTE_PGM_RSRC2:TGID_X_EN: 1
; COMPUTE_PGM_RSRC2:TGID_Y_EN: 0
; COMPUTE_PGM_RSRC2:TGID_Z_EN: 0
; COMPUTE_PGM_RSRC2:TIDIG_COMP_CNT: 0
	.section	.text._ZN2at4cuda17kernelHistogram1DIlslLi1ELi2ELin1ELNS0_23CUDAHistogramMemoryTypeE1EZNS0_21CUDA_tensor_histogramIlsLb0EEEbNS_6TensorES4_S4_lNS_14AccumulateTypeIT0_Lb1EE4typeES8_NS0_13TensorArgTypeES9_S9_EUllE_EEvNS0_6detail10TensorInfoIT_T1_EESF_NSC_IKS6_SE_EElS8_S8_SE_T6_,"axG",@progbits,_ZN2at4cuda17kernelHistogram1DIlslLi1ELi2ELin1ELNS0_23CUDAHistogramMemoryTypeE1EZNS0_21CUDA_tensor_histogramIlsLb0EEEbNS_6TensorES4_S4_lNS_14AccumulateTypeIT0_Lb1EE4typeES8_NS0_13TensorArgTypeES9_S9_EUllE_EEvNS0_6detail10TensorInfoIT_T1_EESF_NSC_IKS6_SE_EElS8_S8_SE_T6_,comdat
	.protected	_ZN2at4cuda17kernelHistogram1DIlslLi1ELi2ELin1ELNS0_23CUDAHistogramMemoryTypeE1EZNS0_21CUDA_tensor_histogramIlsLb0EEEbNS_6TensorES4_S4_lNS_14AccumulateTypeIT0_Lb1EE4typeES8_NS0_13TensorArgTypeES9_S9_EUllE_EEvNS0_6detail10TensorInfoIT_T1_EESF_NSC_IKS6_SE_EElS8_S8_SE_T6_ ; -- Begin function _ZN2at4cuda17kernelHistogram1DIlslLi1ELi2ELin1ELNS0_23CUDAHistogramMemoryTypeE1EZNS0_21CUDA_tensor_histogramIlsLb0EEEbNS_6TensorES4_S4_lNS_14AccumulateTypeIT0_Lb1EE4typeES8_NS0_13TensorArgTypeES9_S9_EUllE_EEvNS0_6detail10TensorInfoIT_T1_EESF_NSC_IKS6_SE_EElS8_S8_SE_T6_
	.globl	_ZN2at4cuda17kernelHistogram1DIlslLi1ELi2ELin1ELNS0_23CUDAHistogramMemoryTypeE1EZNS0_21CUDA_tensor_histogramIlsLb0EEEbNS_6TensorES4_S4_lNS_14AccumulateTypeIT0_Lb1EE4typeES8_NS0_13TensorArgTypeES9_S9_EUllE_EEvNS0_6detail10TensorInfoIT_T1_EESF_NSC_IKS6_SE_EElS8_S8_SE_T6_
	.p2align	8
	.type	_ZN2at4cuda17kernelHistogram1DIlslLi1ELi2ELin1ELNS0_23CUDAHistogramMemoryTypeE1EZNS0_21CUDA_tensor_histogramIlsLb0EEEbNS_6TensorES4_S4_lNS_14AccumulateTypeIT0_Lb1EE4typeES8_NS0_13TensorArgTypeES9_S9_EUllE_EEvNS0_6detail10TensorInfoIT_T1_EESF_NSC_IKS6_SE_EElS8_S8_SE_T6_,@function
_ZN2at4cuda17kernelHistogram1DIlslLi1ELi2ELin1ELNS0_23CUDAHistogramMemoryTypeE1EZNS0_21CUDA_tensor_histogramIlsLb0EEEbNS_6TensorES4_S4_lNS_14AccumulateTypeIT0_Lb1EE4typeES8_NS0_13TensorArgTypeES9_S9_EUllE_EEvNS0_6detail10TensorInfoIT_T1_EESF_NSC_IKS6_SE_EElS8_S8_SE_T6_: ; @_ZN2at4cuda17kernelHistogram1DIlslLi1ELi2ELin1ELNS0_23CUDAHistogramMemoryTypeE1EZNS0_21CUDA_tensor_histogramIlsLb0EEEbNS_6TensorES4_S4_lNS_14AccumulateTypeIT0_Lb1EE4typeES8_NS0_13TensorArgTypeES9_S9_EUllE_EEvNS0_6detail10TensorInfoIT_T1_EESF_NSC_IKS6_SE_EElS8_S8_SE_T6_
; %bb.0:
	s_load_dword s2, s[4:5], 0x6ac
	s_load_dwordx8 s[8:15], s[4:5], 0x4e0
	s_add_u32 s0, s4, 0x6a0
	s_addc_u32 s1, s5, 0
	v_mov_b32_e32 v2, 0
	s_waitcnt lgkmcnt(0)
	s_and_b32 s2, s2, 0xffff
	s_mul_i32 s6, s6, s2
	v_add_u32_e32 v0, s6, v0
	v_mov_b32_e32 v1, v2
	v_cmp_gt_i64_e32 vcc, s[14:15], v[0:1]
	s_and_saveexec_b64 s[6:7], vcc
	s_cbranch_execz .LBB53_16
; %bb.1:
	s_load_dwordx2 s[6:7], s[4:5], 0x5d0
	s_load_dword s26, s[4:5], 0x4d8
	s_load_dwordx2 s[16:17], s[4:5], 0x500
	s_load_dword s3, s[0:1], 0x0
	s_add_u32 s27, s4, 0x340
	s_addc_u32 s28, s5, 0
	s_waitcnt lgkmcnt(0)
	s_cmp_gt_i32 s26, 1
	s_cselect_b64 s[0:1], -1, 0
	s_load_dwordx2 s[18:19], s[4:5], 0x0
	s_load_dwordx2 s[20:21], s[4:5], 0xd0
	;; [unrolled: 1-line block ×4, first 2 shown]
	s_sub_u32 s33, s12, s10
	s_subb_u32 s40, s13, s11
	s_mul_i32 s41, s3, s2
	s_mov_b32 s3, 0
	s_add_i32 s2, s26, -1
	s_add_i32 s42, s26, 1
	s_lshl_b64 s[2:3], s[2:3], 3
	s_add_u32 s2, s27, s2
	s_addc_u32 s3, s28, s3
	s_add_u32 s4, s2, 8
	v_cndmask_b32_e64 v3, 0, 1, s[0:1]
	s_addc_u32 s5, s3, 0
	s_mov_b64 s[26:27], 0
	v_cmp_ne_u32_e64 s[0:1], 1, v3
	s_branch .LBB53_4
.LBB53_2:                               ;   in Loop: Header=BB53_4 Depth=1
	s_or_b64 exec, exec, s[2:3]
	v_mul_lo_u32 v5, v1, s6
	v_mul_lo_u32 v7, v0, s7
	v_mad_u64_u32 v[3:4], s[2:3], v0, s6, 0
	v_add3_u32 v4, v4, v7, v5
	v_lshlrev_b64 v[3:4], 3, v[3:4]
	v_mov_b32_e32 v5, s17
	v_add_co_u32_e32 v3, vcc, s16, v3
	v_addc_co_u32_e32 v4, vcc, v5, v4, vcc
	global_load_dwordx2 v[3:4], v[3:4], off
	v_ashrrev_i32_e32 v7, 31, v6
	v_cmp_eq_u64_e32 vcc, s[8:9], v[6:7]
	v_cndmask_b32_e64 v5, 0, 1, vcc
	v_sub_co_u32_e32 v5, vcc, v6, v5
	v_subbrev_co_u32_e32 v6, vcc, 0, v7, vcc
	v_mul_lo_u32 v7, v6, s20
	v_mul_lo_u32 v8, v5, s21
	v_mad_u64_u32 v[5:6], s[2:3], v5, s20, 0
	v_add3_u32 v6, v6, v8, v7
	v_lshlrev_b64 v[5:6], 3, v[5:6]
	v_mov_b32_e32 v7, s19
	v_add_co_u32_e32 v5, vcc, s18, v5
	v_addc_co_u32_e32 v6, vcc, v7, v6, vcc
	s_waitcnt vmcnt(0)
	global_atomic_add_x2 v[5:6], v[3:4], off
.LBB53_3:                               ;   in Loop: Header=BB53_4 Depth=1
	s_or_b64 exec, exec, s[28:29]
	v_add_co_u32_e32 v0, vcc, s41, v0
	v_addc_co_u32_e32 v1, vcc, 0, v1, vcc
	v_cmp_le_i64_e32 vcc, s[14:15], v[0:1]
	s_or_b64 s[26:27], vcc, s[26:27]
	s_andn2_b64 exec, exec, s[26:27]
	s_cbranch_execz .LBB53_16
.LBB53_4:                               ; =>This Loop Header: Depth=1
                                        ;     Child Loop BB53_5 Depth 2
	v_mov_b32_e32 v4, 0
	v_mov_b32_e32 v7, v1
	;; [unrolled: 1-line block ×4, first 2 shown]
	s_and_b64 vcc, exec, s[0:1]
	s_mov_b64 s[28:29], s[4:5]
	s_mov_b32 s43, s42
	v_mov_b32_e32 v6, v0
	v_mov_b32_e32 v8, v0
	s_cbranch_vccnz .LBB53_11
.LBB53_5:                               ;   Parent Loop BB53_4 Depth=1
                                        ; =>  This Inner Loop Header: Depth=2
	s_load_dwordx2 s[30:31], s[28:29], 0x0
                                        ; implicit-def: $vgpr8_vgpr9
	s_waitcnt lgkmcnt(0)
	v_or_b32_e32 v3, s31, v7
	v_cmp_ne_u64_e32 vcc, 0, v[2:3]
	s_and_saveexec_b64 s[2:3], vcc
	s_xor_b64 s[34:35], exec, s[2:3]
	s_cbranch_execz .LBB53_7
; %bb.6:                                ;   in Loop: Header=BB53_5 Depth=2
	s_ashr_i32 s36, s31, 31
	s_add_u32 s2, s30, s36
	s_mov_b32 s37, s36
	s_addc_u32 s3, s31, s36
	s_xor_b64 s[38:39], s[2:3], s[36:37]
	v_cvt_f32_u32_e32 v3, s38
	v_cvt_f32_u32_e32 v8, s39
	s_sub_u32 s37, 0, s38
	s_subb_u32 s44, 0, s39
	v_mac_f32_e32 v3, 0x4f800000, v8
	v_rcp_f32_e32 v3, v3
	v_mul_f32_e32 v3, 0x5f7ffffc, v3
	v_mul_f32_e32 v8, 0x2f800000, v3
	v_trunc_f32_e32 v8, v8
	v_mac_f32_e32 v3, 0xcf800000, v8
	v_cvt_u32_f32_e32 v8, v8
	v_cvt_u32_f32_e32 v3, v3
	v_readfirstlane_b32 s45, v8
	v_readfirstlane_b32 s2, v3
	s_mul_i32 s3, s37, s45
	s_mul_hi_u32 s47, s37, s2
	s_mul_i32 s46, s44, s2
	s_add_i32 s3, s47, s3
	s_add_i32 s3, s3, s46
	s_mul_i32 s48, s37, s2
	s_mul_i32 s47, s2, s3
	s_mul_hi_u32 s49, s2, s48
	s_mul_hi_u32 s46, s2, s3
	s_add_u32 s47, s49, s47
	s_addc_u32 s46, 0, s46
	s_mul_hi_u32 s50, s45, s48
	s_mul_i32 s48, s45, s48
	s_add_u32 s47, s47, s48
	s_mul_hi_u32 s49, s45, s3
	s_addc_u32 s46, s46, s50
	s_addc_u32 s47, s49, 0
	s_mul_i32 s3, s45, s3
	s_add_u32 s3, s46, s3
	s_addc_u32 s46, 0, s47
	s_add_u32 s47, s2, s3
	s_cselect_b64 s[2:3], -1, 0
	s_cmp_lg_u64 s[2:3], 0
	s_addc_u32 s45, s45, s46
	s_mul_i32 s2, s37, s45
	s_mul_hi_u32 s3, s37, s47
	s_add_i32 s2, s3, s2
	s_mul_i32 s44, s44, s47
	s_add_i32 s2, s2, s44
	s_mul_i32 s37, s37, s47
	s_mul_hi_u32 s44, s45, s37
	s_mul_i32 s46, s45, s37
	s_mul_i32 s49, s47, s2
	s_mul_hi_u32 s37, s47, s37
	s_mul_hi_u32 s48, s47, s2
	s_add_u32 s37, s37, s49
	s_addc_u32 s48, 0, s48
	s_add_u32 s37, s37, s46
	s_mul_hi_u32 s3, s45, s2
	s_addc_u32 s37, s48, s44
	s_addc_u32 s3, s3, 0
	s_mul_i32 s2, s45, s2
	s_add_u32 s2, s37, s2
	s_addc_u32 s37, 0, s3
	s_add_u32 s44, s47, s2
	s_cselect_b64 s[2:3], -1, 0
	v_ashrrev_i32_e32 v3, 31, v7
	s_cmp_lg_u64 s[2:3], 0
	v_add_co_u32_e32 v8, vcc, v6, v3
	s_addc_u32 s37, s45, s37
	v_xor_b32_e32 v12, v8, v3
	v_mad_u64_u32 v[8:9], s[2:3], v12, s37, 0
	v_mul_hi_u32 v11, v12, s44
	v_addc_co_u32_e32 v10, vcc, v7, v3, vcc
	v_xor_b32_e32 v13, v10, v3
	v_add_co_u32_e32 v14, vcc, v11, v8
	v_addc_co_u32_e32 v15, vcc, 0, v9, vcc
	v_mad_u64_u32 v[8:9], s[2:3], v13, s44, 0
	v_mad_u64_u32 v[10:11], s[2:3], v13, s37, 0
	v_add_co_u32_e32 v8, vcc, v14, v8
	v_addc_co_u32_e32 v8, vcc, v15, v9, vcc
	v_addc_co_u32_e32 v9, vcc, 0, v11, vcc
	v_add_co_u32_e32 v10, vcc, v8, v10
	v_addc_co_u32_e32 v11, vcc, 0, v9, vcc
	v_mul_lo_u32 v14, s39, v10
	v_mul_lo_u32 v15, s38, v11
	v_mad_u64_u32 v[8:9], s[2:3], s38, v10, 0
	v_xor_b32_e32 v3, s36, v3
	v_add3_u32 v9, v9, v15, v14
	v_sub_u32_e32 v14, v13, v9
	v_mov_b32_e32 v15, s39
	v_sub_co_u32_e32 v8, vcc, v12, v8
	v_subb_co_u32_e64 v12, s[2:3], v14, v15, vcc
	v_subrev_co_u32_e64 v14, s[2:3], s38, v8
	v_subbrev_co_u32_e64 v12, s[2:3], 0, v12, s[2:3]
	v_cmp_le_u32_e64 s[2:3], s39, v12
	v_cndmask_b32_e64 v15, 0, -1, s[2:3]
	v_cmp_le_u32_e64 s[2:3], s38, v14
	v_cndmask_b32_e64 v14, 0, -1, s[2:3]
	v_cmp_eq_u32_e64 s[2:3], s39, v12
	v_cndmask_b32_e64 v12, v15, v14, s[2:3]
	v_add_co_u32_e64 v14, s[2:3], 2, v10
	v_subb_co_u32_e32 v9, vcc, v13, v9, vcc
	v_addc_co_u32_e64 v15, s[2:3], 0, v11, s[2:3]
	v_cmp_le_u32_e32 vcc, s39, v9
	v_add_co_u32_e64 v16, s[2:3], 1, v10
	v_cndmask_b32_e64 v13, 0, -1, vcc
	v_cmp_le_u32_e32 vcc, s38, v8
	v_addc_co_u32_e64 v17, s[2:3], 0, v11, s[2:3]
	v_cndmask_b32_e64 v8, 0, -1, vcc
	v_cmp_eq_u32_e32 vcc, s39, v9
	v_cmp_ne_u32_e64 s[2:3], 0, v12
	v_cndmask_b32_e32 v8, v13, v8, vcc
	v_cndmask_b32_e64 v12, v17, v15, s[2:3]
	v_cmp_ne_u32_e32 vcc, 0, v8
	v_cndmask_b32_e64 v9, v16, v14, s[2:3]
	v_cndmask_b32_e32 v8, v11, v12, vcc
	v_cndmask_b32_e32 v9, v10, v9, vcc
	v_xor_b32_e32 v10, v8, v3
	v_xor_b32_e32 v8, v9, v3
	v_sub_co_u32_e32 v8, vcc, v8, v3
	v_subb_co_u32_e32 v9, vcc, v10, v3, vcc
.LBB53_7:                               ;   in Loop: Header=BB53_5 Depth=2
	s_andn2_saveexec_b64 s[2:3], s[34:35]
	s_cbranch_execz .LBB53_9
; %bb.8:                                ;   in Loop: Header=BB53_5 Depth=2
	v_cvt_f32_u32_e32 v3, s30
	s_sub_i32 s34, 0, s30
	v_rcp_iflag_f32_e32 v3, v3
	v_mul_f32_e32 v3, 0x4f7ffffe, v3
	v_cvt_u32_f32_e32 v3, v3
	v_mul_lo_u32 v8, s34, v3
	v_mul_hi_u32 v8, v3, v8
	v_add_u32_e32 v3, v3, v8
	v_mul_hi_u32 v3, v6, v3
	v_mul_lo_u32 v8, v3, s30
	v_add_u32_e32 v9, 1, v3
	v_sub_u32_e32 v8, v6, v8
	v_subrev_u32_e32 v10, s30, v8
	v_cmp_le_u32_e32 vcc, s30, v8
	v_cndmask_b32_e32 v8, v8, v10, vcc
	v_cndmask_b32_e32 v3, v3, v9, vcc
	v_add_u32_e32 v9, 1, v3
	v_cmp_le_u32_e32 vcc, s30, v8
	v_cndmask_b32_e32 v8, v3, v9, vcc
	v_mov_b32_e32 v9, v2
.LBB53_9:                               ;   in Loop: Header=BB53_5 Depth=2
	s_or_b64 exec, exec, s[2:3]
	v_mul_lo_u32 v3, v9, s30
	v_mul_lo_u32 v12, v8, s31
	v_mad_u64_u32 v[10:11], s[2:3], v8, s30, 0
	s_load_dwordx2 s[2:3], s[28:29], 0xc8
	s_add_i32 s43, s43, -1
	v_add3_u32 v3, v11, v12, v3
	v_sub_co_u32_e32 v6, vcc, v6, v10
	v_subb_co_u32_e32 v3, vcc, v7, v3, vcc
	s_waitcnt lgkmcnt(0)
	v_mul_lo_u32 v3, s2, v3
	v_mul_lo_u32 v7, s3, v6
	v_mad_u64_u32 v[4:5], s[2:3], s2, v6, v[4:5]
	s_add_u32 s28, s28, -8
	s_addc_u32 s29, s29, -1
	s_cmp_gt_u32 s43, 2
	v_add3_u32 v5, v7, v5, v3
	s_cbranch_scc0 .LBB53_11
; %bb.10:                               ;   in Loop: Header=BB53_5 Depth=2
	v_mov_b32_e32 v6, v8
	v_mov_b32_e32 v7, v9
	s_branch .LBB53_5
.LBB53_11:                              ;   in Loop: Header=BB53_4 Depth=1
	s_waitcnt lgkmcnt(0)
	v_mul_lo_u32 v3, s23, v8
	v_mul_lo_u32 v9, s22, v9
	v_mad_u64_u32 v[6:7], s[2:3], s22, v8, 0
	v_add3_u32 v7, v7, v9, v3
	v_lshlrev_b64 v[6:7], 1, v[6:7]
	v_mov_b32_e32 v3, s25
	v_add_co_u32_e32 v6, vcc, s24, v6
	v_addc_co_u32_e32 v7, vcc, v3, v7, vcc
	v_lshlrev_b64 v[3:4], 1, v[4:5]
	v_add_co_u32_e32 v3, vcc, v6, v3
	v_addc_co_u32_e32 v4, vcc, v7, v4, vcc
	global_load_ushort v3, v[3:4], off
	s_waitcnt vmcnt(0)
	v_bfe_i32 v3, v3, 0, 16
	v_ashrrev_i32_e32 v4, 31, v3
	v_cmp_le_i64_e32 vcc, s[10:11], v[3:4]
	v_cmp_ge_i64_e64 s[2:3], s[12:13], v[3:4]
	s_and_b64 s[2:3], vcc, s[2:3]
	s_and_saveexec_b64 s[28:29], s[2:3]
	s_cbranch_execz .LBB53_3
; %bb.12:                               ;   in Loop: Header=BB53_4 Depth=1
	v_mov_b32_e32 v5, s11
	v_subrev_co_u32_e32 v3, vcc, s10, v3
	v_subb_co_u32_e32 v4, vcc, v4, v5, vcc
	v_mul_lo_u32 v6, v4, s8
	v_mul_lo_u32 v7, v3, s9
	v_mad_u64_u32 v[4:5], s[2:3], v3, s8, 0
	v_add3_u32 v5, v5, v7, v6
	v_or_b32_e32 v3, s40, v5
	v_cmp_ne_u64_e32 vcc, 0, v[2:3]
                                        ; implicit-def: $vgpr6_vgpr7
	s_and_saveexec_b64 s[2:3], vcc
	s_xor_b64 s[30:31], exec, s[2:3]
	s_cbranch_execz .LBB53_14
; %bb.13:                               ;   in Loop: Header=BB53_4 Depth=1
	s_ashr_i32 s34, s40, 31
	s_add_u32 s2, s33, s34
	s_mov_b32 s35, s34
	s_addc_u32 s3, s40, s34
	s_xor_b64 s[36:37], s[2:3], s[34:35]
	v_cvt_f32_u32_e32 v3, s36
	v_cvt_f32_u32_e32 v6, s37
	s_sub_u32 s35, 0, s36
	s_subb_u32 s38, 0, s37
	v_ashrrev_i32_e32 v7, 31, v5
	v_mac_f32_e32 v3, 0x4f800000, v6
	v_rcp_f32_e32 v3, v3
	v_mul_f32_e32 v3, 0x5f7ffffc, v3
	v_mul_f32_e32 v6, 0x2f800000, v3
	v_trunc_f32_e32 v6, v6
	v_mac_f32_e32 v3, 0xcf800000, v6
	v_cvt_u32_f32_e32 v6, v6
	v_cvt_u32_f32_e32 v3, v3
	v_readfirstlane_b32 s39, v6
	v_readfirstlane_b32 s2, v3
	s_mul_i32 s3, s35, s39
	s_mul_hi_u32 s44, s35, s2
	s_mul_i32 s43, s38, s2
	s_add_i32 s3, s44, s3
	s_add_i32 s3, s3, s43
	s_mul_i32 s45, s35, s2
	s_mul_i32 s44, s2, s3
	s_mul_hi_u32 s46, s2, s45
	s_mul_hi_u32 s43, s2, s3
	s_add_u32 s44, s46, s44
	s_addc_u32 s43, 0, s43
	s_mul_hi_u32 s47, s39, s45
	s_mul_i32 s45, s39, s45
	s_add_u32 s44, s44, s45
	s_mul_hi_u32 s46, s39, s3
	s_addc_u32 s43, s43, s47
	s_addc_u32 s44, s46, 0
	s_mul_i32 s3, s39, s3
	s_add_u32 s3, s43, s3
	s_addc_u32 s43, 0, s44
	s_add_u32 s44, s2, s3
	s_cselect_b64 s[2:3], -1, 0
	s_cmp_lg_u64 s[2:3], 0
	s_addc_u32 s39, s39, s43
	s_mul_i32 s2, s35, s39
	s_mul_hi_u32 s3, s35, s44
	s_add_i32 s2, s3, s2
	s_mul_i32 s38, s38, s44
	s_add_i32 s2, s2, s38
	s_mul_i32 s35, s35, s44
	s_mul_hi_u32 s38, s39, s35
	s_mul_i32 s43, s39, s35
	s_mul_i32 s46, s44, s2
	s_mul_hi_u32 s35, s44, s35
	s_mul_hi_u32 s45, s44, s2
	s_add_u32 s35, s35, s46
	s_addc_u32 s45, 0, s45
	s_add_u32 s35, s35, s43
	s_mul_hi_u32 s3, s39, s2
	s_addc_u32 s35, s45, s38
	s_addc_u32 s3, s3, 0
	s_mul_i32 s2, s39, s2
	s_add_u32 s2, s35, s2
	s_addc_u32 s35, 0, s3
	s_add_u32 s38, s44, s2
	s_cselect_b64 s[2:3], -1, 0
	s_cmp_lg_u64 s[2:3], 0
	v_add_co_u32_e32 v3, vcc, v4, v7
	s_addc_u32 s35, s39, s35
	v_xor_b32_e32 v8, v3, v7
	v_mad_u64_u32 v[3:4], s[2:3], v8, s35, 0
	v_mul_hi_u32 v6, v8, s38
	v_addc_co_u32_e32 v5, vcc, v5, v7, vcc
	v_xor_b32_e32 v9, v5, v7
	v_add_co_u32_e32 v10, vcc, v6, v3
	v_addc_co_u32_e32 v11, vcc, 0, v4, vcc
	v_mad_u64_u32 v[3:4], s[2:3], v9, s38, 0
	v_mad_u64_u32 v[5:6], s[2:3], v9, s35, 0
	v_add_co_u32_e32 v3, vcc, v10, v3
	v_addc_co_u32_e32 v3, vcc, v11, v4, vcc
	v_addc_co_u32_e32 v4, vcc, 0, v6, vcc
	v_add_co_u32_e32 v5, vcc, v3, v5
	v_addc_co_u32_e32 v3, vcc, 0, v4, vcc
	v_mul_lo_u32 v6, s37, v5
	v_mul_lo_u32 v10, s36, v3
	v_mad_u64_u32 v[3:4], s[2:3], s36, v5, 0
	v_add3_u32 v4, v4, v10, v6
	v_sub_u32_e32 v6, v9, v4
	v_mov_b32_e32 v10, s37
	v_sub_co_u32_e32 v3, vcc, v8, v3
	v_subb_co_u32_e64 v6, s[2:3], v6, v10, vcc
	v_subrev_co_u32_e64 v8, s[2:3], s36, v3
	v_subbrev_co_u32_e64 v6, s[2:3], 0, v6, s[2:3]
	v_cmp_le_u32_e64 s[2:3], s37, v6
	v_subb_co_u32_e32 v4, vcc, v9, v4, vcc
	v_cndmask_b32_e64 v10, 0, -1, s[2:3]
	v_cmp_le_u32_e64 s[2:3], s36, v8
	v_cmp_le_u32_e32 vcc, s37, v4
	v_cndmask_b32_e64 v8, 0, -1, s[2:3]
	v_cmp_eq_u32_e64 s[2:3], s37, v6
	v_cndmask_b32_e64 v9, 0, -1, vcc
	v_cmp_le_u32_e32 vcc, s36, v3
	v_cndmask_b32_e64 v6, v10, v8, s[2:3]
	v_cndmask_b32_e64 v3, 0, -1, vcc
	v_cmp_eq_u32_e32 vcc, s37, v4
	v_add_co_u32_e64 v8, s[2:3], 2, v5
	v_add_co_u32_e64 v10, s[2:3], 1, v5
	v_cndmask_b32_e32 v3, v9, v3, vcc
	v_cmp_ne_u32_e32 vcc, 0, v6
	v_cndmask_b32_e32 v4, v10, v8, vcc
	v_cmp_ne_u32_e32 vcc, 0, v3
	v_cndmask_b32_e32 v3, v5, v4, vcc
	v_xor_b32_e32 v4, s34, v7
	v_xor_b32_e32 v3, v3, v4
	v_sub_co_u32_e32 v6, vcc, v3, v4
                                        ; implicit-def: $vgpr4_vgpr5
.LBB53_14:                              ;   in Loop: Header=BB53_4 Depth=1
	s_andn2_saveexec_b64 s[2:3], s[30:31]
	s_cbranch_execz .LBB53_2
; %bb.15:                               ;   in Loop: Header=BB53_4 Depth=1
	v_cvt_f32_u32_e32 v3, s33
	s_sub_i32 s30, 0, s33
	v_rcp_iflag_f32_e32 v3, v3
	v_mul_f32_e32 v3, 0x4f7ffffe, v3
	v_cvt_u32_f32_e32 v3, v3
	v_mul_lo_u32 v5, s30, v3
	v_mul_hi_u32 v5, v3, v5
	v_add_u32_e32 v3, v3, v5
	v_mul_hi_u32 v3, v4, v3
	v_mul_lo_u32 v5, v3, s33
	v_add_u32_e32 v6, 1, v3
	v_sub_u32_e32 v4, v4, v5
	v_subrev_u32_e32 v5, s33, v4
	v_cmp_le_u32_e32 vcc, s33, v4
	v_cndmask_b32_e32 v4, v4, v5, vcc
	v_cndmask_b32_e32 v3, v3, v6, vcc
	v_add_u32_e32 v5, 1, v3
	v_cmp_le_u32_e32 vcc, s33, v4
	v_cndmask_b32_e32 v6, v3, v5, vcc
	s_branch .LBB53_2
.LBB53_16:
	s_endpgm
	.section	.rodata,"a",@progbits
	.p2align	6, 0x0
	.amdhsa_kernel _ZN2at4cuda17kernelHistogram1DIlslLi1ELi2ELin1ELNS0_23CUDAHistogramMemoryTypeE1EZNS0_21CUDA_tensor_histogramIlsLb0EEEbNS_6TensorES4_S4_lNS_14AccumulateTypeIT0_Lb1EE4typeES8_NS0_13TensorArgTypeES9_S9_EUllE_EEvNS0_6detail10TensorInfoIT_T1_EESF_NSC_IKS6_SE_EElS8_S8_SE_T6_
		.amdhsa_group_segment_fixed_size 0
		.amdhsa_private_segment_fixed_size 0
		.amdhsa_kernarg_size 1952
		.amdhsa_user_sgpr_count 6
		.amdhsa_user_sgpr_private_segment_buffer 1
		.amdhsa_user_sgpr_dispatch_ptr 0
		.amdhsa_user_sgpr_queue_ptr 0
		.amdhsa_user_sgpr_kernarg_segment_ptr 1
		.amdhsa_user_sgpr_dispatch_id 0
		.amdhsa_user_sgpr_flat_scratch_init 0
		.amdhsa_user_sgpr_private_segment_size 0
		.amdhsa_uses_dynamic_stack 0
		.amdhsa_system_sgpr_private_segment_wavefront_offset 0
		.amdhsa_system_sgpr_workgroup_id_x 1
		.amdhsa_system_sgpr_workgroup_id_y 0
		.amdhsa_system_sgpr_workgroup_id_z 0
		.amdhsa_system_sgpr_workgroup_info 0
		.amdhsa_system_vgpr_workitem_id 0
		.amdhsa_next_free_vgpr 18
		.amdhsa_next_free_sgpr 51
		.amdhsa_reserve_vcc 1
		.amdhsa_reserve_flat_scratch 0
		.amdhsa_float_round_mode_32 0
		.amdhsa_float_round_mode_16_64 0
		.amdhsa_float_denorm_mode_32 3
		.amdhsa_float_denorm_mode_16_64 3
		.amdhsa_dx10_clamp 1
		.amdhsa_ieee_mode 1
		.amdhsa_fp16_overflow 0
		.amdhsa_exception_fp_ieee_invalid_op 0
		.amdhsa_exception_fp_denorm_src 0
		.amdhsa_exception_fp_ieee_div_zero 0
		.amdhsa_exception_fp_ieee_overflow 0
		.amdhsa_exception_fp_ieee_underflow 0
		.amdhsa_exception_fp_ieee_inexact 0
		.amdhsa_exception_int_div_zero 0
	.end_amdhsa_kernel
	.section	.text._ZN2at4cuda17kernelHistogram1DIlslLi1ELi2ELin1ELNS0_23CUDAHistogramMemoryTypeE1EZNS0_21CUDA_tensor_histogramIlsLb0EEEbNS_6TensorES4_S4_lNS_14AccumulateTypeIT0_Lb1EE4typeES8_NS0_13TensorArgTypeES9_S9_EUllE_EEvNS0_6detail10TensorInfoIT_T1_EESF_NSC_IKS6_SE_EElS8_S8_SE_T6_,"axG",@progbits,_ZN2at4cuda17kernelHistogram1DIlslLi1ELi2ELin1ELNS0_23CUDAHistogramMemoryTypeE1EZNS0_21CUDA_tensor_histogramIlsLb0EEEbNS_6TensorES4_S4_lNS_14AccumulateTypeIT0_Lb1EE4typeES8_NS0_13TensorArgTypeES9_S9_EUllE_EEvNS0_6detail10TensorInfoIT_T1_EESF_NSC_IKS6_SE_EElS8_S8_SE_T6_,comdat
.Lfunc_end53:
	.size	_ZN2at4cuda17kernelHistogram1DIlslLi1ELi2ELin1ELNS0_23CUDAHistogramMemoryTypeE1EZNS0_21CUDA_tensor_histogramIlsLb0EEEbNS_6TensorES4_S4_lNS_14AccumulateTypeIT0_Lb1EE4typeES8_NS0_13TensorArgTypeES9_S9_EUllE_EEvNS0_6detail10TensorInfoIT_T1_EESF_NSC_IKS6_SE_EElS8_S8_SE_T6_, .Lfunc_end53-_ZN2at4cuda17kernelHistogram1DIlslLi1ELi2ELin1ELNS0_23CUDAHistogramMemoryTypeE1EZNS0_21CUDA_tensor_histogramIlsLb0EEEbNS_6TensorES4_S4_lNS_14AccumulateTypeIT0_Lb1EE4typeES8_NS0_13TensorArgTypeES9_S9_EUllE_EEvNS0_6detail10TensorInfoIT_T1_EESF_NSC_IKS6_SE_EElS8_S8_SE_T6_
                                        ; -- End function
	.set _ZN2at4cuda17kernelHistogram1DIlslLi1ELi2ELin1ELNS0_23CUDAHistogramMemoryTypeE1EZNS0_21CUDA_tensor_histogramIlsLb0EEEbNS_6TensorES4_S4_lNS_14AccumulateTypeIT0_Lb1EE4typeES8_NS0_13TensorArgTypeES9_S9_EUllE_EEvNS0_6detail10TensorInfoIT_T1_EESF_NSC_IKS6_SE_EElS8_S8_SE_T6_.num_vgpr, 18
	.set _ZN2at4cuda17kernelHistogram1DIlslLi1ELi2ELin1ELNS0_23CUDAHistogramMemoryTypeE1EZNS0_21CUDA_tensor_histogramIlsLb0EEEbNS_6TensorES4_S4_lNS_14AccumulateTypeIT0_Lb1EE4typeES8_NS0_13TensorArgTypeES9_S9_EUllE_EEvNS0_6detail10TensorInfoIT_T1_EESF_NSC_IKS6_SE_EElS8_S8_SE_T6_.num_agpr, 0
	.set _ZN2at4cuda17kernelHistogram1DIlslLi1ELi2ELin1ELNS0_23CUDAHistogramMemoryTypeE1EZNS0_21CUDA_tensor_histogramIlsLb0EEEbNS_6TensorES4_S4_lNS_14AccumulateTypeIT0_Lb1EE4typeES8_NS0_13TensorArgTypeES9_S9_EUllE_EEvNS0_6detail10TensorInfoIT_T1_EESF_NSC_IKS6_SE_EElS8_S8_SE_T6_.numbered_sgpr, 51
	.set _ZN2at4cuda17kernelHistogram1DIlslLi1ELi2ELin1ELNS0_23CUDAHistogramMemoryTypeE1EZNS0_21CUDA_tensor_histogramIlsLb0EEEbNS_6TensorES4_S4_lNS_14AccumulateTypeIT0_Lb1EE4typeES8_NS0_13TensorArgTypeES9_S9_EUllE_EEvNS0_6detail10TensorInfoIT_T1_EESF_NSC_IKS6_SE_EElS8_S8_SE_T6_.num_named_barrier, 0
	.set _ZN2at4cuda17kernelHistogram1DIlslLi1ELi2ELin1ELNS0_23CUDAHistogramMemoryTypeE1EZNS0_21CUDA_tensor_histogramIlsLb0EEEbNS_6TensorES4_S4_lNS_14AccumulateTypeIT0_Lb1EE4typeES8_NS0_13TensorArgTypeES9_S9_EUllE_EEvNS0_6detail10TensorInfoIT_T1_EESF_NSC_IKS6_SE_EElS8_S8_SE_T6_.private_seg_size, 0
	.set _ZN2at4cuda17kernelHistogram1DIlslLi1ELi2ELin1ELNS0_23CUDAHistogramMemoryTypeE1EZNS0_21CUDA_tensor_histogramIlsLb0EEEbNS_6TensorES4_S4_lNS_14AccumulateTypeIT0_Lb1EE4typeES8_NS0_13TensorArgTypeES9_S9_EUllE_EEvNS0_6detail10TensorInfoIT_T1_EESF_NSC_IKS6_SE_EElS8_S8_SE_T6_.uses_vcc, 1
	.set _ZN2at4cuda17kernelHistogram1DIlslLi1ELi2ELin1ELNS0_23CUDAHistogramMemoryTypeE1EZNS0_21CUDA_tensor_histogramIlsLb0EEEbNS_6TensorES4_S4_lNS_14AccumulateTypeIT0_Lb1EE4typeES8_NS0_13TensorArgTypeES9_S9_EUllE_EEvNS0_6detail10TensorInfoIT_T1_EESF_NSC_IKS6_SE_EElS8_S8_SE_T6_.uses_flat_scratch, 0
	.set _ZN2at4cuda17kernelHistogram1DIlslLi1ELi2ELin1ELNS0_23CUDAHistogramMemoryTypeE1EZNS0_21CUDA_tensor_histogramIlsLb0EEEbNS_6TensorES4_S4_lNS_14AccumulateTypeIT0_Lb1EE4typeES8_NS0_13TensorArgTypeES9_S9_EUllE_EEvNS0_6detail10TensorInfoIT_T1_EESF_NSC_IKS6_SE_EElS8_S8_SE_T6_.has_dyn_sized_stack, 0
	.set _ZN2at4cuda17kernelHistogram1DIlslLi1ELi2ELin1ELNS0_23CUDAHistogramMemoryTypeE1EZNS0_21CUDA_tensor_histogramIlsLb0EEEbNS_6TensorES4_S4_lNS_14AccumulateTypeIT0_Lb1EE4typeES8_NS0_13TensorArgTypeES9_S9_EUllE_EEvNS0_6detail10TensorInfoIT_T1_EESF_NSC_IKS6_SE_EElS8_S8_SE_T6_.has_recursion, 0
	.set _ZN2at4cuda17kernelHistogram1DIlslLi1ELi2ELin1ELNS0_23CUDAHistogramMemoryTypeE1EZNS0_21CUDA_tensor_histogramIlsLb0EEEbNS_6TensorES4_S4_lNS_14AccumulateTypeIT0_Lb1EE4typeES8_NS0_13TensorArgTypeES9_S9_EUllE_EEvNS0_6detail10TensorInfoIT_T1_EESF_NSC_IKS6_SE_EElS8_S8_SE_T6_.has_indirect_call, 0
	.section	.AMDGPU.csdata,"",@progbits
; Kernel info:
; codeLenInByte = 2164
; TotalNumSgprs: 55
; NumVgprs: 18
; ScratchSize: 0
; MemoryBound: 0
; FloatMode: 240
; IeeeMode: 1
; LDSByteSize: 0 bytes/workgroup (compile time only)
; SGPRBlocks: 6
; VGPRBlocks: 4
; NumSGPRsForWavesPerEU: 55
; NumVGPRsForWavesPerEU: 18
; Occupancy: 10
; WaveLimiterHint : 1
; COMPUTE_PGM_RSRC2:SCRATCH_EN: 0
; COMPUTE_PGM_RSRC2:USER_SGPR: 6
; COMPUTE_PGM_RSRC2:TRAP_HANDLER: 0
; COMPUTE_PGM_RSRC2:TGID_X_EN: 1
; COMPUTE_PGM_RSRC2:TGID_Y_EN: 0
; COMPUTE_PGM_RSRC2:TGID_Z_EN: 0
; COMPUTE_PGM_RSRC2:TIDIG_COMP_CNT: 0
	.section	.text._ZN2at4cuda17kernelHistogram1DIlslLi1ELi2ELin1ELNS0_23CUDAHistogramMemoryTypeE0EZNS0_21CUDA_tensor_histogramIlsLb0EEEbNS_6TensorES4_S4_lNS_14AccumulateTypeIT0_Lb1EE4typeES8_NS0_13TensorArgTypeES9_S9_EUllE0_EEvNS0_6detail10TensorInfoIT_T1_EESF_NSC_IKS6_SE_EElS8_S8_SE_T6_,"axG",@progbits,_ZN2at4cuda17kernelHistogram1DIlslLi1ELi2ELin1ELNS0_23CUDAHistogramMemoryTypeE0EZNS0_21CUDA_tensor_histogramIlsLb0EEEbNS_6TensorES4_S4_lNS_14AccumulateTypeIT0_Lb1EE4typeES8_NS0_13TensorArgTypeES9_S9_EUllE0_EEvNS0_6detail10TensorInfoIT_T1_EESF_NSC_IKS6_SE_EElS8_S8_SE_T6_,comdat
	.protected	_ZN2at4cuda17kernelHistogram1DIlslLi1ELi2ELin1ELNS0_23CUDAHistogramMemoryTypeE0EZNS0_21CUDA_tensor_histogramIlsLb0EEEbNS_6TensorES4_S4_lNS_14AccumulateTypeIT0_Lb1EE4typeES8_NS0_13TensorArgTypeES9_S9_EUllE0_EEvNS0_6detail10TensorInfoIT_T1_EESF_NSC_IKS6_SE_EElS8_S8_SE_T6_ ; -- Begin function _ZN2at4cuda17kernelHistogram1DIlslLi1ELi2ELin1ELNS0_23CUDAHistogramMemoryTypeE0EZNS0_21CUDA_tensor_histogramIlsLb0EEEbNS_6TensorES4_S4_lNS_14AccumulateTypeIT0_Lb1EE4typeES8_NS0_13TensorArgTypeES9_S9_EUllE0_EEvNS0_6detail10TensorInfoIT_T1_EESF_NSC_IKS6_SE_EElS8_S8_SE_T6_
	.globl	_ZN2at4cuda17kernelHistogram1DIlslLi1ELi2ELin1ELNS0_23CUDAHistogramMemoryTypeE0EZNS0_21CUDA_tensor_histogramIlsLb0EEEbNS_6TensorES4_S4_lNS_14AccumulateTypeIT0_Lb1EE4typeES8_NS0_13TensorArgTypeES9_S9_EUllE0_EEvNS0_6detail10TensorInfoIT_T1_EESF_NSC_IKS6_SE_EElS8_S8_SE_T6_
	.p2align	8
	.type	_ZN2at4cuda17kernelHistogram1DIlslLi1ELi2ELin1ELNS0_23CUDAHistogramMemoryTypeE0EZNS0_21CUDA_tensor_histogramIlsLb0EEEbNS_6TensorES4_S4_lNS_14AccumulateTypeIT0_Lb1EE4typeES8_NS0_13TensorArgTypeES9_S9_EUllE0_EEvNS0_6detail10TensorInfoIT_T1_EESF_NSC_IKS6_SE_EElS8_S8_SE_T6_,@function
_ZN2at4cuda17kernelHistogram1DIlslLi1ELi2ELin1ELNS0_23CUDAHistogramMemoryTypeE0EZNS0_21CUDA_tensor_histogramIlsLb0EEEbNS_6TensorES4_S4_lNS_14AccumulateTypeIT0_Lb1EE4typeES8_NS0_13TensorArgTypeES9_S9_EUllE0_EEvNS0_6detail10TensorInfoIT_T1_EESF_NSC_IKS6_SE_EElS8_S8_SE_T6_: ; @_ZN2at4cuda17kernelHistogram1DIlslLi1ELi2ELin1ELNS0_23CUDAHistogramMemoryTypeE0EZNS0_21CUDA_tensor_histogramIlsLb0EEEbNS_6TensorES4_S4_lNS_14AccumulateTypeIT0_Lb1EE4typeES8_NS0_13TensorArgTypeES9_S9_EUllE0_EEvNS0_6detail10TensorInfoIT_T1_EESF_NSC_IKS6_SE_EElS8_S8_SE_T6_
; %bb.0:
	s_load_dwordx4 s[16:19], s[4:5], 0x0
	v_mov_b32_e32 v1, 0
	s_add_u32 s2, s4, 0x508
	s_addc_u32 s3, s5, 0
                                        ; implicit-def: $sgpr7
                                        ; implicit-def: $sgpr10
	s_waitcnt lgkmcnt(0)
	v_cmp_gt_i64_e64 s[0:1], s[18:19], v[0:1]
	v_cmp_le_i64_e32 vcc, s[18:19], v[0:1]
	s_and_saveexec_b64 s[8:9], vcc
	s_xor_b64 s[8:9], exec, s[8:9]
	s_cbranch_execz .LBB54_2
; %bb.1:
	s_load_dword s7, s[2:3], 0xc
	s_waitcnt lgkmcnt(0)
	s_and_b32 s10, s7, 0xffff
.LBB54_2:
	s_or_saveexec_b64 s[8:9], s[8:9]
	s_load_dwordx2 s[20:21], s[4:5], 0xd0
	v_mov_b32_e32 v14, s7
	v_mov_b32_e32 v13, s10
	v_lshl_add_u32 v12, v0, 3, 0
	s_xor_b64 exec, exec, s[8:9]
	s_cbranch_execz .LBB54_6
; %bb.3:
	s_load_dword s7, s[2:3], 0xc
	v_mov_b32_e32 v2, 0
	v_mov_b32_e32 v5, v1
	v_lshl_add_u32 v6, v0, 3, 0
	s_mov_b64 s[10:11], 0
	s_waitcnt lgkmcnt(0)
	s_and_b32 s12, s7, 0xffff
	v_mov_b32_e32 v3, v2
	s_lshl_b32 s13, s12, 3
	v_mov_b32_e32 v4, v0
.LBB54_4:                               ; =>This Inner Loop Header: Depth=1
	v_add_co_u32_e32 v4, vcc, s12, v4
	v_addc_co_u32_e32 v5, vcc, 0, v5, vcc
	v_cmp_le_i64_e32 vcc, s[18:19], v[4:5]
	ds_write_b64 v6, v[2:3]
	s_or_b64 s[10:11], vcc, s[10:11]
	v_add_u32_e32 v6, s13, v6
	s_andn2_b64 exec, exec, s[10:11]
	s_cbranch_execnz .LBB54_4
; %bb.5:
	s_or_b64 exec, exec, s[10:11]
	v_mov_b32_e32 v14, s7
	v_mov_b32_e32 v13, s12
.LBB54_6:
	s_or_b64 exec, exec, s[8:9]
	s_load_dwordx8 s[8:15], s[4:5], 0x4e0
	v_mad_u64_u32 v[2:3], s[6:7], s6, v13, v[0:1]
	v_mov_b32_e32 v4, 0
	v_mov_b32_e32 v3, v4
	s_waitcnt lgkmcnt(0)
	v_cmp_gt_i64_e32 vcc, s[14:15], v[2:3]
	s_barrier
	s_and_saveexec_b64 s[6:7], vcc
	s_cbranch_execz .LBB54_22
; %bb.7:
	s_load_dword s26, s[4:5], 0x4d8
	s_load_dwordx2 s[24:25], s[4:5], 0x340
	s_add_u32 s27, s4, 0x340
	s_addc_u32 s29, s5, 0
	s_load_dword s28, s[2:3], 0x0
	s_load_dwordx2 s[22:23], s[4:5], 0x410
	s_waitcnt lgkmcnt(0)
	s_cmp_gt_i32 s26, 1
	s_cselect_b64 s[2:3], -1, 0
	s_sub_u32 s33, s12, s10
	s_subb_u32 s42, s13, s11
	s_mov_b32 s5, 0
	s_add_i32 s4, s26, -1
	s_add_i32 s43, s26, 1
	s_lshl_b64 s[4:5], s[4:5], 3
	v_mul_lo_u32 v15, s28, v13
	s_add_u32 s4, s27, s4
	s_addc_u32 s5, s29, s5
	s_add_u32 s26, s4, 8
	v_cndmask_b32_e64 v5, 0, 1, s[2:3]
	s_addc_u32 s27, s5, 0
	s_mov_b64 s[28:29], 0
	v_cmp_ne_u32_e64 s[2:3], 1, v5
	s_branch .LBB54_10
.LBB54_8:                               ;   in Loop: Header=BB54_10 Depth=1
	s_or_b64 exec, exec, s[4:5]
	v_ashrrev_i32_e32 v9, 31, v8
	v_cmp_eq_u64_e32 vcc, s[8:9], v[8:9]
	v_subbrev_co_u32_e32 v5, vcc, 0, v8, vcc
	v_lshl_add_u32 v7, v5, 3, 0
	v_mov_b32_e32 v5, 1
	v_mov_b32_e32 v6, 0
	ds_add_u64 v7, v[5:6]
.LBB54_9:                               ;   in Loop: Header=BB54_10 Depth=1
	s_or_b64 exec, exec, s[30:31]
	v_add_co_u32_e32 v2, vcc, v2, v15
	v_addc_co_u32_e32 v3, vcc, 0, v3, vcc
	v_cmp_le_i64_e32 vcc, s[14:15], v[2:3]
	s_or_b64 s[28:29], vcc, s[28:29]
	s_andn2_b64 exec, exec, s[28:29]
	s_cbranch_execz .LBB54_22
.LBB54_10:                              ; =>This Loop Header: Depth=1
                                        ;     Child Loop BB54_11 Depth 2
	v_mov_b32_e32 v6, 0
	v_mov_b32_e32 v9, v3
	;; [unrolled: 1-line block ×4, first 2 shown]
	s_and_b64 vcc, exec, s[2:3]
	s_mov_b64 s[30:31], s[26:27]
	s_mov_b32 s44, s43
	v_mov_b32_e32 v8, v2
	v_mov_b32_e32 v10, v2
	s_cbranch_vccnz .LBB54_17
.LBB54_11:                              ;   Parent Loop BB54_10 Depth=1
                                        ; =>  This Inner Loop Header: Depth=2
	s_load_dwordx2 s[34:35], s[30:31], 0x0
                                        ; implicit-def: $vgpr10_vgpr11
	s_waitcnt lgkmcnt(0)
	v_or_b32_e32 v5, s35, v9
	v_cmp_ne_u64_e32 vcc, 0, v[4:5]
	s_and_saveexec_b64 s[4:5], vcc
	s_xor_b64 s[36:37], exec, s[4:5]
	s_cbranch_execz .LBB54_13
; %bb.12:                               ;   in Loop: Header=BB54_11 Depth=2
	s_ashr_i32 s38, s35, 31
	s_add_u32 s4, s34, s38
	s_mov_b32 s39, s38
	s_addc_u32 s5, s35, s38
	s_xor_b64 s[40:41], s[4:5], s[38:39]
	v_cvt_f32_u32_e32 v5, s40
	v_cvt_f32_u32_e32 v10, s41
	s_sub_u32 s39, 0, s40
	s_subb_u32 s45, 0, s41
	v_mac_f32_e32 v5, 0x4f800000, v10
	v_rcp_f32_e32 v5, v5
	v_mul_f32_e32 v5, 0x5f7ffffc, v5
	v_mul_f32_e32 v10, 0x2f800000, v5
	v_trunc_f32_e32 v10, v10
	v_mac_f32_e32 v5, 0xcf800000, v10
	v_cvt_u32_f32_e32 v10, v10
	v_cvt_u32_f32_e32 v5, v5
	v_readfirstlane_b32 s46, v10
	v_readfirstlane_b32 s4, v5
	s_mul_i32 s5, s39, s46
	s_mul_hi_u32 s48, s39, s4
	s_mul_i32 s47, s45, s4
	s_add_i32 s5, s48, s5
	s_add_i32 s5, s5, s47
	s_mul_i32 s49, s39, s4
	s_mul_i32 s48, s4, s5
	s_mul_hi_u32 s50, s4, s49
	s_mul_hi_u32 s47, s4, s5
	s_add_u32 s48, s50, s48
	s_addc_u32 s47, 0, s47
	s_mul_hi_u32 s51, s46, s49
	s_mul_i32 s49, s46, s49
	s_add_u32 s48, s48, s49
	s_mul_hi_u32 s50, s46, s5
	s_addc_u32 s47, s47, s51
	s_addc_u32 s48, s50, 0
	s_mul_i32 s5, s46, s5
	s_add_u32 s5, s47, s5
	s_addc_u32 s47, 0, s48
	s_add_u32 s48, s4, s5
	s_cselect_b64 s[4:5], -1, 0
	s_cmp_lg_u64 s[4:5], 0
	s_addc_u32 s46, s46, s47
	s_mul_i32 s4, s39, s46
	s_mul_hi_u32 s5, s39, s48
	s_add_i32 s4, s5, s4
	s_mul_i32 s45, s45, s48
	s_add_i32 s4, s4, s45
	s_mul_i32 s39, s39, s48
	s_mul_hi_u32 s45, s46, s39
	s_mul_i32 s47, s46, s39
	s_mul_i32 s50, s48, s4
	s_mul_hi_u32 s39, s48, s39
	s_mul_hi_u32 s49, s48, s4
	s_add_u32 s39, s39, s50
	s_addc_u32 s49, 0, s49
	s_add_u32 s39, s39, s47
	s_mul_hi_u32 s5, s46, s4
	s_addc_u32 s39, s49, s45
	s_addc_u32 s5, s5, 0
	s_mul_i32 s4, s46, s4
	s_add_u32 s4, s39, s4
	s_addc_u32 s39, 0, s5
	s_add_u32 s45, s48, s4
	s_cselect_b64 s[4:5], -1, 0
	v_ashrrev_i32_e32 v5, 31, v9
	s_cmp_lg_u64 s[4:5], 0
	v_add_co_u32_e32 v10, vcc, v8, v5
	s_addc_u32 s39, s46, s39
	v_xor_b32_e32 v18, v10, v5
	v_mad_u64_u32 v[10:11], s[4:5], v18, s39, 0
	v_mul_hi_u32 v17, v18, s45
	v_addc_co_u32_e32 v16, vcc, v9, v5, vcc
	v_xor_b32_e32 v19, v16, v5
	v_add_co_u32_e32 v20, vcc, v17, v10
	v_addc_co_u32_e32 v21, vcc, 0, v11, vcc
	v_mad_u64_u32 v[10:11], s[4:5], v19, s45, 0
	v_mad_u64_u32 v[16:17], s[4:5], v19, s39, 0
	v_add_co_u32_e32 v10, vcc, v20, v10
	v_addc_co_u32_e32 v10, vcc, v21, v11, vcc
	v_addc_co_u32_e32 v11, vcc, 0, v17, vcc
	v_add_co_u32_e32 v16, vcc, v10, v16
	v_addc_co_u32_e32 v17, vcc, 0, v11, vcc
	v_mul_lo_u32 v20, s41, v16
	v_mul_lo_u32 v21, s40, v17
	v_mad_u64_u32 v[10:11], s[4:5], s40, v16, 0
	v_xor_b32_e32 v5, s38, v5
	v_add3_u32 v11, v11, v21, v20
	v_sub_u32_e32 v20, v19, v11
	v_mov_b32_e32 v21, s41
	v_sub_co_u32_e32 v10, vcc, v18, v10
	v_subb_co_u32_e64 v18, s[4:5], v20, v21, vcc
	v_subrev_co_u32_e64 v20, s[4:5], s40, v10
	v_subbrev_co_u32_e64 v18, s[4:5], 0, v18, s[4:5]
	v_cmp_le_u32_e64 s[4:5], s41, v18
	v_cndmask_b32_e64 v21, 0, -1, s[4:5]
	v_cmp_le_u32_e64 s[4:5], s40, v20
	v_cndmask_b32_e64 v20, 0, -1, s[4:5]
	v_cmp_eq_u32_e64 s[4:5], s41, v18
	v_cndmask_b32_e64 v18, v21, v20, s[4:5]
	v_add_co_u32_e64 v20, s[4:5], 2, v16
	v_subb_co_u32_e32 v11, vcc, v19, v11, vcc
	v_addc_co_u32_e64 v21, s[4:5], 0, v17, s[4:5]
	v_cmp_le_u32_e32 vcc, s41, v11
	v_add_co_u32_e64 v22, s[4:5], 1, v16
	v_cndmask_b32_e64 v19, 0, -1, vcc
	v_cmp_le_u32_e32 vcc, s40, v10
	v_addc_co_u32_e64 v23, s[4:5], 0, v17, s[4:5]
	v_cndmask_b32_e64 v10, 0, -1, vcc
	v_cmp_eq_u32_e32 vcc, s41, v11
	v_cmp_ne_u32_e64 s[4:5], 0, v18
	v_cndmask_b32_e32 v10, v19, v10, vcc
	v_cndmask_b32_e64 v18, v23, v21, s[4:5]
	v_cmp_ne_u32_e32 vcc, 0, v10
	v_cndmask_b32_e64 v11, v22, v20, s[4:5]
	v_cndmask_b32_e32 v10, v17, v18, vcc
	v_cndmask_b32_e32 v11, v16, v11, vcc
	v_xor_b32_e32 v16, v10, v5
	v_xor_b32_e32 v10, v11, v5
	v_sub_co_u32_e32 v10, vcc, v10, v5
	v_subb_co_u32_e32 v11, vcc, v16, v5, vcc
.LBB54_13:                              ;   in Loop: Header=BB54_11 Depth=2
	s_andn2_saveexec_b64 s[4:5], s[36:37]
	s_cbranch_execz .LBB54_15
; %bb.14:                               ;   in Loop: Header=BB54_11 Depth=2
	v_cvt_f32_u32_e32 v5, s34
	s_sub_i32 s36, 0, s34
	v_rcp_iflag_f32_e32 v5, v5
	v_mul_f32_e32 v5, 0x4f7ffffe, v5
	v_cvt_u32_f32_e32 v5, v5
	v_mul_lo_u32 v10, s36, v5
	v_mul_hi_u32 v10, v5, v10
	v_add_u32_e32 v5, v5, v10
	v_mul_hi_u32 v5, v8, v5
	v_mul_lo_u32 v10, v5, s34
	v_add_u32_e32 v11, 1, v5
	v_sub_u32_e32 v10, v8, v10
	v_subrev_u32_e32 v16, s34, v10
	v_cmp_le_u32_e32 vcc, s34, v10
	v_cndmask_b32_e32 v10, v10, v16, vcc
	v_cndmask_b32_e32 v5, v5, v11, vcc
	v_add_u32_e32 v11, 1, v5
	v_cmp_le_u32_e32 vcc, s34, v10
	v_cndmask_b32_e32 v10, v5, v11, vcc
	v_mov_b32_e32 v11, v4
.LBB54_15:                              ;   in Loop: Header=BB54_11 Depth=2
	s_or_b64 exec, exec, s[4:5]
	v_mul_lo_u32 v5, v11, s34
	v_mul_lo_u32 v18, v10, s35
	v_mad_u64_u32 v[16:17], s[4:5], v10, s34, 0
	s_load_dwordx2 s[4:5], s[30:31], 0xc8
	s_add_i32 s44, s44, -1
	v_add3_u32 v5, v17, v18, v5
	v_sub_co_u32_e32 v8, vcc, v8, v16
	v_subb_co_u32_e32 v5, vcc, v9, v5, vcc
	s_waitcnt lgkmcnt(0)
	v_mul_lo_u32 v5, s4, v5
	v_mul_lo_u32 v9, s5, v8
	v_mad_u64_u32 v[6:7], s[4:5], s4, v8, v[6:7]
	s_add_u32 s30, s30, -8
	s_addc_u32 s31, s31, -1
	s_cmp_gt_u32 s44, 2
	v_add3_u32 v7, v9, v7, v5
	s_cbranch_scc0 .LBB54_17
; %bb.16:                               ;   in Loop: Header=BB54_11 Depth=2
	v_mov_b32_e32 v8, v10
	v_mov_b32_e32 v9, v11
	s_branch .LBB54_11
.LBB54_17:                              ;   in Loop: Header=BB54_10 Depth=1
	v_mul_lo_u32 v5, s23, v10
	v_mul_lo_u32 v11, s22, v11
	v_mad_u64_u32 v[8:9], s[4:5], s22, v10, 0
	v_add3_u32 v9, v9, v11, v5
	v_lshlrev_b64 v[8:9], 1, v[8:9]
	v_mov_b32_e32 v5, s25
	v_add_co_u32_e32 v8, vcc, s24, v8
	v_addc_co_u32_e32 v9, vcc, v5, v9, vcc
	v_lshlrev_b64 v[5:6], 1, v[6:7]
	v_add_co_u32_e32 v5, vcc, v8, v5
	v_addc_co_u32_e32 v6, vcc, v9, v6, vcc
	global_load_ushort v5, v[5:6], off
	s_waitcnt vmcnt(0)
	v_bfe_i32 v5, v5, 0, 16
	v_ashrrev_i32_e32 v6, 31, v5
	v_cmp_le_i64_e32 vcc, s[10:11], v[5:6]
	v_cmp_ge_i64_e64 s[4:5], s[12:13], v[5:6]
	s_and_b64 s[4:5], vcc, s[4:5]
	s_and_saveexec_b64 s[30:31], s[4:5]
	s_cbranch_execz .LBB54_9
; %bb.18:                               ;   in Loop: Header=BB54_10 Depth=1
	v_mov_b32_e32 v7, s11
	v_subrev_co_u32_e32 v5, vcc, s10, v5
	v_subb_co_u32_e32 v6, vcc, v6, v7, vcc
	v_mul_lo_u32 v8, v6, s8
	v_mul_lo_u32 v9, v5, s9
	v_mad_u64_u32 v[6:7], s[4:5], v5, s8, 0
	v_add3_u32 v7, v7, v9, v8
	v_or_b32_e32 v5, s42, v7
	v_cmp_ne_u64_e32 vcc, 0, v[4:5]
                                        ; implicit-def: $vgpr8_vgpr9
	s_and_saveexec_b64 s[4:5], vcc
	s_xor_b64 s[34:35], exec, s[4:5]
	s_cbranch_execz .LBB54_20
; %bb.19:                               ;   in Loop: Header=BB54_10 Depth=1
	s_ashr_i32 s36, s42, 31
	s_add_u32 s4, s33, s36
	s_mov_b32 s37, s36
	s_addc_u32 s5, s42, s36
	s_xor_b64 s[38:39], s[4:5], s[36:37]
	v_cvt_f32_u32_e32 v5, s38
	v_cvt_f32_u32_e32 v8, s39
	s_sub_u32 s37, 0, s38
	s_subb_u32 s40, 0, s39
	v_ashrrev_i32_e32 v9, 31, v7
	v_mac_f32_e32 v5, 0x4f800000, v8
	v_rcp_f32_e32 v5, v5
	v_mul_f32_e32 v5, 0x5f7ffffc, v5
	v_mul_f32_e32 v8, 0x2f800000, v5
	v_trunc_f32_e32 v8, v8
	v_mac_f32_e32 v5, 0xcf800000, v8
	v_cvt_u32_f32_e32 v8, v8
	v_cvt_u32_f32_e32 v5, v5
	v_readfirstlane_b32 s41, v8
	v_readfirstlane_b32 s4, v5
	s_mul_i32 s5, s37, s41
	s_mul_hi_u32 s45, s37, s4
	s_mul_i32 s44, s40, s4
	s_add_i32 s5, s45, s5
	s_add_i32 s5, s5, s44
	s_mul_i32 s46, s37, s4
	s_mul_i32 s45, s4, s5
	s_mul_hi_u32 s47, s4, s46
	s_mul_hi_u32 s44, s4, s5
	s_add_u32 s45, s47, s45
	s_addc_u32 s44, 0, s44
	s_mul_hi_u32 s48, s41, s46
	s_mul_i32 s46, s41, s46
	s_add_u32 s45, s45, s46
	s_mul_hi_u32 s47, s41, s5
	s_addc_u32 s44, s44, s48
	s_addc_u32 s45, s47, 0
	s_mul_i32 s5, s41, s5
	s_add_u32 s5, s44, s5
	s_addc_u32 s44, 0, s45
	s_add_u32 s45, s4, s5
	s_cselect_b64 s[4:5], -1, 0
	s_cmp_lg_u64 s[4:5], 0
	s_addc_u32 s41, s41, s44
	s_mul_i32 s4, s37, s41
	s_mul_hi_u32 s5, s37, s45
	s_add_i32 s4, s5, s4
	s_mul_i32 s40, s40, s45
	s_add_i32 s4, s4, s40
	s_mul_i32 s37, s37, s45
	s_mul_hi_u32 s40, s41, s37
	s_mul_i32 s44, s41, s37
	s_mul_i32 s47, s45, s4
	s_mul_hi_u32 s37, s45, s37
	s_mul_hi_u32 s46, s45, s4
	s_add_u32 s37, s37, s47
	s_addc_u32 s46, 0, s46
	s_add_u32 s37, s37, s44
	s_mul_hi_u32 s5, s41, s4
	s_addc_u32 s37, s46, s40
	s_addc_u32 s5, s5, 0
	s_mul_i32 s4, s41, s4
	s_add_u32 s4, s37, s4
	s_addc_u32 s37, 0, s5
	s_add_u32 s40, s45, s4
	s_cselect_b64 s[4:5], -1, 0
	s_cmp_lg_u64 s[4:5], 0
	v_add_co_u32_e32 v5, vcc, v6, v9
	s_addc_u32 s37, s41, s37
	v_xor_b32_e32 v10, v5, v9
	v_mad_u64_u32 v[5:6], s[4:5], v10, s37, 0
	v_mul_hi_u32 v8, v10, s40
	v_addc_co_u32_e32 v7, vcc, v7, v9, vcc
	v_xor_b32_e32 v11, v7, v9
	v_add_co_u32_e32 v16, vcc, v8, v5
	v_addc_co_u32_e32 v17, vcc, 0, v6, vcc
	v_mad_u64_u32 v[5:6], s[4:5], v11, s40, 0
	v_mad_u64_u32 v[7:8], s[4:5], v11, s37, 0
	v_add_co_u32_e32 v5, vcc, v16, v5
	v_addc_co_u32_e32 v5, vcc, v17, v6, vcc
	v_addc_co_u32_e32 v6, vcc, 0, v8, vcc
	v_add_co_u32_e32 v7, vcc, v5, v7
	v_addc_co_u32_e32 v5, vcc, 0, v6, vcc
	v_mul_lo_u32 v8, s39, v7
	v_mul_lo_u32 v16, s38, v5
	v_mad_u64_u32 v[5:6], s[4:5], s38, v7, 0
	v_add3_u32 v6, v6, v16, v8
	v_sub_u32_e32 v8, v11, v6
	v_mov_b32_e32 v16, s39
	v_sub_co_u32_e32 v5, vcc, v10, v5
	v_subb_co_u32_e64 v8, s[4:5], v8, v16, vcc
	v_subrev_co_u32_e64 v10, s[4:5], s38, v5
	v_subbrev_co_u32_e64 v8, s[4:5], 0, v8, s[4:5]
	v_cmp_le_u32_e64 s[4:5], s39, v8
	v_subb_co_u32_e32 v6, vcc, v11, v6, vcc
	v_cndmask_b32_e64 v16, 0, -1, s[4:5]
	v_cmp_le_u32_e64 s[4:5], s38, v10
	v_cmp_le_u32_e32 vcc, s39, v6
	v_cndmask_b32_e64 v10, 0, -1, s[4:5]
	v_cmp_eq_u32_e64 s[4:5], s39, v8
	v_cndmask_b32_e64 v11, 0, -1, vcc
	v_cmp_le_u32_e32 vcc, s38, v5
	v_cndmask_b32_e64 v8, v16, v10, s[4:5]
	v_cndmask_b32_e64 v5, 0, -1, vcc
	v_cmp_eq_u32_e32 vcc, s39, v6
	v_add_co_u32_e64 v10, s[4:5], 2, v7
	v_add_co_u32_e64 v16, s[4:5], 1, v7
	v_cndmask_b32_e32 v5, v11, v5, vcc
	v_cmp_ne_u32_e32 vcc, 0, v8
	v_cndmask_b32_e32 v6, v16, v10, vcc
	v_cmp_ne_u32_e32 vcc, 0, v5
	v_cndmask_b32_e32 v5, v7, v6, vcc
	v_xor_b32_e32 v6, s36, v9
	v_xor_b32_e32 v5, v5, v6
	v_sub_co_u32_e32 v8, vcc, v5, v6
                                        ; implicit-def: $vgpr6_vgpr7
.LBB54_20:                              ;   in Loop: Header=BB54_10 Depth=1
	s_andn2_saveexec_b64 s[4:5], s[34:35]
	s_cbranch_execz .LBB54_8
; %bb.21:                               ;   in Loop: Header=BB54_10 Depth=1
	v_cvt_f32_u32_e32 v5, s33
	s_sub_i32 s34, 0, s33
	v_rcp_iflag_f32_e32 v5, v5
	v_mul_f32_e32 v5, 0x4f7ffffe, v5
	v_cvt_u32_f32_e32 v5, v5
	v_mul_lo_u32 v7, s34, v5
	v_mul_hi_u32 v7, v5, v7
	v_add_u32_e32 v5, v5, v7
	v_mul_hi_u32 v5, v6, v5
	v_mul_lo_u32 v7, v5, s33
	v_add_u32_e32 v8, 1, v5
	v_sub_u32_e32 v6, v6, v7
	v_subrev_u32_e32 v7, s33, v6
	v_cmp_le_u32_e32 vcc, s33, v6
	v_cndmask_b32_e32 v6, v6, v7, vcc
	v_cndmask_b32_e32 v5, v5, v8, vcc
	v_add_u32_e32 v7, 1, v5
	v_cmp_le_u32_e32 vcc, s33, v6
	v_cndmask_b32_e32 v8, v5, v7, vcc
	s_branch .LBB54_8
.LBB54_22:
	s_or_b64 exec, exec, s[6:7]
; %bb.23:
	s_waitcnt lgkmcnt(0)
	s_barrier
	s_and_saveexec_b64 s[2:3], s[0:1]
	s_cbranch_execz .LBB54_26
; %bb.24:
	v_mad_u64_u32 v[2:3], s[0:1], s20, v0, 0
	v_and_b32_e32 v6, 0xffff, v14
	v_mov_b32_e32 v9, s17
	v_mad_u64_u32 v[3:4], s[0:1], s21, v0, v[3:4]
	v_mad_u64_u32 v[4:5], s[0:1], s20, v6, 0
	v_lshlrev_b64 v[2:3], 3, v[2:3]
	v_mad_u64_u32 v[7:8], s[0:1], s21, v6, v[5:6]
	v_add_co_u32_e32 v2, vcc, s16, v2
	v_mov_b32_e32 v5, v7
	v_lshlrev_b64 v[4:5], 3, v[4:5]
	v_addc_co_u32_e32 v3, vcc, v9, v3, vcc
	v_lshlrev_b32_e32 v7, 3, v13
	s_mov_b64 s[0:1], 0
.LBB54_25:                              ; =>This Inner Loop Header: Depth=1
	ds_read_b64 v[8:9], v12
	v_add_co_u32_e32 v0, vcc, v0, v6
	v_addc_co_u32_e32 v1, vcc, 0, v1, vcc
	s_waitcnt lgkmcnt(0)
	global_atomic_add_x2 v[2:3], v[8:9], off
	v_cmp_le_i64_e32 vcc, s[18:19], v[0:1]
	v_add_u32_e32 v12, v12, v7
	s_or_b64 s[0:1], vcc, s[0:1]
	v_add_co_u32_e32 v2, vcc, v2, v4
	v_addc_co_u32_e32 v3, vcc, v3, v5, vcc
	s_andn2_b64 exec, exec, s[0:1]
	s_cbranch_execnz .LBB54_25
.LBB54_26:
	s_endpgm
	.section	.rodata,"a",@progbits
	.p2align	6, 0x0
	.amdhsa_kernel _ZN2at4cuda17kernelHistogram1DIlslLi1ELi2ELin1ELNS0_23CUDAHistogramMemoryTypeE0EZNS0_21CUDA_tensor_histogramIlsLb0EEEbNS_6TensorES4_S4_lNS_14AccumulateTypeIT0_Lb1EE4typeES8_NS0_13TensorArgTypeES9_S9_EUllE0_EEvNS0_6detail10TensorInfoIT_T1_EESF_NSC_IKS6_SE_EElS8_S8_SE_T6_
		.amdhsa_group_segment_fixed_size 0
		.amdhsa_private_segment_fixed_size 0
		.amdhsa_kernarg_size 1544
		.amdhsa_user_sgpr_count 6
		.amdhsa_user_sgpr_private_segment_buffer 1
		.amdhsa_user_sgpr_dispatch_ptr 0
		.amdhsa_user_sgpr_queue_ptr 0
		.amdhsa_user_sgpr_kernarg_segment_ptr 1
		.amdhsa_user_sgpr_dispatch_id 0
		.amdhsa_user_sgpr_flat_scratch_init 0
		.amdhsa_user_sgpr_private_segment_size 0
		.amdhsa_uses_dynamic_stack 0
		.amdhsa_system_sgpr_private_segment_wavefront_offset 0
		.amdhsa_system_sgpr_workgroup_id_x 1
		.amdhsa_system_sgpr_workgroup_id_y 0
		.amdhsa_system_sgpr_workgroup_id_z 0
		.amdhsa_system_sgpr_workgroup_info 0
		.amdhsa_system_vgpr_workitem_id 0
		.amdhsa_next_free_vgpr 24
		.amdhsa_next_free_sgpr 52
		.amdhsa_reserve_vcc 1
		.amdhsa_reserve_flat_scratch 0
		.amdhsa_float_round_mode_32 0
		.amdhsa_float_round_mode_16_64 0
		.amdhsa_float_denorm_mode_32 3
		.amdhsa_float_denorm_mode_16_64 3
		.amdhsa_dx10_clamp 1
		.amdhsa_ieee_mode 1
		.amdhsa_fp16_overflow 0
		.amdhsa_exception_fp_ieee_invalid_op 0
		.amdhsa_exception_fp_denorm_src 0
		.amdhsa_exception_fp_ieee_div_zero 0
		.amdhsa_exception_fp_ieee_overflow 0
		.amdhsa_exception_fp_ieee_underflow 0
		.amdhsa_exception_fp_ieee_inexact 0
		.amdhsa_exception_int_div_zero 0
	.end_amdhsa_kernel
	.section	.text._ZN2at4cuda17kernelHistogram1DIlslLi1ELi2ELin1ELNS0_23CUDAHistogramMemoryTypeE0EZNS0_21CUDA_tensor_histogramIlsLb0EEEbNS_6TensorES4_S4_lNS_14AccumulateTypeIT0_Lb1EE4typeES8_NS0_13TensorArgTypeES9_S9_EUllE0_EEvNS0_6detail10TensorInfoIT_T1_EESF_NSC_IKS6_SE_EElS8_S8_SE_T6_,"axG",@progbits,_ZN2at4cuda17kernelHistogram1DIlslLi1ELi2ELin1ELNS0_23CUDAHistogramMemoryTypeE0EZNS0_21CUDA_tensor_histogramIlsLb0EEEbNS_6TensorES4_S4_lNS_14AccumulateTypeIT0_Lb1EE4typeES8_NS0_13TensorArgTypeES9_S9_EUllE0_EEvNS0_6detail10TensorInfoIT_T1_EESF_NSC_IKS6_SE_EElS8_S8_SE_T6_,comdat
.Lfunc_end54:
	.size	_ZN2at4cuda17kernelHistogram1DIlslLi1ELi2ELin1ELNS0_23CUDAHistogramMemoryTypeE0EZNS0_21CUDA_tensor_histogramIlsLb0EEEbNS_6TensorES4_S4_lNS_14AccumulateTypeIT0_Lb1EE4typeES8_NS0_13TensorArgTypeES9_S9_EUllE0_EEvNS0_6detail10TensorInfoIT_T1_EESF_NSC_IKS6_SE_EElS8_S8_SE_T6_, .Lfunc_end54-_ZN2at4cuda17kernelHistogram1DIlslLi1ELi2ELin1ELNS0_23CUDAHistogramMemoryTypeE0EZNS0_21CUDA_tensor_histogramIlsLb0EEEbNS_6TensorES4_S4_lNS_14AccumulateTypeIT0_Lb1EE4typeES8_NS0_13TensorArgTypeES9_S9_EUllE0_EEvNS0_6detail10TensorInfoIT_T1_EESF_NSC_IKS6_SE_EElS8_S8_SE_T6_
                                        ; -- End function
	.set _ZN2at4cuda17kernelHistogram1DIlslLi1ELi2ELin1ELNS0_23CUDAHistogramMemoryTypeE0EZNS0_21CUDA_tensor_histogramIlsLb0EEEbNS_6TensorES4_S4_lNS_14AccumulateTypeIT0_Lb1EE4typeES8_NS0_13TensorArgTypeES9_S9_EUllE0_EEvNS0_6detail10TensorInfoIT_T1_EESF_NSC_IKS6_SE_EElS8_S8_SE_T6_.num_vgpr, 24
	.set _ZN2at4cuda17kernelHistogram1DIlslLi1ELi2ELin1ELNS0_23CUDAHistogramMemoryTypeE0EZNS0_21CUDA_tensor_histogramIlsLb0EEEbNS_6TensorES4_S4_lNS_14AccumulateTypeIT0_Lb1EE4typeES8_NS0_13TensorArgTypeES9_S9_EUllE0_EEvNS0_6detail10TensorInfoIT_T1_EESF_NSC_IKS6_SE_EElS8_S8_SE_T6_.num_agpr, 0
	.set _ZN2at4cuda17kernelHistogram1DIlslLi1ELi2ELin1ELNS0_23CUDAHistogramMemoryTypeE0EZNS0_21CUDA_tensor_histogramIlsLb0EEEbNS_6TensorES4_S4_lNS_14AccumulateTypeIT0_Lb1EE4typeES8_NS0_13TensorArgTypeES9_S9_EUllE0_EEvNS0_6detail10TensorInfoIT_T1_EESF_NSC_IKS6_SE_EElS8_S8_SE_T6_.numbered_sgpr, 52
	.set _ZN2at4cuda17kernelHistogram1DIlslLi1ELi2ELin1ELNS0_23CUDAHistogramMemoryTypeE0EZNS0_21CUDA_tensor_histogramIlsLb0EEEbNS_6TensorES4_S4_lNS_14AccumulateTypeIT0_Lb1EE4typeES8_NS0_13TensorArgTypeES9_S9_EUllE0_EEvNS0_6detail10TensorInfoIT_T1_EESF_NSC_IKS6_SE_EElS8_S8_SE_T6_.num_named_barrier, 0
	.set _ZN2at4cuda17kernelHistogram1DIlslLi1ELi2ELin1ELNS0_23CUDAHistogramMemoryTypeE0EZNS0_21CUDA_tensor_histogramIlsLb0EEEbNS_6TensorES4_S4_lNS_14AccumulateTypeIT0_Lb1EE4typeES8_NS0_13TensorArgTypeES9_S9_EUllE0_EEvNS0_6detail10TensorInfoIT_T1_EESF_NSC_IKS6_SE_EElS8_S8_SE_T6_.private_seg_size, 0
	.set _ZN2at4cuda17kernelHistogram1DIlslLi1ELi2ELin1ELNS0_23CUDAHistogramMemoryTypeE0EZNS0_21CUDA_tensor_histogramIlsLb0EEEbNS_6TensorES4_S4_lNS_14AccumulateTypeIT0_Lb1EE4typeES8_NS0_13TensorArgTypeES9_S9_EUllE0_EEvNS0_6detail10TensorInfoIT_T1_EESF_NSC_IKS6_SE_EElS8_S8_SE_T6_.uses_vcc, 1
	.set _ZN2at4cuda17kernelHistogram1DIlslLi1ELi2ELin1ELNS0_23CUDAHistogramMemoryTypeE0EZNS0_21CUDA_tensor_histogramIlsLb0EEEbNS_6TensorES4_S4_lNS_14AccumulateTypeIT0_Lb1EE4typeES8_NS0_13TensorArgTypeES9_S9_EUllE0_EEvNS0_6detail10TensorInfoIT_T1_EESF_NSC_IKS6_SE_EElS8_S8_SE_T6_.uses_flat_scratch, 0
	.set _ZN2at4cuda17kernelHistogram1DIlslLi1ELi2ELin1ELNS0_23CUDAHistogramMemoryTypeE0EZNS0_21CUDA_tensor_histogramIlsLb0EEEbNS_6TensorES4_S4_lNS_14AccumulateTypeIT0_Lb1EE4typeES8_NS0_13TensorArgTypeES9_S9_EUllE0_EEvNS0_6detail10TensorInfoIT_T1_EESF_NSC_IKS6_SE_EElS8_S8_SE_T6_.has_dyn_sized_stack, 0
	.set _ZN2at4cuda17kernelHistogram1DIlslLi1ELi2ELin1ELNS0_23CUDAHistogramMemoryTypeE0EZNS0_21CUDA_tensor_histogramIlsLb0EEEbNS_6TensorES4_S4_lNS_14AccumulateTypeIT0_Lb1EE4typeES8_NS0_13TensorArgTypeES9_S9_EUllE0_EEvNS0_6detail10TensorInfoIT_T1_EESF_NSC_IKS6_SE_EElS8_S8_SE_T6_.has_recursion, 0
	.set _ZN2at4cuda17kernelHistogram1DIlslLi1ELi2ELin1ELNS0_23CUDAHistogramMemoryTypeE0EZNS0_21CUDA_tensor_histogramIlsLb0EEEbNS_6TensorES4_S4_lNS_14AccumulateTypeIT0_Lb1EE4typeES8_NS0_13TensorArgTypeES9_S9_EUllE0_EEvNS0_6detail10TensorInfoIT_T1_EESF_NSC_IKS6_SE_EElS8_S8_SE_T6_.has_indirect_call, 0
	.section	.AMDGPU.csdata,"",@progbits
; Kernel info:
; codeLenInByte = 2364
; TotalNumSgprs: 56
; NumVgprs: 24
; ScratchSize: 0
; MemoryBound: 0
; FloatMode: 240
; IeeeMode: 1
; LDSByteSize: 0 bytes/workgroup (compile time only)
; SGPRBlocks: 6
; VGPRBlocks: 5
; NumSGPRsForWavesPerEU: 56
; NumVGPRsForWavesPerEU: 24
; Occupancy: 10
; WaveLimiterHint : 1
; COMPUTE_PGM_RSRC2:SCRATCH_EN: 0
; COMPUTE_PGM_RSRC2:USER_SGPR: 6
; COMPUTE_PGM_RSRC2:TRAP_HANDLER: 0
; COMPUTE_PGM_RSRC2:TGID_X_EN: 1
; COMPUTE_PGM_RSRC2:TGID_Y_EN: 0
; COMPUTE_PGM_RSRC2:TGID_Z_EN: 0
; COMPUTE_PGM_RSRC2:TIDIG_COMP_CNT: 0
	.section	.text._ZN2at4cuda17kernelHistogram1DIlslLi1ELi2ELin1ELNS0_23CUDAHistogramMemoryTypeE1EZNS0_21CUDA_tensor_histogramIlsLb0EEEbNS_6TensorES4_S4_lNS_14AccumulateTypeIT0_Lb1EE4typeES8_NS0_13TensorArgTypeES9_S9_EUllE0_EEvNS0_6detail10TensorInfoIT_T1_EESF_NSC_IKS6_SE_EElS8_S8_SE_T6_,"axG",@progbits,_ZN2at4cuda17kernelHistogram1DIlslLi1ELi2ELin1ELNS0_23CUDAHistogramMemoryTypeE1EZNS0_21CUDA_tensor_histogramIlsLb0EEEbNS_6TensorES4_S4_lNS_14AccumulateTypeIT0_Lb1EE4typeES8_NS0_13TensorArgTypeES9_S9_EUllE0_EEvNS0_6detail10TensorInfoIT_T1_EESF_NSC_IKS6_SE_EElS8_S8_SE_T6_,comdat
	.protected	_ZN2at4cuda17kernelHistogram1DIlslLi1ELi2ELin1ELNS0_23CUDAHistogramMemoryTypeE1EZNS0_21CUDA_tensor_histogramIlsLb0EEEbNS_6TensorES4_S4_lNS_14AccumulateTypeIT0_Lb1EE4typeES8_NS0_13TensorArgTypeES9_S9_EUllE0_EEvNS0_6detail10TensorInfoIT_T1_EESF_NSC_IKS6_SE_EElS8_S8_SE_T6_ ; -- Begin function _ZN2at4cuda17kernelHistogram1DIlslLi1ELi2ELin1ELNS0_23CUDAHistogramMemoryTypeE1EZNS0_21CUDA_tensor_histogramIlsLb0EEEbNS_6TensorES4_S4_lNS_14AccumulateTypeIT0_Lb1EE4typeES8_NS0_13TensorArgTypeES9_S9_EUllE0_EEvNS0_6detail10TensorInfoIT_T1_EESF_NSC_IKS6_SE_EElS8_S8_SE_T6_
	.globl	_ZN2at4cuda17kernelHistogram1DIlslLi1ELi2ELin1ELNS0_23CUDAHistogramMemoryTypeE1EZNS0_21CUDA_tensor_histogramIlsLb0EEEbNS_6TensorES4_S4_lNS_14AccumulateTypeIT0_Lb1EE4typeES8_NS0_13TensorArgTypeES9_S9_EUllE0_EEvNS0_6detail10TensorInfoIT_T1_EESF_NSC_IKS6_SE_EElS8_S8_SE_T6_
	.p2align	8
	.type	_ZN2at4cuda17kernelHistogram1DIlslLi1ELi2ELin1ELNS0_23CUDAHistogramMemoryTypeE1EZNS0_21CUDA_tensor_histogramIlsLb0EEEbNS_6TensorES4_S4_lNS_14AccumulateTypeIT0_Lb1EE4typeES8_NS0_13TensorArgTypeES9_S9_EUllE0_EEvNS0_6detail10TensorInfoIT_T1_EESF_NSC_IKS6_SE_EElS8_S8_SE_T6_,@function
_ZN2at4cuda17kernelHistogram1DIlslLi1ELi2ELin1ELNS0_23CUDAHistogramMemoryTypeE1EZNS0_21CUDA_tensor_histogramIlsLb0EEEbNS_6TensorES4_S4_lNS_14AccumulateTypeIT0_Lb1EE4typeES8_NS0_13TensorArgTypeES9_S9_EUllE0_EEvNS0_6detail10TensorInfoIT_T1_EESF_NSC_IKS6_SE_EElS8_S8_SE_T6_: ; @_ZN2at4cuda17kernelHistogram1DIlslLi1ELi2ELin1ELNS0_23CUDAHistogramMemoryTypeE1EZNS0_21CUDA_tensor_histogramIlsLb0EEEbNS_6TensorES4_S4_lNS_14AccumulateTypeIT0_Lb1EE4typeES8_NS0_13TensorArgTypeES9_S9_EUllE0_EEvNS0_6detail10TensorInfoIT_T1_EESF_NSC_IKS6_SE_EElS8_S8_SE_T6_
; %bb.0:
	s_load_dword s2, s[4:5], 0x514
	s_load_dwordx8 s[8:15], s[4:5], 0x4e0
	s_add_u32 s0, s4, 0x508
	s_addc_u32 s1, s5, 0
	v_mov_b32_e32 v2, 0
	s_waitcnt lgkmcnt(0)
	s_and_b32 s2, s2, 0xffff
	s_mul_i32 s6, s6, s2
	v_add_u32_e32 v0, s6, v0
	v_mov_b32_e32 v1, v2
	v_cmp_gt_i64_e32 vcc, s[14:15], v[0:1]
	s_and_saveexec_b64 s[6:7], vcc
	s_cbranch_execz .LBB55_16
; %bb.1:
	s_load_dword s22, s[4:5], 0x4d8
	s_load_dword s3, s[0:1], 0x0
	s_add_u32 s23, s4, 0x340
	s_addc_u32 s24, s5, 0
	s_load_dwordx2 s[6:7], s[4:5], 0x0
	s_load_dwordx2 s[16:17], s[4:5], 0xd0
	;; [unrolled: 1-line block ×4, first 2 shown]
	s_waitcnt lgkmcnt(0)
	s_cmp_gt_i32 s22, 1
	s_cselect_b64 s[0:1], -1, 0
	s_sub_u32 s33, s12, s10
	s_subb_u32 s36, s13, s11
	s_mul_i32 s37, s3, s2
	s_mov_b32 s3, 0
	s_add_i32 s2, s22, -1
	s_add_i32 s38, s22, 1
	s_lshl_b64 s[2:3], s[2:3], 3
	s_add_u32 s2, s23, s2
	s_addc_u32 s3, s24, s3
	s_add_u32 s4, s2, 8
	v_cndmask_b32_e64 v3, 0, 1, s[0:1]
	v_mov_b32_e32 v4, 1
	s_addc_u32 s5, s3, 0
	s_mov_b64 s[22:23], 0
	v_mov_b32_e32 v5, 0
	v_cmp_ne_u32_e64 s[0:1], 1, v3
	s_branch .LBB55_4
.LBB55_2:                               ;   in Loop: Header=BB55_4 Depth=1
	s_or_b64 exec, exec, s[2:3]
	v_ashrrev_i32_e32 v9, 31, v8
	v_cmp_eq_u64_e32 vcc, s[8:9], v[8:9]
	v_cndmask_b32_e64 v3, 0, 1, vcc
	v_sub_co_u32_e32 v3, vcc, v8, v3
	v_subbrev_co_u32_e32 v6, vcc, 0, v9, vcc
	v_mul_lo_u32 v8, v6, s16
	v_mul_lo_u32 v9, v3, s17
	v_mad_u64_u32 v[6:7], s[2:3], v3, s16, 0
	v_mov_b32_e32 v3, s7
	v_add3_u32 v7, v7, v9, v8
	v_lshlrev_b64 v[6:7], 3, v[6:7]
	v_add_co_u32_e32 v6, vcc, s6, v6
	v_addc_co_u32_e32 v7, vcc, v3, v7, vcc
	global_atomic_add_x2 v[6:7], v[4:5], off
.LBB55_3:                               ;   in Loop: Header=BB55_4 Depth=1
	s_or_b64 exec, exec, s[24:25]
	v_add_co_u32_e32 v0, vcc, s37, v0
	v_addc_co_u32_e32 v1, vcc, 0, v1, vcc
	v_cmp_le_i64_e32 vcc, s[14:15], v[0:1]
	s_or_b64 s[22:23], vcc, s[22:23]
	s_andn2_b64 exec, exec, s[22:23]
	s_cbranch_execz .LBB55_16
.LBB55_4:                               ; =>This Loop Header: Depth=1
                                        ;     Child Loop BB55_5 Depth 2
	v_mov_b32_e32 v6, 0
	v_mov_b32_e32 v9, v1
	;; [unrolled: 1-line block ×4, first 2 shown]
	s_and_b64 vcc, exec, s[0:1]
	s_mov_b64 s[24:25], s[4:5]
	s_mov_b32 s39, s38
	v_mov_b32_e32 v8, v0
	v_mov_b32_e32 v10, v0
	s_cbranch_vccnz .LBB55_11
.LBB55_5:                               ;   Parent Loop BB55_4 Depth=1
                                        ; =>  This Inner Loop Header: Depth=2
	s_load_dwordx2 s[26:27], s[24:25], 0x0
                                        ; implicit-def: $vgpr10_vgpr11
	s_waitcnt lgkmcnt(0)
	v_or_b32_e32 v3, s27, v9
	v_cmp_ne_u64_e32 vcc, 0, v[2:3]
	s_and_saveexec_b64 s[2:3], vcc
	s_xor_b64 s[28:29], exec, s[2:3]
	s_cbranch_execz .LBB55_7
; %bb.6:                                ;   in Loop: Header=BB55_5 Depth=2
	s_ashr_i32 s30, s27, 31
	s_add_u32 s2, s26, s30
	s_mov_b32 s31, s30
	s_addc_u32 s3, s27, s30
	s_xor_b64 s[34:35], s[2:3], s[30:31]
	v_cvt_f32_u32_e32 v3, s34
	v_cvt_f32_u32_e32 v10, s35
	s_sub_u32 s31, 0, s34
	s_subb_u32 s40, 0, s35
	v_mac_f32_e32 v3, 0x4f800000, v10
	v_rcp_f32_e32 v3, v3
	v_mul_f32_e32 v3, 0x5f7ffffc, v3
	v_mul_f32_e32 v10, 0x2f800000, v3
	v_trunc_f32_e32 v10, v10
	v_mac_f32_e32 v3, 0xcf800000, v10
	v_cvt_u32_f32_e32 v10, v10
	v_cvt_u32_f32_e32 v3, v3
	v_readfirstlane_b32 s41, v10
	v_readfirstlane_b32 s2, v3
	s_mul_i32 s3, s31, s41
	s_mul_hi_u32 s43, s31, s2
	s_mul_i32 s42, s40, s2
	s_add_i32 s3, s43, s3
	s_add_i32 s3, s3, s42
	s_mul_i32 s44, s31, s2
	s_mul_i32 s43, s2, s3
	s_mul_hi_u32 s45, s2, s44
	s_mul_hi_u32 s42, s2, s3
	s_add_u32 s43, s45, s43
	s_addc_u32 s42, 0, s42
	s_mul_hi_u32 s46, s41, s44
	s_mul_i32 s44, s41, s44
	s_add_u32 s43, s43, s44
	s_mul_hi_u32 s45, s41, s3
	s_addc_u32 s42, s42, s46
	s_addc_u32 s43, s45, 0
	s_mul_i32 s3, s41, s3
	s_add_u32 s3, s42, s3
	s_addc_u32 s42, 0, s43
	s_add_u32 s43, s2, s3
	s_cselect_b64 s[2:3], -1, 0
	s_cmp_lg_u64 s[2:3], 0
	s_addc_u32 s41, s41, s42
	s_mul_i32 s2, s31, s41
	s_mul_hi_u32 s3, s31, s43
	s_add_i32 s2, s3, s2
	s_mul_i32 s40, s40, s43
	s_add_i32 s2, s2, s40
	s_mul_i32 s31, s31, s43
	s_mul_hi_u32 s40, s41, s31
	s_mul_i32 s42, s41, s31
	s_mul_i32 s45, s43, s2
	s_mul_hi_u32 s31, s43, s31
	s_mul_hi_u32 s44, s43, s2
	s_add_u32 s31, s31, s45
	s_addc_u32 s44, 0, s44
	s_add_u32 s31, s31, s42
	s_mul_hi_u32 s3, s41, s2
	s_addc_u32 s31, s44, s40
	s_addc_u32 s3, s3, 0
	s_mul_i32 s2, s41, s2
	s_add_u32 s2, s31, s2
	s_addc_u32 s31, 0, s3
	s_add_u32 s40, s43, s2
	s_cselect_b64 s[2:3], -1, 0
	v_ashrrev_i32_e32 v3, 31, v9
	s_cmp_lg_u64 s[2:3], 0
	v_add_co_u32_e32 v10, vcc, v8, v3
	s_addc_u32 s31, s41, s31
	v_xor_b32_e32 v14, v10, v3
	v_mad_u64_u32 v[10:11], s[2:3], v14, s31, 0
	v_mul_hi_u32 v13, v14, s40
	v_addc_co_u32_e32 v12, vcc, v9, v3, vcc
	v_xor_b32_e32 v15, v12, v3
	v_add_co_u32_e32 v16, vcc, v13, v10
	v_addc_co_u32_e32 v17, vcc, 0, v11, vcc
	v_mad_u64_u32 v[10:11], s[2:3], v15, s40, 0
	v_mad_u64_u32 v[12:13], s[2:3], v15, s31, 0
	v_add_co_u32_e32 v10, vcc, v16, v10
	v_addc_co_u32_e32 v10, vcc, v17, v11, vcc
	v_addc_co_u32_e32 v11, vcc, 0, v13, vcc
	v_add_co_u32_e32 v12, vcc, v10, v12
	v_addc_co_u32_e32 v13, vcc, 0, v11, vcc
	v_mul_lo_u32 v16, s35, v12
	v_mul_lo_u32 v17, s34, v13
	v_mad_u64_u32 v[10:11], s[2:3], s34, v12, 0
	v_xor_b32_e32 v3, s30, v3
	v_add3_u32 v11, v11, v17, v16
	v_sub_u32_e32 v16, v15, v11
	v_mov_b32_e32 v17, s35
	v_sub_co_u32_e32 v10, vcc, v14, v10
	v_subb_co_u32_e64 v14, s[2:3], v16, v17, vcc
	v_subrev_co_u32_e64 v16, s[2:3], s34, v10
	v_subbrev_co_u32_e64 v14, s[2:3], 0, v14, s[2:3]
	v_cmp_le_u32_e64 s[2:3], s35, v14
	v_cndmask_b32_e64 v17, 0, -1, s[2:3]
	v_cmp_le_u32_e64 s[2:3], s34, v16
	v_cndmask_b32_e64 v16, 0, -1, s[2:3]
	v_cmp_eq_u32_e64 s[2:3], s35, v14
	v_cndmask_b32_e64 v14, v17, v16, s[2:3]
	v_add_co_u32_e64 v16, s[2:3], 2, v12
	v_subb_co_u32_e32 v11, vcc, v15, v11, vcc
	v_addc_co_u32_e64 v17, s[2:3], 0, v13, s[2:3]
	v_cmp_le_u32_e32 vcc, s35, v11
	v_add_co_u32_e64 v18, s[2:3], 1, v12
	v_cndmask_b32_e64 v15, 0, -1, vcc
	v_cmp_le_u32_e32 vcc, s34, v10
	v_addc_co_u32_e64 v19, s[2:3], 0, v13, s[2:3]
	v_cndmask_b32_e64 v10, 0, -1, vcc
	v_cmp_eq_u32_e32 vcc, s35, v11
	v_cmp_ne_u32_e64 s[2:3], 0, v14
	v_cndmask_b32_e32 v10, v15, v10, vcc
	v_cndmask_b32_e64 v14, v19, v17, s[2:3]
	v_cmp_ne_u32_e32 vcc, 0, v10
	v_cndmask_b32_e64 v11, v18, v16, s[2:3]
	v_cndmask_b32_e32 v10, v13, v14, vcc
	v_cndmask_b32_e32 v11, v12, v11, vcc
	v_xor_b32_e32 v12, v10, v3
	v_xor_b32_e32 v10, v11, v3
	v_sub_co_u32_e32 v10, vcc, v10, v3
	v_subb_co_u32_e32 v11, vcc, v12, v3, vcc
.LBB55_7:                               ;   in Loop: Header=BB55_5 Depth=2
	s_andn2_saveexec_b64 s[2:3], s[28:29]
	s_cbranch_execz .LBB55_9
; %bb.8:                                ;   in Loop: Header=BB55_5 Depth=2
	v_cvt_f32_u32_e32 v3, s26
	s_sub_i32 s28, 0, s26
	v_rcp_iflag_f32_e32 v3, v3
	v_mul_f32_e32 v3, 0x4f7ffffe, v3
	v_cvt_u32_f32_e32 v3, v3
	v_mul_lo_u32 v10, s28, v3
	v_mul_hi_u32 v10, v3, v10
	v_add_u32_e32 v3, v3, v10
	v_mul_hi_u32 v3, v8, v3
	v_mul_lo_u32 v10, v3, s26
	v_add_u32_e32 v11, 1, v3
	v_sub_u32_e32 v10, v8, v10
	v_subrev_u32_e32 v12, s26, v10
	v_cmp_le_u32_e32 vcc, s26, v10
	v_cndmask_b32_e32 v10, v10, v12, vcc
	v_cndmask_b32_e32 v3, v3, v11, vcc
	v_add_u32_e32 v11, 1, v3
	v_cmp_le_u32_e32 vcc, s26, v10
	v_cndmask_b32_e32 v10, v3, v11, vcc
	v_mov_b32_e32 v11, v2
.LBB55_9:                               ;   in Loop: Header=BB55_5 Depth=2
	s_or_b64 exec, exec, s[2:3]
	v_mul_lo_u32 v3, v11, s26
	v_mul_lo_u32 v14, v10, s27
	v_mad_u64_u32 v[12:13], s[2:3], v10, s26, 0
	s_load_dwordx2 s[2:3], s[24:25], 0xc8
	s_add_i32 s39, s39, -1
	v_add3_u32 v3, v13, v14, v3
	v_sub_co_u32_e32 v8, vcc, v8, v12
	v_subb_co_u32_e32 v3, vcc, v9, v3, vcc
	s_waitcnt lgkmcnt(0)
	v_mul_lo_u32 v3, s2, v3
	v_mul_lo_u32 v9, s3, v8
	v_mad_u64_u32 v[6:7], s[2:3], s2, v8, v[6:7]
	s_add_u32 s24, s24, -8
	s_addc_u32 s25, s25, -1
	s_cmp_gt_u32 s39, 2
	v_add3_u32 v7, v9, v7, v3
	s_cbranch_scc0 .LBB55_11
; %bb.10:                               ;   in Loop: Header=BB55_5 Depth=2
	v_mov_b32_e32 v8, v10
	v_mov_b32_e32 v9, v11
	s_branch .LBB55_5
.LBB55_11:                              ;   in Loop: Header=BB55_4 Depth=1
	v_mul_lo_u32 v3, s19, v10
	v_mul_lo_u32 v11, s18, v11
	v_mad_u64_u32 v[8:9], s[2:3], s18, v10, 0
	v_lshlrev_b64 v[6:7], 1, v[6:7]
	v_add3_u32 v9, v9, v11, v3
	v_lshlrev_b64 v[8:9], 1, v[8:9]
	v_mov_b32_e32 v3, s21
	v_add_co_u32_e32 v8, vcc, s20, v8
	v_addc_co_u32_e32 v3, vcc, v3, v9, vcc
	v_add_co_u32_e32 v6, vcc, v8, v6
	v_addc_co_u32_e32 v7, vcc, v3, v7, vcc
	global_load_ushort v3, v[6:7], off
	s_waitcnt vmcnt(0)
	v_bfe_i32 v6, v3, 0, 16
	v_ashrrev_i32_e32 v7, 31, v6
	v_cmp_le_i64_e32 vcc, s[10:11], v[6:7]
	v_cmp_ge_i64_e64 s[2:3], s[12:13], v[6:7]
	s_and_b64 s[2:3], vcc, s[2:3]
	s_and_saveexec_b64 s[24:25], s[2:3]
	s_cbranch_execz .LBB55_3
; %bb.12:                               ;   in Loop: Header=BB55_4 Depth=1
	v_mov_b32_e32 v3, s11
	v_subrev_co_u32_e32 v6, vcc, s10, v6
	v_subb_co_u32_e32 v3, vcc, v7, v3, vcc
	v_mul_lo_u32 v3, v3, s8
	v_mul_lo_u32 v8, v6, s9
	v_mad_u64_u32 v[6:7], s[2:3], v6, s8, 0
	v_add3_u32 v7, v7, v8, v3
	v_or_b32_e32 v3, s36, v7
	v_cmp_ne_u64_e32 vcc, 0, v[2:3]
                                        ; implicit-def: $vgpr8_vgpr9
	s_and_saveexec_b64 s[2:3], vcc
	s_xor_b64 s[26:27], exec, s[2:3]
	s_cbranch_execz .LBB55_14
; %bb.13:                               ;   in Loop: Header=BB55_4 Depth=1
	s_ashr_i32 s28, s36, 31
	s_add_u32 s2, s33, s28
	s_mov_b32 s29, s28
	s_addc_u32 s3, s36, s28
	s_xor_b64 s[30:31], s[2:3], s[28:29]
	v_cvt_f32_u32_e32 v3, s30
	v_cvt_f32_u32_e32 v8, s31
	s_sub_u32 s29, 0, s30
	s_subb_u32 s34, 0, s31
	v_mac_f32_e32 v3, 0x4f800000, v8
	v_rcp_f32_e32 v3, v3
	v_mul_f32_e32 v3, 0x5f7ffffc, v3
	v_mul_f32_e32 v8, 0x2f800000, v3
	v_trunc_f32_e32 v8, v8
	v_mac_f32_e32 v3, 0xcf800000, v8
	v_cvt_u32_f32_e32 v8, v8
	v_cvt_u32_f32_e32 v3, v3
	v_readfirstlane_b32 s35, v8
	v_readfirstlane_b32 s2, v3
	s_mul_i32 s3, s29, s35
	s_mul_hi_u32 s40, s29, s2
	s_mul_i32 s39, s34, s2
	s_add_i32 s3, s40, s3
	s_add_i32 s3, s3, s39
	s_mul_i32 s41, s29, s2
	s_mul_i32 s40, s2, s3
	s_mul_hi_u32 s42, s2, s41
	s_mul_hi_u32 s39, s2, s3
	s_add_u32 s40, s42, s40
	s_addc_u32 s39, 0, s39
	s_mul_hi_u32 s43, s35, s41
	s_mul_i32 s41, s35, s41
	s_add_u32 s40, s40, s41
	s_mul_hi_u32 s42, s35, s3
	s_addc_u32 s39, s39, s43
	s_addc_u32 s40, s42, 0
	s_mul_i32 s3, s35, s3
	s_add_u32 s3, s39, s3
	s_addc_u32 s39, 0, s40
	s_add_u32 s40, s2, s3
	s_cselect_b64 s[2:3], -1, 0
	s_cmp_lg_u64 s[2:3], 0
	s_addc_u32 s35, s35, s39
	s_mul_i32 s2, s29, s35
	s_mul_hi_u32 s3, s29, s40
	s_add_i32 s2, s3, s2
	s_mul_i32 s34, s34, s40
	s_add_i32 s2, s2, s34
	s_mul_i32 s29, s29, s40
	s_mul_hi_u32 s34, s35, s29
	s_mul_i32 s39, s35, s29
	s_mul_i32 s42, s40, s2
	s_mul_hi_u32 s29, s40, s29
	s_mul_hi_u32 s41, s40, s2
	s_add_u32 s29, s29, s42
	s_addc_u32 s41, 0, s41
	s_add_u32 s29, s29, s39
	s_mul_hi_u32 s3, s35, s2
	s_addc_u32 s29, s41, s34
	s_addc_u32 s3, s3, 0
	s_mul_i32 s2, s35, s2
	s_add_u32 s2, s29, s2
	s_addc_u32 s29, 0, s3
	s_add_u32 s34, s40, s2
	s_cselect_b64 s[2:3], -1, 0
	v_ashrrev_i32_e32 v3, 31, v7
	s_cmp_lg_u64 s[2:3], 0
	v_add_co_u32_e32 v6, vcc, v6, v3
	s_addc_u32 s29, s35, s29
	v_xor_b32_e32 v10, v6, v3
	v_addc_co_u32_e32 v8, vcc, v7, v3, vcc
	v_mad_u64_u32 v[6:7], s[2:3], v10, s29, 0
	v_mul_hi_u32 v9, v10, s34
	v_xor_b32_e32 v11, v8, v3
	v_xor_b32_e32 v3, s28, v3
	v_add_co_u32_e32 v12, vcc, v9, v6
	v_addc_co_u32_e32 v13, vcc, 0, v7, vcc
	v_mad_u64_u32 v[6:7], s[2:3], v11, s34, 0
	v_mad_u64_u32 v[8:9], s[2:3], v11, s29, 0
	v_add_co_u32_e32 v6, vcc, v12, v6
	v_addc_co_u32_e32 v6, vcc, v13, v7, vcc
	v_addc_co_u32_e32 v7, vcc, 0, v9, vcc
	v_add_co_u32_e32 v8, vcc, v6, v8
	v_addc_co_u32_e32 v6, vcc, 0, v7, vcc
	v_mul_lo_u32 v9, s31, v8
	v_mul_lo_u32 v12, s30, v6
	v_mad_u64_u32 v[6:7], s[2:3], s30, v8, 0
	v_add3_u32 v7, v7, v12, v9
	v_sub_u32_e32 v9, v11, v7
	v_mov_b32_e32 v12, s31
	v_sub_co_u32_e32 v6, vcc, v10, v6
	v_subb_co_u32_e64 v9, s[2:3], v9, v12, vcc
	v_subrev_co_u32_e64 v10, s[2:3], s30, v6
	v_subbrev_co_u32_e64 v9, s[2:3], 0, v9, s[2:3]
	v_cmp_le_u32_e64 s[2:3], s31, v9
	v_subb_co_u32_e32 v7, vcc, v11, v7, vcc
	v_cndmask_b32_e64 v12, 0, -1, s[2:3]
	v_cmp_le_u32_e64 s[2:3], s30, v10
	v_cmp_le_u32_e32 vcc, s31, v7
	v_cndmask_b32_e64 v10, 0, -1, s[2:3]
	v_cmp_eq_u32_e64 s[2:3], s31, v9
	v_cndmask_b32_e64 v11, 0, -1, vcc
	v_cmp_le_u32_e32 vcc, s30, v6
	v_cndmask_b32_e64 v9, v12, v10, s[2:3]
	v_cndmask_b32_e64 v6, 0, -1, vcc
	v_cmp_eq_u32_e32 vcc, s31, v7
	v_add_co_u32_e64 v10, s[2:3], 2, v8
	v_add_co_u32_e64 v12, s[2:3], 1, v8
	v_cndmask_b32_e32 v6, v11, v6, vcc
	v_cmp_ne_u32_e32 vcc, 0, v9
	v_cndmask_b32_e32 v7, v12, v10, vcc
	v_cmp_ne_u32_e32 vcc, 0, v6
	v_cndmask_b32_e32 v6, v8, v7, vcc
	v_xor_b32_e32 v6, v6, v3
	v_sub_co_u32_e32 v8, vcc, v6, v3
                                        ; implicit-def: $vgpr6_vgpr7
.LBB55_14:                              ;   in Loop: Header=BB55_4 Depth=1
	s_andn2_saveexec_b64 s[2:3], s[26:27]
	s_cbranch_execz .LBB55_2
; %bb.15:                               ;   in Loop: Header=BB55_4 Depth=1
	v_cvt_f32_u32_e32 v3, s33
	s_sub_i32 s26, 0, s33
	v_rcp_iflag_f32_e32 v3, v3
	v_mul_f32_e32 v3, 0x4f7ffffe, v3
	v_cvt_u32_f32_e32 v3, v3
	v_mul_lo_u32 v7, s26, v3
	v_mul_hi_u32 v7, v3, v7
	v_add_u32_e32 v3, v3, v7
	v_mul_hi_u32 v3, v6, v3
	v_mul_lo_u32 v7, v3, s33
	v_add_u32_e32 v8, 1, v3
	v_sub_u32_e32 v6, v6, v7
	v_subrev_u32_e32 v7, s33, v6
	v_cmp_le_u32_e32 vcc, s33, v6
	v_cndmask_b32_e32 v6, v6, v7, vcc
	v_cndmask_b32_e32 v3, v3, v8, vcc
	v_add_u32_e32 v7, 1, v3
	v_cmp_le_u32_e32 vcc, s33, v6
	v_cndmask_b32_e32 v8, v3, v7, vcc
	s_branch .LBB55_2
.LBB55_16:
	s_endpgm
	.section	.rodata,"a",@progbits
	.p2align	6, 0x0
	.amdhsa_kernel _ZN2at4cuda17kernelHistogram1DIlslLi1ELi2ELin1ELNS0_23CUDAHistogramMemoryTypeE1EZNS0_21CUDA_tensor_histogramIlsLb0EEEbNS_6TensorES4_S4_lNS_14AccumulateTypeIT0_Lb1EE4typeES8_NS0_13TensorArgTypeES9_S9_EUllE0_EEvNS0_6detail10TensorInfoIT_T1_EESF_NSC_IKS6_SE_EElS8_S8_SE_T6_
		.amdhsa_group_segment_fixed_size 0
		.amdhsa_private_segment_fixed_size 0
		.amdhsa_kernarg_size 1544
		.amdhsa_user_sgpr_count 6
		.amdhsa_user_sgpr_private_segment_buffer 1
		.amdhsa_user_sgpr_dispatch_ptr 0
		.amdhsa_user_sgpr_queue_ptr 0
		.amdhsa_user_sgpr_kernarg_segment_ptr 1
		.amdhsa_user_sgpr_dispatch_id 0
		.amdhsa_user_sgpr_flat_scratch_init 0
		.amdhsa_user_sgpr_private_segment_size 0
		.amdhsa_uses_dynamic_stack 0
		.amdhsa_system_sgpr_private_segment_wavefront_offset 0
		.amdhsa_system_sgpr_workgroup_id_x 1
		.amdhsa_system_sgpr_workgroup_id_y 0
		.amdhsa_system_sgpr_workgroup_id_z 0
		.amdhsa_system_sgpr_workgroup_info 0
		.amdhsa_system_vgpr_workitem_id 0
		.amdhsa_next_free_vgpr 20
		.amdhsa_next_free_sgpr 47
		.amdhsa_reserve_vcc 1
		.amdhsa_reserve_flat_scratch 0
		.amdhsa_float_round_mode_32 0
		.amdhsa_float_round_mode_16_64 0
		.amdhsa_float_denorm_mode_32 3
		.amdhsa_float_denorm_mode_16_64 3
		.amdhsa_dx10_clamp 1
		.amdhsa_ieee_mode 1
		.amdhsa_fp16_overflow 0
		.amdhsa_exception_fp_ieee_invalid_op 0
		.amdhsa_exception_fp_denorm_src 0
		.amdhsa_exception_fp_ieee_div_zero 0
		.amdhsa_exception_fp_ieee_overflow 0
		.amdhsa_exception_fp_ieee_underflow 0
		.amdhsa_exception_fp_ieee_inexact 0
		.amdhsa_exception_int_div_zero 0
	.end_amdhsa_kernel
	.section	.text._ZN2at4cuda17kernelHistogram1DIlslLi1ELi2ELin1ELNS0_23CUDAHistogramMemoryTypeE1EZNS0_21CUDA_tensor_histogramIlsLb0EEEbNS_6TensorES4_S4_lNS_14AccumulateTypeIT0_Lb1EE4typeES8_NS0_13TensorArgTypeES9_S9_EUllE0_EEvNS0_6detail10TensorInfoIT_T1_EESF_NSC_IKS6_SE_EElS8_S8_SE_T6_,"axG",@progbits,_ZN2at4cuda17kernelHistogram1DIlslLi1ELi2ELin1ELNS0_23CUDAHistogramMemoryTypeE1EZNS0_21CUDA_tensor_histogramIlsLb0EEEbNS_6TensorES4_S4_lNS_14AccumulateTypeIT0_Lb1EE4typeES8_NS0_13TensorArgTypeES9_S9_EUllE0_EEvNS0_6detail10TensorInfoIT_T1_EESF_NSC_IKS6_SE_EElS8_S8_SE_T6_,comdat
.Lfunc_end55:
	.size	_ZN2at4cuda17kernelHistogram1DIlslLi1ELi2ELin1ELNS0_23CUDAHistogramMemoryTypeE1EZNS0_21CUDA_tensor_histogramIlsLb0EEEbNS_6TensorES4_S4_lNS_14AccumulateTypeIT0_Lb1EE4typeES8_NS0_13TensorArgTypeES9_S9_EUllE0_EEvNS0_6detail10TensorInfoIT_T1_EESF_NSC_IKS6_SE_EElS8_S8_SE_T6_, .Lfunc_end55-_ZN2at4cuda17kernelHistogram1DIlslLi1ELi2ELin1ELNS0_23CUDAHistogramMemoryTypeE1EZNS0_21CUDA_tensor_histogramIlsLb0EEEbNS_6TensorES4_S4_lNS_14AccumulateTypeIT0_Lb1EE4typeES8_NS0_13TensorArgTypeES9_S9_EUllE0_EEvNS0_6detail10TensorInfoIT_T1_EESF_NSC_IKS6_SE_EElS8_S8_SE_T6_
                                        ; -- End function
	.set _ZN2at4cuda17kernelHistogram1DIlslLi1ELi2ELin1ELNS0_23CUDAHistogramMemoryTypeE1EZNS0_21CUDA_tensor_histogramIlsLb0EEEbNS_6TensorES4_S4_lNS_14AccumulateTypeIT0_Lb1EE4typeES8_NS0_13TensorArgTypeES9_S9_EUllE0_EEvNS0_6detail10TensorInfoIT_T1_EESF_NSC_IKS6_SE_EElS8_S8_SE_T6_.num_vgpr, 20
	.set _ZN2at4cuda17kernelHistogram1DIlslLi1ELi2ELin1ELNS0_23CUDAHistogramMemoryTypeE1EZNS0_21CUDA_tensor_histogramIlsLb0EEEbNS_6TensorES4_S4_lNS_14AccumulateTypeIT0_Lb1EE4typeES8_NS0_13TensorArgTypeES9_S9_EUllE0_EEvNS0_6detail10TensorInfoIT_T1_EESF_NSC_IKS6_SE_EElS8_S8_SE_T6_.num_agpr, 0
	.set _ZN2at4cuda17kernelHistogram1DIlslLi1ELi2ELin1ELNS0_23CUDAHistogramMemoryTypeE1EZNS0_21CUDA_tensor_histogramIlsLb0EEEbNS_6TensorES4_S4_lNS_14AccumulateTypeIT0_Lb1EE4typeES8_NS0_13TensorArgTypeES9_S9_EUllE0_EEvNS0_6detail10TensorInfoIT_T1_EESF_NSC_IKS6_SE_EElS8_S8_SE_T6_.numbered_sgpr, 47
	.set _ZN2at4cuda17kernelHistogram1DIlslLi1ELi2ELin1ELNS0_23CUDAHistogramMemoryTypeE1EZNS0_21CUDA_tensor_histogramIlsLb0EEEbNS_6TensorES4_S4_lNS_14AccumulateTypeIT0_Lb1EE4typeES8_NS0_13TensorArgTypeES9_S9_EUllE0_EEvNS0_6detail10TensorInfoIT_T1_EESF_NSC_IKS6_SE_EElS8_S8_SE_T6_.num_named_barrier, 0
	.set _ZN2at4cuda17kernelHistogram1DIlslLi1ELi2ELin1ELNS0_23CUDAHistogramMemoryTypeE1EZNS0_21CUDA_tensor_histogramIlsLb0EEEbNS_6TensorES4_S4_lNS_14AccumulateTypeIT0_Lb1EE4typeES8_NS0_13TensorArgTypeES9_S9_EUllE0_EEvNS0_6detail10TensorInfoIT_T1_EESF_NSC_IKS6_SE_EElS8_S8_SE_T6_.private_seg_size, 0
	.set _ZN2at4cuda17kernelHistogram1DIlslLi1ELi2ELin1ELNS0_23CUDAHistogramMemoryTypeE1EZNS0_21CUDA_tensor_histogramIlsLb0EEEbNS_6TensorES4_S4_lNS_14AccumulateTypeIT0_Lb1EE4typeES8_NS0_13TensorArgTypeES9_S9_EUllE0_EEvNS0_6detail10TensorInfoIT_T1_EESF_NSC_IKS6_SE_EElS8_S8_SE_T6_.uses_vcc, 1
	.set _ZN2at4cuda17kernelHistogram1DIlslLi1ELi2ELin1ELNS0_23CUDAHistogramMemoryTypeE1EZNS0_21CUDA_tensor_histogramIlsLb0EEEbNS_6TensorES4_S4_lNS_14AccumulateTypeIT0_Lb1EE4typeES8_NS0_13TensorArgTypeES9_S9_EUllE0_EEvNS0_6detail10TensorInfoIT_T1_EESF_NSC_IKS6_SE_EElS8_S8_SE_T6_.uses_flat_scratch, 0
	.set _ZN2at4cuda17kernelHistogram1DIlslLi1ELi2ELin1ELNS0_23CUDAHistogramMemoryTypeE1EZNS0_21CUDA_tensor_histogramIlsLb0EEEbNS_6TensorES4_S4_lNS_14AccumulateTypeIT0_Lb1EE4typeES8_NS0_13TensorArgTypeES9_S9_EUllE0_EEvNS0_6detail10TensorInfoIT_T1_EESF_NSC_IKS6_SE_EElS8_S8_SE_T6_.has_dyn_sized_stack, 0
	.set _ZN2at4cuda17kernelHistogram1DIlslLi1ELi2ELin1ELNS0_23CUDAHistogramMemoryTypeE1EZNS0_21CUDA_tensor_histogramIlsLb0EEEbNS_6TensorES4_S4_lNS_14AccumulateTypeIT0_Lb1EE4typeES8_NS0_13TensorArgTypeES9_S9_EUllE0_EEvNS0_6detail10TensorInfoIT_T1_EESF_NSC_IKS6_SE_EElS8_S8_SE_T6_.has_recursion, 0
	.set _ZN2at4cuda17kernelHistogram1DIlslLi1ELi2ELin1ELNS0_23CUDAHistogramMemoryTypeE1EZNS0_21CUDA_tensor_histogramIlsLb0EEEbNS_6TensorES4_S4_lNS_14AccumulateTypeIT0_Lb1EE4typeES8_NS0_13TensorArgTypeES9_S9_EUllE0_EEvNS0_6detail10TensorInfoIT_T1_EESF_NSC_IKS6_SE_EElS8_S8_SE_T6_.has_indirect_call, 0
	.section	.AMDGPU.csdata,"",@progbits
; Kernel info:
; codeLenInByte = 2088
; TotalNumSgprs: 51
; NumVgprs: 20
; ScratchSize: 0
; MemoryBound: 0
; FloatMode: 240
; IeeeMode: 1
; LDSByteSize: 0 bytes/workgroup (compile time only)
; SGPRBlocks: 6
; VGPRBlocks: 4
; NumSGPRsForWavesPerEU: 51
; NumVGPRsForWavesPerEU: 20
; Occupancy: 10
; WaveLimiterHint : 1
; COMPUTE_PGM_RSRC2:SCRATCH_EN: 0
; COMPUTE_PGM_RSRC2:USER_SGPR: 6
; COMPUTE_PGM_RSRC2:TRAP_HANDLER: 0
; COMPUTE_PGM_RSRC2:TGID_X_EN: 1
; COMPUTE_PGM_RSRC2:TGID_Y_EN: 0
; COMPUTE_PGM_RSRC2:TGID_Z_EN: 0
; COMPUTE_PGM_RSRC2:TIDIG_COMP_CNT: 0
	.section	.text._ZN2at4cuda17kernelHistogram1DIdslLi1ELi2ELin1ELNS0_23CUDAHistogramMemoryTypeE0EZNS0_21CUDA_tensor_histogramIdsLb1EEEbNS_6TensorES4_S4_lNS_14AccumulateTypeIT0_Lb1EE4typeES8_NS0_13TensorArgTypeES9_S9_EUllE_EEvNS0_6detail10TensorInfoIT_T1_EESF_NSC_IKS6_SE_EElS8_S8_SE_T6_,"axG",@progbits,_ZN2at4cuda17kernelHistogram1DIdslLi1ELi2ELin1ELNS0_23CUDAHistogramMemoryTypeE0EZNS0_21CUDA_tensor_histogramIdsLb1EEEbNS_6TensorES4_S4_lNS_14AccumulateTypeIT0_Lb1EE4typeES8_NS0_13TensorArgTypeES9_S9_EUllE_EEvNS0_6detail10TensorInfoIT_T1_EESF_NSC_IKS6_SE_EElS8_S8_SE_T6_,comdat
	.protected	_ZN2at4cuda17kernelHistogram1DIdslLi1ELi2ELin1ELNS0_23CUDAHistogramMemoryTypeE0EZNS0_21CUDA_tensor_histogramIdsLb1EEEbNS_6TensorES4_S4_lNS_14AccumulateTypeIT0_Lb1EE4typeES8_NS0_13TensorArgTypeES9_S9_EUllE_EEvNS0_6detail10TensorInfoIT_T1_EESF_NSC_IKS6_SE_EElS8_S8_SE_T6_ ; -- Begin function _ZN2at4cuda17kernelHistogram1DIdslLi1ELi2ELin1ELNS0_23CUDAHistogramMemoryTypeE0EZNS0_21CUDA_tensor_histogramIdsLb1EEEbNS_6TensorES4_S4_lNS_14AccumulateTypeIT0_Lb1EE4typeES8_NS0_13TensorArgTypeES9_S9_EUllE_EEvNS0_6detail10TensorInfoIT_T1_EESF_NSC_IKS6_SE_EElS8_S8_SE_T6_
	.globl	_ZN2at4cuda17kernelHistogram1DIdslLi1ELi2ELin1ELNS0_23CUDAHistogramMemoryTypeE0EZNS0_21CUDA_tensor_histogramIdsLb1EEEbNS_6TensorES4_S4_lNS_14AccumulateTypeIT0_Lb1EE4typeES8_NS0_13TensorArgTypeES9_S9_EUllE_EEvNS0_6detail10TensorInfoIT_T1_EESF_NSC_IKS6_SE_EElS8_S8_SE_T6_
	.p2align	8
	.type	_ZN2at4cuda17kernelHistogram1DIdslLi1ELi2ELin1ELNS0_23CUDAHistogramMemoryTypeE0EZNS0_21CUDA_tensor_histogramIdsLb1EEEbNS_6TensorES4_S4_lNS_14AccumulateTypeIT0_Lb1EE4typeES8_NS0_13TensorArgTypeES9_S9_EUllE_EEvNS0_6detail10TensorInfoIT_T1_EESF_NSC_IKS6_SE_EElS8_S8_SE_T6_,@function
_ZN2at4cuda17kernelHistogram1DIdslLi1ELi2ELin1ELNS0_23CUDAHistogramMemoryTypeE0EZNS0_21CUDA_tensor_histogramIdsLb1EEEbNS_6TensorES4_S4_lNS_14AccumulateTypeIT0_Lb1EE4typeES8_NS0_13TensorArgTypeES9_S9_EUllE_EEvNS0_6detail10TensorInfoIT_T1_EESF_NSC_IKS6_SE_EElS8_S8_SE_T6_: ; @_ZN2at4cuda17kernelHistogram1DIdslLi1ELi2ELin1ELNS0_23CUDAHistogramMemoryTypeE0EZNS0_21CUDA_tensor_histogramIdsLb1EEEbNS_6TensorES4_S4_lNS_14AccumulateTypeIT0_Lb1EE4typeES8_NS0_13TensorArgTypeES9_S9_EUllE_EEvNS0_6detail10TensorInfoIT_T1_EESF_NSC_IKS6_SE_EElS8_S8_SE_T6_
; %bb.0:
	s_load_dwordx4 s[16:19], s[4:5], 0x0
	s_load_dwordx2 s[22:23], s[4:5], 0x500
	s_load_dwordx8 s[8:15], s[4:5], 0x4e0
	v_mov_b32_e32 v1, 0
	s_add_u32 s2, s4, 0x6a0
	s_waitcnt lgkmcnt(0)
	v_cmp_gt_i64_e64 s[0:1], s[18:19], v[0:1]
	v_cmp_le_i64_e32 vcc, s[18:19], v[0:1]
	s_addc_u32 s3, s5, 0
                                        ; implicit-def: $sgpr28
                                        ; implicit-def: $sgpr7
	s_and_saveexec_b64 s[20:21], vcc
	s_xor_b64 s[20:21], exec, s[20:21]
	s_cbranch_execz .LBB56_2
; %bb.1:
	s_load_dword s28, s[2:3], 0xc
	s_waitcnt lgkmcnt(0)
	s_and_b32 s7, s28, 0xffff
.LBB56_2:
	s_or_saveexec_b64 s[26:27], s[20:21]
	s_load_dwordx2 s[20:21], s[4:5], 0xd0
	s_load_dwordx2 s[24:25], s[4:5], 0x5d0
	v_mov_b32_e32 v12, s28
	v_mov_b32_e32 v5, s7
	s_xor_b64 exec, exec, s[26:27]
	s_cbranch_execz .LBB56_6
; %bb.3:
	s_load_dword s7, s[2:3], 0xc
	v_mov_b32_e32 v2, 0
	v_mov_b32_e32 v5, v1
	v_lshl_add_u32 v6, v0, 3, 0
	s_mov_b64 s[28:29], 0
	s_waitcnt lgkmcnt(0)
	s_and_b32 s30, s7, 0xffff
	v_mov_b32_e32 v3, v2
	s_lshl_b32 s31, s30, 3
	v_mov_b32_e32 v4, v0
.LBB56_4:                               ; =>This Inner Loop Header: Depth=1
	v_add_co_u32_e32 v4, vcc, s30, v4
	v_addc_co_u32_e32 v5, vcc, 0, v5, vcc
	v_cmp_le_i64_e32 vcc, s[18:19], v[4:5]
	ds_write_b64 v6, v[2:3]
	s_or_b64 s[28:29], vcc, s[28:29]
	v_add_u32_e32 v6, s31, v6
	s_andn2_b64 exec, exec, s[28:29]
	s_cbranch_execnz .LBB56_4
; %bb.5:
	s_or_b64 exec, exec, s[28:29]
	v_mov_b32_e32 v12, s7
	v_mov_b32_e32 v5, s30
.LBB56_6:
	s_or_b64 exec, exec, s[26:27]
	v_mad_u64_u32 v[2:3], s[6:7], s6, v5, v[0:1]
	v_mov_b32_e32 v4, 0
	v_mov_b32_e32 v3, v4
	v_cmp_gt_i64_e32 vcc, s[14:15], v[2:3]
	s_waitcnt lgkmcnt(0)
	s_barrier
	s_and_saveexec_b64 s[6:7], vcc
	s_cbranch_execz .LBB56_23
; %bb.7:
	s_load_dword s30, s[4:5], 0x4d8
	s_load_dwordx2 s[28:29], s[4:5], 0x340
	s_add_u32 s31, s4, 0x340
	s_addc_u32 s35, s5, 0
	s_load_dword s34, s[2:3], 0x0
	s_load_dwordx2 s[26:27], s[4:5], 0x410
	s_waitcnt lgkmcnt(0)
	s_cmp_gt_i32 s30, 1
	s_cselect_b64 s[2:3], -1, 0
	s_sub_u32 s33, s12, s10
	s_subb_u32 s46, s13, s11
	s_mov_b32 s5, 0
	s_add_i32 s4, s30, -1
	s_add_i32 s47, s30, 1
	s_lshl_b64 s[4:5], s[4:5], 3
	v_mul_lo_u32 v13, s34, v5
	s_add_u32 s4, s31, s4
	s_addc_u32 s5, s35, s5
	s_add_u32 s30, s4, 8
	v_cndmask_b32_e64 v5, 0, 1, s[2:3]
	s_addc_u32 s31, s5, 0
	s_mov_b64 s[34:35], 0
	v_cmp_ne_u32_e64 s[2:3], 1, v5
	s_branch .LBB56_9
.LBB56_8:                               ;   in Loop: Header=BB56_9 Depth=1
	s_or_b64 exec, exec, s[36:37]
	v_add_co_u32_e32 v2, vcc, v2, v13
	v_addc_co_u32_e32 v3, vcc, 0, v3, vcc
	v_cmp_le_i64_e32 vcc, s[14:15], v[2:3]
	s_or_b64 s[34:35], vcc, s[34:35]
	s_andn2_b64 exec, exec, s[34:35]
	s_cbranch_execz .LBB56_23
.LBB56_9:                               ; =>This Loop Header: Depth=1
                                        ;     Child Loop BB56_10 Depth 2
                                        ;     Child Loop BB56_22 Depth 2
	v_mov_b32_e32 v6, 0
	v_mov_b32_e32 v9, v3
	;; [unrolled: 1-line block ×4, first 2 shown]
	s_and_b64 vcc, exec, s[2:3]
	s_mov_b64 s[36:37], s[30:31]
	s_mov_b32 s48, s47
	v_mov_b32_e32 v8, v2
	v_mov_b32_e32 v10, v2
	s_cbranch_vccnz .LBB56_16
.LBB56_10:                              ;   Parent Loop BB56_9 Depth=1
                                        ; =>  This Inner Loop Header: Depth=2
	s_load_dwordx2 s[38:39], s[36:37], 0x0
                                        ; implicit-def: $vgpr10_vgpr11
	s_waitcnt lgkmcnt(0)
	v_or_b32_e32 v5, s39, v9
	v_cmp_ne_u64_e32 vcc, 0, v[4:5]
	s_and_saveexec_b64 s[4:5], vcc
	s_xor_b64 s[40:41], exec, s[4:5]
	s_cbranch_execz .LBB56_12
; %bb.11:                               ;   in Loop: Header=BB56_10 Depth=2
	s_ashr_i32 s42, s39, 31
	s_add_u32 s4, s38, s42
	s_mov_b32 s43, s42
	s_addc_u32 s5, s39, s42
	s_xor_b64 s[44:45], s[4:5], s[42:43]
	v_cvt_f32_u32_e32 v5, s44
	v_cvt_f32_u32_e32 v10, s45
	s_sub_u32 s43, 0, s44
	s_subb_u32 s49, 0, s45
	v_mac_f32_e32 v5, 0x4f800000, v10
	v_rcp_f32_e32 v5, v5
	v_mul_f32_e32 v5, 0x5f7ffffc, v5
	v_mul_f32_e32 v10, 0x2f800000, v5
	v_trunc_f32_e32 v10, v10
	v_mac_f32_e32 v5, 0xcf800000, v10
	v_cvt_u32_f32_e32 v10, v10
	v_cvt_u32_f32_e32 v5, v5
	v_readfirstlane_b32 s50, v10
	v_readfirstlane_b32 s4, v5
	s_mul_i32 s5, s43, s50
	s_mul_hi_u32 s52, s43, s4
	s_mul_i32 s51, s49, s4
	s_add_i32 s5, s52, s5
	s_add_i32 s5, s5, s51
	s_mul_i32 s53, s43, s4
	s_mul_i32 s52, s4, s5
	s_mul_hi_u32 s54, s4, s53
	s_mul_hi_u32 s51, s4, s5
	s_add_u32 s52, s54, s52
	s_addc_u32 s51, 0, s51
	s_mul_hi_u32 s55, s50, s53
	s_mul_i32 s53, s50, s53
	s_add_u32 s52, s52, s53
	s_mul_hi_u32 s54, s50, s5
	s_addc_u32 s51, s51, s55
	s_addc_u32 s52, s54, 0
	s_mul_i32 s5, s50, s5
	s_add_u32 s5, s51, s5
	s_addc_u32 s51, 0, s52
	s_add_u32 s52, s4, s5
	s_cselect_b64 s[4:5], -1, 0
	s_cmp_lg_u64 s[4:5], 0
	s_addc_u32 s50, s50, s51
	s_mul_i32 s4, s43, s50
	s_mul_hi_u32 s5, s43, s52
	s_add_i32 s4, s5, s4
	s_mul_i32 s49, s49, s52
	s_add_i32 s4, s4, s49
	s_mul_i32 s43, s43, s52
	s_mul_hi_u32 s49, s50, s43
	s_mul_i32 s51, s50, s43
	s_mul_i32 s54, s52, s4
	s_mul_hi_u32 s43, s52, s43
	s_mul_hi_u32 s53, s52, s4
	s_add_u32 s43, s43, s54
	s_addc_u32 s53, 0, s53
	s_add_u32 s43, s43, s51
	s_mul_hi_u32 s5, s50, s4
	s_addc_u32 s43, s53, s49
	s_addc_u32 s5, s5, 0
	s_mul_i32 s4, s50, s4
	s_add_u32 s4, s43, s4
	s_addc_u32 s43, 0, s5
	s_add_u32 s49, s52, s4
	s_cselect_b64 s[4:5], -1, 0
	v_ashrrev_i32_e32 v5, 31, v9
	s_cmp_lg_u64 s[4:5], 0
	v_add_co_u32_e32 v10, vcc, v8, v5
	s_addc_u32 s43, s50, s43
	v_xor_b32_e32 v16, v10, v5
	v_mad_u64_u32 v[10:11], s[4:5], v16, s43, 0
	v_mul_hi_u32 v15, v16, s49
	v_addc_co_u32_e32 v14, vcc, v9, v5, vcc
	v_xor_b32_e32 v17, v14, v5
	v_add_co_u32_e32 v18, vcc, v15, v10
	v_addc_co_u32_e32 v19, vcc, 0, v11, vcc
	v_mad_u64_u32 v[10:11], s[4:5], v17, s49, 0
	v_mad_u64_u32 v[14:15], s[4:5], v17, s43, 0
	v_add_co_u32_e32 v10, vcc, v18, v10
	v_addc_co_u32_e32 v10, vcc, v19, v11, vcc
	v_addc_co_u32_e32 v11, vcc, 0, v15, vcc
	v_add_co_u32_e32 v14, vcc, v10, v14
	v_addc_co_u32_e32 v15, vcc, 0, v11, vcc
	v_mul_lo_u32 v18, s45, v14
	v_mul_lo_u32 v19, s44, v15
	v_mad_u64_u32 v[10:11], s[4:5], s44, v14, 0
	v_xor_b32_e32 v5, s42, v5
	v_add3_u32 v11, v11, v19, v18
	v_sub_u32_e32 v18, v17, v11
	v_mov_b32_e32 v19, s45
	v_sub_co_u32_e32 v10, vcc, v16, v10
	v_subb_co_u32_e64 v16, s[4:5], v18, v19, vcc
	v_subrev_co_u32_e64 v18, s[4:5], s44, v10
	v_subbrev_co_u32_e64 v16, s[4:5], 0, v16, s[4:5]
	v_cmp_le_u32_e64 s[4:5], s45, v16
	v_cndmask_b32_e64 v19, 0, -1, s[4:5]
	v_cmp_le_u32_e64 s[4:5], s44, v18
	v_cndmask_b32_e64 v18, 0, -1, s[4:5]
	v_cmp_eq_u32_e64 s[4:5], s45, v16
	v_cndmask_b32_e64 v16, v19, v18, s[4:5]
	v_add_co_u32_e64 v18, s[4:5], 2, v14
	v_subb_co_u32_e32 v11, vcc, v17, v11, vcc
	v_addc_co_u32_e64 v19, s[4:5], 0, v15, s[4:5]
	v_cmp_le_u32_e32 vcc, s45, v11
	v_add_co_u32_e64 v20, s[4:5], 1, v14
	v_cndmask_b32_e64 v17, 0, -1, vcc
	v_cmp_le_u32_e32 vcc, s44, v10
	v_addc_co_u32_e64 v21, s[4:5], 0, v15, s[4:5]
	v_cndmask_b32_e64 v10, 0, -1, vcc
	v_cmp_eq_u32_e32 vcc, s45, v11
	v_cmp_ne_u32_e64 s[4:5], 0, v16
	v_cndmask_b32_e32 v10, v17, v10, vcc
	v_cndmask_b32_e64 v16, v21, v19, s[4:5]
	v_cmp_ne_u32_e32 vcc, 0, v10
	v_cndmask_b32_e64 v11, v20, v18, s[4:5]
	v_cndmask_b32_e32 v10, v15, v16, vcc
	v_cndmask_b32_e32 v11, v14, v11, vcc
	v_xor_b32_e32 v14, v10, v5
	v_xor_b32_e32 v10, v11, v5
	v_sub_co_u32_e32 v10, vcc, v10, v5
	v_subb_co_u32_e32 v11, vcc, v14, v5, vcc
.LBB56_12:                              ;   in Loop: Header=BB56_10 Depth=2
	s_andn2_saveexec_b64 s[4:5], s[40:41]
	s_cbranch_execz .LBB56_14
; %bb.13:                               ;   in Loop: Header=BB56_10 Depth=2
	v_cvt_f32_u32_e32 v5, s38
	s_sub_i32 s40, 0, s38
	v_rcp_iflag_f32_e32 v5, v5
	v_mul_f32_e32 v5, 0x4f7ffffe, v5
	v_cvt_u32_f32_e32 v5, v5
	v_mul_lo_u32 v10, s40, v5
	v_mul_hi_u32 v10, v5, v10
	v_add_u32_e32 v5, v5, v10
	v_mul_hi_u32 v5, v8, v5
	v_mul_lo_u32 v10, v5, s38
	v_add_u32_e32 v11, 1, v5
	v_sub_u32_e32 v10, v8, v10
	v_subrev_u32_e32 v14, s38, v10
	v_cmp_le_u32_e32 vcc, s38, v10
	v_cndmask_b32_e32 v10, v10, v14, vcc
	v_cndmask_b32_e32 v5, v5, v11, vcc
	v_add_u32_e32 v11, 1, v5
	v_cmp_le_u32_e32 vcc, s38, v10
	v_cndmask_b32_e32 v10, v5, v11, vcc
	v_mov_b32_e32 v11, v4
.LBB56_14:                              ;   in Loop: Header=BB56_10 Depth=2
	s_or_b64 exec, exec, s[4:5]
	v_mul_lo_u32 v5, v11, s38
	v_mul_lo_u32 v16, v10, s39
	v_mad_u64_u32 v[14:15], s[4:5], v10, s38, 0
	s_load_dwordx2 s[4:5], s[36:37], 0xc8
	s_add_i32 s48, s48, -1
	v_add3_u32 v5, v15, v16, v5
	v_sub_co_u32_e32 v8, vcc, v8, v14
	v_subb_co_u32_e32 v5, vcc, v9, v5, vcc
	s_waitcnt lgkmcnt(0)
	v_mul_lo_u32 v5, s4, v5
	v_mul_lo_u32 v9, s5, v8
	v_mad_u64_u32 v[6:7], s[4:5], s4, v8, v[6:7]
	s_add_u32 s36, s36, -8
	s_addc_u32 s37, s37, -1
	s_cmp_gt_u32 s48, 2
	v_add3_u32 v7, v9, v7, v5
	s_cbranch_scc0 .LBB56_16
; %bb.15:                               ;   in Loop: Header=BB56_10 Depth=2
	v_mov_b32_e32 v8, v10
	v_mov_b32_e32 v9, v11
	s_branch .LBB56_10
.LBB56_16:                              ;   in Loop: Header=BB56_9 Depth=1
	v_mul_lo_u32 v5, s27, v10
	v_mul_lo_u32 v11, s26, v11
	v_mad_u64_u32 v[8:9], s[4:5], s26, v10, 0
	v_add3_u32 v9, v9, v11, v5
	v_lshlrev_b64 v[8:9], 1, v[8:9]
	v_mov_b32_e32 v5, s29
	v_add_co_u32_e32 v8, vcc, s28, v8
	v_addc_co_u32_e32 v9, vcc, v5, v9, vcc
	v_lshlrev_b64 v[5:6], 1, v[6:7]
	v_add_co_u32_e32 v5, vcc, v8, v5
	v_addc_co_u32_e32 v6, vcc, v9, v6, vcc
	global_load_ushort v5, v[5:6], off
	s_waitcnt vmcnt(0)
	v_bfe_i32 v5, v5, 0, 16
	v_ashrrev_i32_e32 v6, 31, v5
	v_cmp_le_i64_e32 vcc, s[10:11], v[5:6]
	v_cmp_ge_i64_e64 s[4:5], s[12:13], v[5:6]
	s_and_b64 s[4:5], vcc, s[4:5]
	s_and_saveexec_b64 s[36:37], s[4:5]
	s_cbranch_execz .LBB56_8
; %bb.17:                               ;   in Loop: Header=BB56_9 Depth=1
	v_mov_b32_e32 v7, s11
	v_subrev_co_u32_e32 v5, vcc, s10, v5
	v_subb_co_u32_e32 v6, vcc, v6, v7, vcc
	v_mul_lo_u32 v8, v6, s8
	v_mul_lo_u32 v9, v5, s9
	v_mad_u64_u32 v[6:7], s[4:5], v5, s8, 0
	v_add3_u32 v7, v7, v9, v8
	v_or_b32_e32 v5, s46, v7
	v_cmp_ne_u64_e32 vcc, 0, v[4:5]
                                        ; implicit-def: $vgpr8_vgpr9
	s_and_saveexec_b64 s[4:5], vcc
	s_xor_b64 s[38:39], exec, s[4:5]
	s_cbranch_execz .LBB56_19
; %bb.18:                               ;   in Loop: Header=BB56_9 Depth=1
	s_ashr_i32 s40, s46, 31
	s_add_u32 s4, s33, s40
	s_mov_b32 s41, s40
	s_addc_u32 s5, s46, s40
	s_xor_b64 s[42:43], s[4:5], s[40:41]
	v_cvt_f32_u32_e32 v5, s42
	v_cvt_f32_u32_e32 v8, s43
	s_sub_u32 s41, 0, s42
	s_subb_u32 s44, 0, s43
	v_ashrrev_i32_e32 v9, 31, v7
	v_mac_f32_e32 v5, 0x4f800000, v8
	v_rcp_f32_e32 v5, v5
	v_mul_f32_e32 v5, 0x5f7ffffc, v5
	v_mul_f32_e32 v8, 0x2f800000, v5
	v_trunc_f32_e32 v8, v8
	v_mac_f32_e32 v5, 0xcf800000, v8
	v_cvt_u32_f32_e32 v8, v8
	v_cvt_u32_f32_e32 v5, v5
	v_readfirstlane_b32 s45, v8
	v_readfirstlane_b32 s4, v5
	s_mul_i32 s5, s41, s45
	s_mul_hi_u32 s49, s41, s4
	s_mul_i32 s48, s44, s4
	s_add_i32 s5, s49, s5
	s_add_i32 s5, s5, s48
	s_mul_i32 s50, s41, s4
	s_mul_i32 s49, s4, s5
	s_mul_hi_u32 s51, s4, s50
	s_mul_hi_u32 s48, s4, s5
	s_add_u32 s49, s51, s49
	s_addc_u32 s48, 0, s48
	s_mul_hi_u32 s52, s45, s50
	s_mul_i32 s50, s45, s50
	s_add_u32 s49, s49, s50
	s_mul_hi_u32 s51, s45, s5
	s_addc_u32 s48, s48, s52
	s_addc_u32 s49, s51, 0
	s_mul_i32 s5, s45, s5
	s_add_u32 s5, s48, s5
	s_addc_u32 s48, 0, s49
	s_add_u32 s49, s4, s5
	s_cselect_b64 s[4:5], -1, 0
	s_cmp_lg_u64 s[4:5], 0
	s_addc_u32 s45, s45, s48
	s_mul_i32 s4, s41, s45
	s_mul_hi_u32 s5, s41, s49
	s_add_i32 s4, s5, s4
	s_mul_i32 s44, s44, s49
	s_add_i32 s4, s4, s44
	s_mul_i32 s41, s41, s49
	s_mul_hi_u32 s44, s45, s41
	s_mul_i32 s48, s45, s41
	s_mul_i32 s51, s49, s4
	s_mul_hi_u32 s41, s49, s41
	s_mul_hi_u32 s50, s49, s4
	s_add_u32 s41, s41, s51
	s_addc_u32 s50, 0, s50
	s_add_u32 s41, s41, s48
	s_mul_hi_u32 s5, s45, s4
	s_addc_u32 s41, s50, s44
	s_addc_u32 s5, s5, 0
	s_mul_i32 s4, s45, s4
	s_add_u32 s4, s41, s4
	s_addc_u32 s41, 0, s5
	s_add_u32 s44, s49, s4
	s_cselect_b64 s[4:5], -1, 0
	s_cmp_lg_u64 s[4:5], 0
	v_add_co_u32_e32 v5, vcc, v6, v9
	s_addc_u32 s41, s45, s41
	v_xor_b32_e32 v10, v5, v9
	v_mad_u64_u32 v[5:6], s[4:5], v10, s41, 0
	v_mul_hi_u32 v8, v10, s44
	v_addc_co_u32_e32 v7, vcc, v7, v9, vcc
	v_xor_b32_e32 v11, v7, v9
	v_add_co_u32_e32 v14, vcc, v8, v5
	v_addc_co_u32_e32 v15, vcc, 0, v6, vcc
	v_mad_u64_u32 v[5:6], s[4:5], v11, s44, 0
	v_mad_u64_u32 v[7:8], s[4:5], v11, s41, 0
	v_add_co_u32_e32 v5, vcc, v14, v5
	v_addc_co_u32_e32 v5, vcc, v15, v6, vcc
	v_addc_co_u32_e32 v6, vcc, 0, v8, vcc
	v_add_co_u32_e32 v7, vcc, v5, v7
	v_addc_co_u32_e32 v5, vcc, 0, v6, vcc
	v_mul_lo_u32 v8, s43, v7
	v_mul_lo_u32 v14, s42, v5
	v_mad_u64_u32 v[5:6], s[4:5], s42, v7, 0
	v_add3_u32 v6, v6, v14, v8
	v_sub_u32_e32 v8, v11, v6
	v_mov_b32_e32 v14, s43
	v_sub_co_u32_e32 v5, vcc, v10, v5
	v_subb_co_u32_e64 v8, s[4:5], v8, v14, vcc
	v_subrev_co_u32_e64 v10, s[4:5], s42, v5
	v_subbrev_co_u32_e64 v8, s[4:5], 0, v8, s[4:5]
	v_cmp_le_u32_e64 s[4:5], s43, v8
	v_subb_co_u32_e32 v6, vcc, v11, v6, vcc
	v_cndmask_b32_e64 v14, 0, -1, s[4:5]
	v_cmp_le_u32_e64 s[4:5], s42, v10
	v_cmp_le_u32_e32 vcc, s43, v6
	v_cndmask_b32_e64 v10, 0, -1, s[4:5]
	v_cmp_eq_u32_e64 s[4:5], s43, v8
	v_cndmask_b32_e64 v11, 0, -1, vcc
	v_cmp_le_u32_e32 vcc, s42, v5
	v_cndmask_b32_e64 v8, v14, v10, s[4:5]
	v_cndmask_b32_e64 v5, 0, -1, vcc
	v_cmp_eq_u32_e32 vcc, s43, v6
	v_add_co_u32_e64 v10, s[4:5], 2, v7
	v_add_co_u32_e64 v14, s[4:5], 1, v7
	v_cndmask_b32_e32 v5, v11, v5, vcc
	v_cmp_ne_u32_e32 vcc, 0, v8
	v_cndmask_b32_e32 v6, v14, v10, vcc
	v_cmp_ne_u32_e32 vcc, 0, v5
	v_cndmask_b32_e32 v5, v7, v6, vcc
	v_xor_b32_e32 v6, s40, v9
	v_xor_b32_e32 v5, v5, v6
	v_sub_co_u32_e32 v8, vcc, v5, v6
                                        ; implicit-def: $vgpr6_vgpr7
.LBB56_19:                              ;   in Loop: Header=BB56_9 Depth=1
	s_andn2_saveexec_b64 s[4:5], s[38:39]
	s_cbranch_execz .LBB56_21
; %bb.20:                               ;   in Loop: Header=BB56_9 Depth=1
	v_cvt_f32_u32_e32 v5, s33
	s_sub_i32 s38, 0, s33
	v_rcp_iflag_f32_e32 v5, v5
	v_mul_f32_e32 v5, 0x4f7ffffe, v5
	v_cvt_u32_f32_e32 v5, v5
	v_mul_lo_u32 v7, s38, v5
	v_mul_hi_u32 v7, v5, v7
	v_add_u32_e32 v5, v5, v7
	v_mul_hi_u32 v5, v6, v5
	v_mul_lo_u32 v7, v5, s33
	v_add_u32_e32 v8, 1, v5
	v_sub_u32_e32 v6, v6, v7
	v_subrev_u32_e32 v7, s33, v6
	v_cmp_le_u32_e32 vcc, s33, v6
	v_cndmask_b32_e32 v6, v6, v7, vcc
	v_cndmask_b32_e32 v5, v5, v8, vcc
	v_add_u32_e32 v7, 1, v5
	v_cmp_le_u32_e32 vcc, s33, v6
	v_cndmask_b32_e32 v8, v5, v7, vcc
.LBB56_21:                              ;   in Loop: Header=BB56_9 Depth=1
	s_or_b64 exec, exec, s[4:5]
	v_mul_lo_u32 v7, v3, s24
	v_mul_lo_u32 v9, v2, s25
	v_mad_u64_u32 v[5:6], s[4:5], v2, s24, 0
	s_mov_b64 s[4:5], 0
	v_add3_u32 v6, v6, v9, v7
	v_lshlrev_b64 v[5:6], 3, v[5:6]
	v_mov_b32_e32 v7, s23
	v_add_co_u32_e32 v5, vcc, s22, v5
	v_addc_co_u32_e32 v6, vcc, v7, v6, vcc
	global_load_dwordx2 v[5:6], v[5:6], off
	v_ashrrev_i32_e32 v9, 31, v8
	v_cmp_eq_u64_e32 vcc, s[8:9], v[8:9]
	v_subbrev_co_u32_e32 v7, vcc, 0, v8, vcc
	v_lshl_add_u32 v9, v7, 3, 0
	ds_read_b64 v[7:8], v9
.LBB56_22:                              ;   Parent Loop BB56_9 Depth=1
                                        ; =>  This Inner Loop Header: Depth=2
	s_waitcnt vmcnt(0) lgkmcnt(0)
	v_add_f64 v[10:11], v[7:8], v[5:6]
	ds_cmpst_rtn_b64 v[10:11], v9, v[7:8], v[10:11]
	s_waitcnt lgkmcnt(0)
	v_cmp_eq_u64_e32 vcc, v[10:11], v[7:8]
	v_mov_b32_e32 v7, v10
	s_or_b64 s[4:5], vcc, s[4:5]
	v_mov_b32_e32 v8, v11
	s_andn2_b64 exec, exec, s[4:5]
	s_cbranch_execnz .LBB56_22
	s_branch .LBB56_8
.LBB56_23:
	s_or_b64 exec, exec, s[6:7]
; %bb.24:
	s_barrier
	s_and_saveexec_b64 s[2:3], s[0:1]
	s_cbranch_execz .LBB56_29
; %bb.25:
	v_and_b32_e32 v10, 0xffff, v12
	s_mov_b64 s[0:1], 0
	v_mov_b32_e32 v11, s17
.LBB56_26:                              ; =>This Loop Header: Depth=1
                                        ;     Child Loop BB56_27 Depth 2
	v_mul_lo_u32 v4, v1, s20
	v_mul_lo_u32 v5, v0, s21
	v_mad_u64_u32 v[2:3], s[2:3], v0, s20, 0
	s_mov_b64 s[2:3], 0
	v_add3_u32 v3, v3, v5, v4
	v_lshlrev_b64 v[2:3], 3, v[2:3]
	v_add_co_u32_e32 v6, vcc, s16, v2
	v_addc_co_u32_e32 v7, vcc, v11, v3, vcc
	global_load_dwordx2 v[4:5], v[6:7], off
	v_lshl_add_u32 v2, v0, 3, 0
	ds_read_b64 v[8:9], v2
.LBB56_27:                              ;   Parent Loop BB56_26 Depth=1
                                        ; =>  This Inner Loop Header: Depth=2
	s_waitcnt vmcnt(0) lgkmcnt(0)
	v_add_f64 v[2:3], v[4:5], v[8:9]
	global_atomic_cmpswap_x2 v[2:3], v[6:7], v[2:5], off glc
	s_waitcnt vmcnt(0)
	v_cmp_eq_u64_e32 vcc, v[2:3], v[4:5]
	v_mov_b32_e32 v5, v3
	s_or_b64 s[2:3], vcc, s[2:3]
	v_mov_b32_e32 v4, v2
	s_andn2_b64 exec, exec, s[2:3]
	s_cbranch_execnz .LBB56_27
; %bb.28:                               ;   in Loop: Header=BB56_26 Depth=1
	s_or_b64 exec, exec, s[2:3]
	v_add_co_u32_e32 v0, vcc, v0, v10
	v_addc_co_u32_e32 v1, vcc, 0, v1, vcc
	v_cmp_le_i64_e32 vcc, s[18:19], v[0:1]
	s_or_b64 s[0:1], vcc, s[0:1]
	s_andn2_b64 exec, exec, s[0:1]
	s_cbranch_execnz .LBB56_26
.LBB56_29:
	s_endpgm
	.section	.rodata,"a",@progbits
	.p2align	6, 0x0
	.amdhsa_kernel _ZN2at4cuda17kernelHistogram1DIdslLi1ELi2ELin1ELNS0_23CUDAHistogramMemoryTypeE0EZNS0_21CUDA_tensor_histogramIdsLb1EEEbNS_6TensorES4_S4_lNS_14AccumulateTypeIT0_Lb1EE4typeES8_NS0_13TensorArgTypeES9_S9_EUllE_EEvNS0_6detail10TensorInfoIT_T1_EESF_NSC_IKS6_SE_EElS8_S8_SE_T6_
		.amdhsa_group_segment_fixed_size 0
		.amdhsa_private_segment_fixed_size 0
		.amdhsa_kernarg_size 1952
		.amdhsa_user_sgpr_count 6
		.amdhsa_user_sgpr_private_segment_buffer 1
		.amdhsa_user_sgpr_dispatch_ptr 0
		.amdhsa_user_sgpr_queue_ptr 0
		.amdhsa_user_sgpr_kernarg_segment_ptr 1
		.amdhsa_user_sgpr_dispatch_id 0
		.amdhsa_user_sgpr_flat_scratch_init 0
		.amdhsa_user_sgpr_private_segment_size 0
		.amdhsa_uses_dynamic_stack 0
		.amdhsa_system_sgpr_private_segment_wavefront_offset 0
		.amdhsa_system_sgpr_workgroup_id_x 1
		.amdhsa_system_sgpr_workgroup_id_y 0
		.amdhsa_system_sgpr_workgroup_id_z 0
		.amdhsa_system_sgpr_workgroup_info 0
		.amdhsa_system_vgpr_workitem_id 0
		.amdhsa_next_free_vgpr 22
		.amdhsa_next_free_sgpr 56
		.amdhsa_reserve_vcc 1
		.amdhsa_reserve_flat_scratch 0
		.amdhsa_float_round_mode_32 0
		.amdhsa_float_round_mode_16_64 0
		.amdhsa_float_denorm_mode_32 3
		.amdhsa_float_denorm_mode_16_64 3
		.amdhsa_dx10_clamp 1
		.amdhsa_ieee_mode 1
		.amdhsa_fp16_overflow 0
		.amdhsa_exception_fp_ieee_invalid_op 0
		.amdhsa_exception_fp_denorm_src 0
		.amdhsa_exception_fp_ieee_div_zero 0
		.amdhsa_exception_fp_ieee_overflow 0
		.amdhsa_exception_fp_ieee_underflow 0
		.amdhsa_exception_fp_ieee_inexact 0
		.amdhsa_exception_int_div_zero 0
	.end_amdhsa_kernel
	.section	.text._ZN2at4cuda17kernelHistogram1DIdslLi1ELi2ELin1ELNS0_23CUDAHistogramMemoryTypeE0EZNS0_21CUDA_tensor_histogramIdsLb1EEEbNS_6TensorES4_S4_lNS_14AccumulateTypeIT0_Lb1EE4typeES8_NS0_13TensorArgTypeES9_S9_EUllE_EEvNS0_6detail10TensorInfoIT_T1_EESF_NSC_IKS6_SE_EElS8_S8_SE_T6_,"axG",@progbits,_ZN2at4cuda17kernelHistogram1DIdslLi1ELi2ELin1ELNS0_23CUDAHistogramMemoryTypeE0EZNS0_21CUDA_tensor_histogramIdsLb1EEEbNS_6TensorES4_S4_lNS_14AccumulateTypeIT0_Lb1EE4typeES8_NS0_13TensorArgTypeES9_S9_EUllE_EEvNS0_6detail10TensorInfoIT_T1_EESF_NSC_IKS6_SE_EElS8_S8_SE_T6_,comdat
.Lfunc_end56:
	.size	_ZN2at4cuda17kernelHistogram1DIdslLi1ELi2ELin1ELNS0_23CUDAHistogramMemoryTypeE0EZNS0_21CUDA_tensor_histogramIdsLb1EEEbNS_6TensorES4_S4_lNS_14AccumulateTypeIT0_Lb1EE4typeES8_NS0_13TensorArgTypeES9_S9_EUllE_EEvNS0_6detail10TensorInfoIT_T1_EESF_NSC_IKS6_SE_EElS8_S8_SE_T6_, .Lfunc_end56-_ZN2at4cuda17kernelHistogram1DIdslLi1ELi2ELin1ELNS0_23CUDAHistogramMemoryTypeE0EZNS0_21CUDA_tensor_histogramIdsLb1EEEbNS_6TensorES4_S4_lNS_14AccumulateTypeIT0_Lb1EE4typeES8_NS0_13TensorArgTypeES9_S9_EUllE_EEvNS0_6detail10TensorInfoIT_T1_EESF_NSC_IKS6_SE_EElS8_S8_SE_T6_
                                        ; -- End function
	.set _ZN2at4cuda17kernelHistogram1DIdslLi1ELi2ELin1ELNS0_23CUDAHistogramMemoryTypeE0EZNS0_21CUDA_tensor_histogramIdsLb1EEEbNS_6TensorES4_S4_lNS_14AccumulateTypeIT0_Lb1EE4typeES8_NS0_13TensorArgTypeES9_S9_EUllE_EEvNS0_6detail10TensorInfoIT_T1_EESF_NSC_IKS6_SE_EElS8_S8_SE_T6_.num_vgpr, 22
	.set _ZN2at4cuda17kernelHistogram1DIdslLi1ELi2ELin1ELNS0_23CUDAHistogramMemoryTypeE0EZNS0_21CUDA_tensor_histogramIdsLb1EEEbNS_6TensorES4_S4_lNS_14AccumulateTypeIT0_Lb1EE4typeES8_NS0_13TensorArgTypeES9_S9_EUllE_EEvNS0_6detail10TensorInfoIT_T1_EESF_NSC_IKS6_SE_EElS8_S8_SE_T6_.num_agpr, 0
	.set _ZN2at4cuda17kernelHistogram1DIdslLi1ELi2ELin1ELNS0_23CUDAHistogramMemoryTypeE0EZNS0_21CUDA_tensor_histogramIdsLb1EEEbNS_6TensorES4_S4_lNS_14AccumulateTypeIT0_Lb1EE4typeES8_NS0_13TensorArgTypeES9_S9_EUllE_EEvNS0_6detail10TensorInfoIT_T1_EESF_NSC_IKS6_SE_EElS8_S8_SE_T6_.numbered_sgpr, 56
	.set _ZN2at4cuda17kernelHistogram1DIdslLi1ELi2ELin1ELNS0_23CUDAHistogramMemoryTypeE0EZNS0_21CUDA_tensor_histogramIdsLb1EEEbNS_6TensorES4_S4_lNS_14AccumulateTypeIT0_Lb1EE4typeES8_NS0_13TensorArgTypeES9_S9_EUllE_EEvNS0_6detail10TensorInfoIT_T1_EESF_NSC_IKS6_SE_EElS8_S8_SE_T6_.num_named_barrier, 0
	.set _ZN2at4cuda17kernelHistogram1DIdslLi1ELi2ELin1ELNS0_23CUDAHistogramMemoryTypeE0EZNS0_21CUDA_tensor_histogramIdsLb1EEEbNS_6TensorES4_S4_lNS_14AccumulateTypeIT0_Lb1EE4typeES8_NS0_13TensorArgTypeES9_S9_EUllE_EEvNS0_6detail10TensorInfoIT_T1_EESF_NSC_IKS6_SE_EElS8_S8_SE_T6_.private_seg_size, 0
	.set _ZN2at4cuda17kernelHistogram1DIdslLi1ELi2ELin1ELNS0_23CUDAHistogramMemoryTypeE0EZNS0_21CUDA_tensor_histogramIdsLb1EEEbNS_6TensorES4_S4_lNS_14AccumulateTypeIT0_Lb1EE4typeES8_NS0_13TensorArgTypeES9_S9_EUllE_EEvNS0_6detail10TensorInfoIT_T1_EESF_NSC_IKS6_SE_EElS8_S8_SE_T6_.uses_vcc, 1
	.set _ZN2at4cuda17kernelHistogram1DIdslLi1ELi2ELin1ELNS0_23CUDAHistogramMemoryTypeE0EZNS0_21CUDA_tensor_histogramIdsLb1EEEbNS_6TensorES4_S4_lNS_14AccumulateTypeIT0_Lb1EE4typeES8_NS0_13TensorArgTypeES9_S9_EUllE_EEvNS0_6detail10TensorInfoIT_T1_EESF_NSC_IKS6_SE_EElS8_S8_SE_T6_.uses_flat_scratch, 0
	.set _ZN2at4cuda17kernelHistogram1DIdslLi1ELi2ELin1ELNS0_23CUDAHistogramMemoryTypeE0EZNS0_21CUDA_tensor_histogramIdsLb1EEEbNS_6TensorES4_S4_lNS_14AccumulateTypeIT0_Lb1EE4typeES8_NS0_13TensorArgTypeES9_S9_EUllE_EEvNS0_6detail10TensorInfoIT_T1_EESF_NSC_IKS6_SE_EElS8_S8_SE_T6_.has_dyn_sized_stack, 0
	.set _ZN2at4cuda17kernelHistogram1DIdslLi1ELi2ELin1ELNS0_23CUDAHistogramMemoryTypeE0EZNS0_21CUDA_tensor_histogramIdsLb1EEEbNS_6TensorES4_S4_lNS_14AccumulateTypeIT0_Lb1EE4typeES8_NS0_13TensorArgTypeES9_S9_EUllE_EEvNS0_6detail10TensorInfoIT_T1_EESF_NSC_IKS6_SE_EElS8_S8_SE_T6_.has_recursion, 0
	.set _ZN2at4cuda17kernelHistogram1DIdslLi1ELi2ELin1ELNS0_23CUDAHistogramMemoryTypeE0EZNS0_21CUDA_tensor_histogramIdsLb1EEEbNS_6TensorES4_S4_lNS_14AccumulateTypeIT0_Lb1EE4typeES8_NS0_13TensorArgTypeES9_S9_EUllE_EEvNS0_6detail10TensorInfoIT_T1_EESF_NSC_IKS6_SE_EElS8_S8_SE_T6_.has_indirect_call, 0
	.section	.AMDGPU.csdata,"",@progbits
; Kernel info:
; codeLenInByte = 2504
; TotalNumSgprs: 60
; NumVgprs: 22
; ScratchSize: 0
; MemoryBound: 0
; FloatMode: 240
; IeeeMode: 1
; LDSByteSize: 0 bytes/workgroup (compile time only)
; SGPRBlocks: 7
; VGPRBlocks: 5
; NumSGPRsForWavesPerEU: 60
; NumVGPRsForWavesPerEU: 22
; Occupancy: 10
; WaveLimiterHint : 1
; COMPUTE_PGM_RSRC2:SCRATCH_EN: 0
; COMPUTE_PGM_RSRC2:USER_SGPR: 6
; COMPUTE_PGM_RSRC2:TRAP_HANDLER: 0
; COMPUTE_PGM_RSRC2:TGID_X_EN: 1
; COMPUTE_PGM_RSRC2:TGID_Y_EN: 0
; COMPUTE_PGM_RSRC2:TGID_Z_EN: 0
; COMPUTE_PGM_RSRC2:TIDIG_COMP_CNT: 0
	.section	.text._ZN2at4cuda17kernelHistogram1DIdslLi1ELi2ELin1ELNS0_23CUDAHistogramMemoryTypeE1EZNS0_21CUDA_tensor_histogramIdsLb1EEEbNS_6TensorES4_S4_lNS_14AccumulateTypeIT0_Lb1EE4typeES8_NS0_13TensorArgTypeES9_S9_EUllE_EEvNS0_6detail10TensorInfoIT_T1_EESF_NSC_IKS6_SE_EElS8_S8_SE_T6_,"axG",@progbits,_ZN2at4cuda17kernelHistogram1DIdslLi1ELi2ELin1ELNS0_23CUDAHistogramMemoryTypeE1EZNS0_21CUDA_tensor_histogramIdsLb1EEEbNS_6TensorES4_S4_lNS_14AccumulateTypeIT0_Lb1EE4typeES8_NS0_13TensorArgTypeES9_S9_EUllE_EEvNS0_6detail10TensorInfoIT_T1_EESF_NSC_IKS6_SE_EElS8_S8_SE_T6_,comdat
	.protected	_ZN2at4cuda17kernelHistogram1DIdslLi1ELi2ELin1ELNS0_23CUDAHistogramMemoryTypeE1EZNS0_21CUDA_tensor_histogramIdsLb1EEEbNS_6TensorES4_S4_lNS_14AccumulateTypeIT0_Lb1EE4typeES8_NS0_13TensorArgTypeES9_S9_EUllE_EEvNS0_6detail10TensorInfoIT_T1_EESF_NSC_IKS6_SE_EElS8_S8_SE_T6_ ; -- Begin function _ZN2at4cuda17kernelHistogram1DIdslLi1ELi2ELin1ELNS0_23CUDAHistogramMemoryTypeE1EZNS0_21CUDA_tensor_histogramIdsLb1EEEbNS_6TensorES4_S4_lNS_14AccumulateTypeIT0_Lb1EE4typeES8_NS0_13TensorArgTypeES9_S9_EUllE_EEvNS0_6detail10TensorInfoIT_T1_EESF_NSC_IKS6_SE_EElS8_S8_SE_T6_
	.globl	_ZN2at4cuda17kernelHistogram1DIdslLi1ELi2ELin1ELNS0_23CUDAHistogramMemoryTypeE1EZNS0_21CUDA_tensor_histogramIdsLb1EEEbNS_6TensorES4_S4_lNS_14AccumulateTypeIT0_Lb1EE4typeES8_NS0_13TensorArgTypeES9_S9_EUllE_EEvNS0_6detail10TensorInfoIT_T1_EESF_NSC_IKS6_SE_EElS8_S8_SE_T6_
	.p2align	8
	.type	_ZN2at4cuda17kernelHistogram1DIdslLi1ELi2ELin1ELNS0_23CUDAHistogramMemoryTypeE1EZNS0_21CUDA_tensor_histogramIdsLb1EEEbNS_6TensorES4_S4_lNS_14AccumulateTypeIT0_Lb1EE4typeES8_NS0_13TensorArgTypeES9_S9_EUllE_EEvNS0_6detail10TensorInfoIT_T1_EESF_NSC_IKS6_SE_EElS8_S8_SE_T6_,@function
_ZN2at4cuda17kernelHistogram1DIdslLi1ELi2ELin1ELNS0_23CUDAHistogramMemoryTypeE1EZNS0_21CUDA_tensor_histogramIdsLb1EEEbNS_6TensorES4_S4_lNS_14AccumulateTypeIT0_Lb1EE4typeES8_NS0_13TensorArgTypeES9_S9_EUllE_EEvNS0_6detail10TensorInfoIT_T1_EESF_NSC_IKS6_SE_EElS8_S8_SE_T6_: ; @_ZN2at4cuda17kernelHistogram1DIdslLi1ELi2ELin1ELNS0_23CUDAHistogramMemoryTypeE1EZNS0_21CUDA_tensor_histogramIdsLb1EEEbNS_6TensorES4_S4_lNS_14AccumulateTypeIT0_Lb1EE4typeES8_NS0_13TensorArgTypeES9_S9_EUllE_EEvNS0_6detail10TensorInfoIT_T1_EESF_NSC_IKS6_SE_EElS8_S8_SE_T6_
; %bb.0:
	s_load_dword s2, s[4:5], 0x6ac
	s_load_dwordx8 s[8:15], s[4:5], 0x4e0
	s_add_u32 s0, s4, 0x6a0
	s_addc_u32 s1, s5, 0
	v_mov_b32_e32 v6, 0
	s_waitcnt lgkmcnt(0)
	s_and_b32 s2, s2, 0xffff
	s_mul_i32 s6, s6, s2
	v_add_u32_e32 v4, s6, v0
	v_mov_b32_e32 v5, v6
	v_cmp_gt_i64_e32 vcc, s[14:15], v[4:5]
	s_and_saveexec_b64 s[6:7], vcc
	s_cbranch_execz .LBB57_17
; %bb.1:
	s_load_dwordx2 s[6:7], s[4:5], 0x5d0
	s_load_dword s26, s[4:5], 0x4d8
	s_load_dwordx2 s[16:17], s[4:5], 0x500
	s_load_dword s3, s[0:1], 0x0
	s_add_u32 s27, s4, 0x340
	s_addc_u32 s28, s5, 0
	s_waitcnt lgkmcnt(0)
	s_cmp_gt_i32 s26, 1
	s_cselect_b64 s[0:1], -1, 0
	s_load_dwordx2 s[18:19], s[4:5], 0x0
	s_load_dwordx2 s[20:21], s[4:5], 0xd0
	;; [unrolled: 1-line block ×4, first 2 shown]
	s_sub_u32 s33, s12, s10
	s_subb_u32 s40, s13, s11
	s_mul_i32 s41, s3, s2
	s_mov_b32 s3, 0
	s_add_i32 s2, s26, -1
	s_add_i32 s42, s26, 1
	s_lshl_b64 s[2:3], s[2:3], 3
	s_add_u32 s2, s27, s2
	s_addc_u32 s3, s28, s3
	s_add_u32 s4, s2, 8
	v_cndmask_b32_e64 v0, 0, 1, s[0:1]
	s_addc_u32 s5, s3, 0
	s_mov_b64 s[26:27], 0
	v_cmp_ne_u32_e64 s[0:1], 1, v0
	s_branch .LBB57_3
.LBB57_2:                               ;   in Loop: Header=BB57_3 Depth=1
	s_or_b64 exec, exec, s[28:29]
	v_add_co_u32_e32 v4, vcc, s41, v4
	v_addc_co_u32_e32 v5, vcc, 0, v5, vcc
	v_cmp_le_i64_e32 vcc, s[14:15], v[4:5]
	s_or_b64 s[26:27], vcc, s[26:27]
	s_andn2_b64 exec, exec, s[26:27]
	s_cbranch_execz .LBB57_17
.LBB57_3:                               ; =>This Loop Header: Depth=1
                                        ;     Child Loop BB57_4 Depth 2
                                        ;     Child Loop BB57_16 Depth 2
	v_mov_b32_e32 v0, 0
	v_mov_b32_e32 v2, v4
	;; [unrolled: 1-line block ×4, first 2 shown]
	s_and_b64 vcc, exec, s[0:1]
	s_mov_b64 s[28:29], s[4:5]
	s_mov_b32 s43, s42
	v_mov_b32_e32 v3, v5
	v_mov_b32_e32 v7, v4
	s_cbranch_vccnz .LBB57_10
.LBB57_4:                               ;   Parent Loop BB57_3 Depth=1
                                        ; =>  This Inner Loop Header: Depth=2
	s_load_dwordx2 s[30:31], s[28:29], 0x0
	s_waitcnt lgkmcnt(0)
	v_or_b32_e32 v7, s31, v3
	v_cmp_ne_u64_e32 vcc, 0, v[6:7]
                                        ; implicit-def: $vgpr7_vgpr8
	s_and_saveexec_b64 s[2:3], vcc
	s_xor_b64 s[34:35], exec, s[2:3]
	s_cbranch_execz .LBB57_6
; %bb.5:                                ;   in Loop: Header=BB57_4 Depth=2
	s_ashr_i32 s36, s31, 31
	s_add_u32 s2, s30, s36
	s_mov_b32 s37, s36
	s_addc_u32 s3, s31, s36
	s_xor_b64 s[38:39], s[2:3], s[36:37]
	v_cvt_f32_u32_e32 v7, s38
	v_cvt_f32_u32_e32 v8, s39
	s_sub_u32 s37, 0, s38
	s_subb_u32 s44, 0, s39
	v_ashrrev_i32_e32 v11, 31, v3
	v_mac_f32_e32 v7, 0x4f800000, v8
	v_rcp_f32_e32 v7, v7
	v_mul_f32_e32 v7, 0x5f7ffffc, v7
	v_mul_f32_e32 v8, 0x2f800000, v7
	v_trunc_f32_e32 v8, v8
	v_mac_f32_e32 v7, 0xcf800000, v8
	v_cvt_u32_f32_e32 v8, v8
	v_cvt_u32_f32_e32 v7, v7
	v_readfirstlane_b32 s45, v8
	v_readfirstlane_b32 s2, v7
	s_mul_i32 s3, s37, s45
	s_mul_hi_u32 s47, s37, s2
	s_mul_i32 s46, s44, s2
	s_add_i32 s3, s47, s3
	s_add_i32 s3, s3, s46
	s_mul_i32 s48, s37, s2
	s_mul_i32 s47, s2, s3
	s_mul_hi_u32 s49, s2, s48
	s_mul_hi_u32 s46, s2, s3
	s_add_u32 s47, s49, s47
	s_addc_u32 s46, 0, s46
	s_mul_hi_u32 s50, s45, s48
	s_mul_i32 s48, s45, s48
	s_add_u32 s47, s47, s48
	s_mul_hi_u32 s49, s45, s3
	s_addc_u32 s46, s46, s50
	s_addc_u32 s47, s49, 0
	s_mul_i32 s3, s45, s3
	s_add_u32 s3, s46, s3
	s_addc_u32 s46, 0, s47
	s_add_u32 s47, s2, s3
	s_cselect_b64 s[2:3], -1, 0
	s_cmp_lg_u64 s[2:3], 0
	s_addc_u32 s45, s45, s46
	s_mul_i32 s2, s37, s45
	s_mul_hi_u32 s3, s37, s47
	s_add_i32 s2, s3, s2
	s_mul_i32 s44, s44, s47
	s_add_i32 s2, s2, s44
	s_mul_i32 s37, s37, s47
	s_mul_hi_u32 s44, s45, s37
	s_mul_i32 s46, s45, s37
	s_mul_i32 s49, s47, s2
	s_mul_hi_u32 s37, s47, s37
	s_mul_hi_u32 s48, s47, s2
	s_add_u32 s37, s37, s49
	s_addc_u32 s48, 0, s48
	s_add_u32 s37, s37, s46
	s_mul_hi_u32 s3, s45, s2
	s_addc_u32 s37, s48, s44
	s_addc_u32 s3, s3, 0
	s_mul_i32 s2, s45, s2
	s_add_u32 s2, s37, s2
	s_addc_u32 s37, 0, s3
	s_add_u32 s44, s47, s2
	s_cselect_b64 s[2:3], -1, 0
	s_cmp_lg_u64 s[2:3], 0
	v_add_co_u32_e32 v7, vcc, v2, v11
	s_addc_u32 s37, s45, s37
	v_xor_b32_e32 v12, v7, v11
	v_mad_u64_u32 v[7:8], s[2:3], v12, s37, 0
	v_mul_hi_u32 v10, v12, s44
	v_addc_co_u32_e32 v9, vcc, v3, v11, vcc
	v_xor_b32_e32 v13, v9, v11
	v_add_co_u32_e32 v14, vcc, v10, v7
	v_addc_co_u32_e32 v15, vcc, 0, v8, vcc
	v_mad_u64_u32 v[7:8], s[2:3], v13, s44, 0
	v_mad_u64_u32 v[9:10], s[2:3], v13, s37, 0
	v_add_co_u32_e32 v7, vcc, v14, v7
	v_addc_co_u32_e32 v7, vcc, v15, v8, vcc
	v_addc_co_u32_e32 v8, vcc, 0, v10, vcc
	v_add_co_u32_e32 v9, vcc, v7, v9
	v_addc_co_u32_e32 v10, vcc, 0, v8, vcc
	v_mul_lo_u32 v14, s39, v9
	v_mul_lo_u32 v15, s38, v10
	v_mad_u64_u32 v[7:8], s[2:3], s38, v9, 0
	v_add3_u32 v8, v8, v15, v14
	v_sub_u32_e32 v14, v13, v8
	v_mov_b32_e32 v15, s39
	v_sub_co_u32_e32 v7, vcc, v12, v7
	v_subb_co_u32_e64 v12, s[2:3], v14, v15, vcc
	v_subrev_co_u32_e64 v14, s[2:3], s38, v7
	v_subbrev_co_u32_e64 v12, s[2:3], 0, v12, s[2:3]
	v_cmp_le_u32_e64 s[2:3], s39, v12
	v_cndmask_b32_e64 v15, 0, -1, s[2:3]
	v_cmp_le_u32_e64 s[2:3], s38, v14
	v_cndmask_b32_e64 v14, 0, -1, s[2:3]
	v_cmp_eq_u32_e64 s[2:3], s39, v12
	v_cndmask_b32_e64 v12, v15, v14, s[2:3]
	v_add_co_u32_e64 v14, s[2:3], 2, v9
	v_subb_co_u32_e32 v8, vcc, v13, v8, vcc
	v_addc_co_u32_e64 v15, s[2:3], 0, v10, s[2:3]
	v_cmp_le_u32_e32 vcc, s39, v8
	v_add_co_u32_e64 v16, s[2:3], 1, v9
	v_cndmask_b32_e64 v13, 0, -1, vcc
	v_cmp_le_u32_e32 vcc, s38, v7
	v_addc_co_u32_e64 v17, s[2:3], 0, v10, s[2:3]
	v_cndmask_b32_e64 v7, 0, -1, vcc
	v_cmp_eq_u32_e32 vcc, s39, v8
	v_cmp_ne_u32_e64 s[2:3], 0, v12
	v_cndmask_b32_e32 v7, v13, v7, vcc
	v_cndmask_b32_e64 v12, v17, v15, s[2:3]
	v_cmp_ne_u32_e32 vcc, 0, v7
	v_cndmask_b32_e64 v8, v16, v14, s[2:3]
	v_cndmask_b32_e32 v7, v10, v12, vcc
	v_cndmask_b32_e32 v8, v9, v8, vcc
	v_xor_b32_e32 v9, s36, v11
	v_xor_b32_e32 v10, v7, v9
	;; [unrolled: 1-line block ×3, first 2 shown]
	v_sub_co_u32_e32 v7, vcc, v7, v9
	v_subb_co_u32_e32 v8, vcc, v10, v9, vcc
.LBB57_6:                               ;   in Loop: Header=BB57_4 Depth=2
	s_andn2_saveexec_b64 s[2:3], s[34:35]
	s_cbranch_execz .LBB57_8
; %bb.7:                                ;   in Loop: Header=BB57_4 Depth=2
	v_cvt_f32_u32_e32 v7, s30
	s_sub_i32 s34, 0, s30
	v_rcp_iflag_f32_e32 v7, v7
	v_mul_f32_e32 v7, 0x4f7ffffe, v7
	v_cvt_u32_f32_e32 v7, v7
	v_mul_lo_u32 v8, s34, v7
	v_mul_hi_u32 v8, v7, v8
	v_add_u32_e32 v7, v7, v8
	v_mul_hi_u32 v7, v2, v7
	v_mul_lo_u32 v8, v7, s30
	v_add_u32_e32 v9, 1, v7
	v_sub_u32_e32 v8, v2, v8
	v_subrev_u32_e32 v10, s30, v8
	v_cmp_le_u32_e32 vcc, s30, v8
	v_cndmask_b32_e32 v8, v8, v10, vcc
	v_cndmask_b32_e32 v7, v7, v9, vcc
	v_add_u32_e32 v9, 1, v7
	v_cmp_le_u32_e32 vcc, s30, v8
	v_cndmask_b32_e32 v7, v7, v9, vcc
	v_mov_b32_e32 v8, v6
.LBB57_8:                               ;   in Loop: Header=BB57_4 Depth=2
	s_or_b64 exec, exec, s[2:3]
	v_mul_lo_u32 v11, v8, s30
	v_mul_lo_u32 v12, v7, s31
	v_mad_u64_u32 v[9:10], s[2:3], v7, s30, 0
	s_load_dwordx2 s[2:3], s[28:29], 0xc8
	s_add_i32 s43, s43, -1
	v_add3_u32 v10, v10, v12, v11
	v_sub_co_u32_e32 v2, vcc, v2, v9
	v_subb_co_u32_e32 v3, vcc, v3, v10, vcc
	s_waitcnt lgkmcnt(0)
	v_mul_lo_u32 v3, s2, v3
	v_mul_lo_u32 v9, s3, v2
	v_mad_u64_u32 v[0:1], s[2:3], s2, v2, v[0:1]
	s_add_u32 s28, s28, -8
	s_addc_u32 s29, s29, -1
	s_cmp_gt_u32 s43, 2
	v_add3_u32 v1, v9, v1, v3
	s_cbranch_scc0 .LBB57_10
; %bb.9:                                ;   in Loop: Header=BB57_4 Depth=2
	v_mov_b32_e32 v2, v7
	v_mov_b32_e32 v3, v8
	s_branch .LBB57_4
.LBB57_10:                              ;   in Loop: Header=BB57_3 Depth=1
	s_waitcnt lgkmcnt(0)
	v_mul_lo_u32 v9, s23, v7
	v_mul_lo_u32 v8, s22, v8
	v_mad_u64_u32 v[2:3], s[2:3], s22, v7, 0
	v_mov_b32_e32 v7, s25
	v_lshlrev_b64 v[0:1], 1, v[0:1]
	v_add3_u32 v3, v3, v8, v9
	v_lshlrev_b64 v[2:3], 1, v[2:3]
	v_add_co_u32_e32 v2, vcc, s24, v2
	v_addc_co_u32_e32 v3, vcc, v7, v3, vcc
	v_add_co_u32_e32 v0, vcc, v2, v0
	v_addc_co_u32_e32 v1, vcc, v3, v1, vcc
	global_load_ushort v0, v[0:1], off
	s_waitcnt vmcnt(0)
	v_bfe_i32 v0, v0, 0, 16
	v_ashrrev_i32_e32 v1, 31, v0
	v_cmp_le_i64_e32 vcc, s[10:11], v[0:1]
	v_cmp_ge_i64_e64 s[2:3], s[12:13], v[0:1]
	s_and_b64 s[2:3], vcc, s[2:3]
	s_and_saveexec_b64 s[28:29], s[2:3]
	s_cbranch_execz .LBB57_2
; %bb.11:                               ;   in Loop: Header=BB57_3 Depth=1
	v_mov_b32_e32 v2, s11
	v_subrev_co_u32_e32 v0, vcc, s10, v0
	v_subb_co_u32_e32 v1, vcc, v1, v2, vcc
	v_mul_lo_u32 v2, v1, s8
	v_mul_lo_u32 v3, v0, s9
	v_mad_u64_u32 v[0:1], s[2:3], v0, s8, 0
	v_add3_u32 v1, v1, v3, v2
	v_or_b32_e32 v7, s40, v1
	v_cmp_ne_u64_e32 vcc, 0, v[6:7]
                                        ; implicit-def: $vgpr2_vgpr3
	s_and_saveexec_b64 s[2:3], vcc
	s_xor_b64 s[30:31], exec, s[2:3]
	s_cbranch_execz .LBB57_13
; %bb.12:                               ;   in Loop: Header=BB57_3 Depth=1
	s_ashr_i32 s34, s40, 31
	s_add_u32 s2, s33, s34
	s_mov_b32 s35, s34
	s_addc_u32 s3, s40, s34
	s_xor_b64 s[36:37], s[2:3], s[34:35]
	v_cvt_f32_u32_e32 v2, s36
	v_cvt_f32_u32_e32 v3, s37
	s_sub_u32 s35, 0, s36
	s_subb_u32 s38, 0, s37
	v_ashrrev_i32_e32 v7, 31, v1
	v_mac_f32_e32 v2, 0x4f800000, v3
	v_rcp_f32_e32 v2, v2
	v_add_co_u32_e32 v0, vcc, v0, v7
	v_xor_b32_e32 v8, v0, v7
	v_mul_f32_e32 v2, 0x5f7ffffc, v2
	v_mul_f32_e32 v3, 0x2f800000, v2
	v_trunc_f32_e32 v3, v3
	v_mac_f32_e32 v2, 0xcf800000, v3
	v_cvt_u32_f32_e32 v3, v3
	v_cvt_u32_f32_e32 v2, v2
	v_readfirstlane_b32 s39, v3
	v_readfirstlane_b32 s2, v2
	s_mul_i32 s3, s35, s39
	s_mul_hi_u32 s44, s35, s2
	s_mul_i32 s43, s38, s2
	s_add_i32 s3, s44, s3
	s_add_i32 s3, s3, s43
	s_mul_i32 s45, s35, s2
	s_mul_i32 s44, s2, s3
	s_mul_hi_u32 s46, s2, s45
	s_mul_hi_u32 s43, s2, s3
	s_add_u32 s44, s46, s44
	s_addc_u32 s43, 0, s43
	s_mul_hi_u32 s47, s39, s45
	s_mul_i32 s45, s39, s45
	s_add_u32 s44, s44, s45
	s_mul_hi_u32 s46, s39, s3
	s_addc_u32 s43, s43, s47
	s_addc_u32 s44, s46, 0
	s_mul_i32 s3, s39, s3
	s_add_u32 s3, s43, s3
	s_addc_u32 s43, 0, s44
	s_add_u32 s44, s2, s3
	s_cselect_b64 s[2:3], -1, 0
	s_cmp_lg_u64 s[2:3], 0
	s_addc_u32 s39, s39, s43
	s_mul_i32 s2, s35, s39
	s_mul_hi_u32 s3, s35, s44
	s_add_i32 s2, s3, s2
	s_mul_i32 s38, s38, s44
	s_add_i32 s2, s2, s38
	s_mul_i32 s35, s35, s44
	s_mul_hi_u32 s38, s39, s35
	s_mul_i32 s43, s39, s35
	s_mul_i32 s46, s44, s2
	s_mul_hi_u32 s35, s44, s35
	s_mul_hi_u32 s45, s44, s2
	s_add_u32 s35, s35, s46
	s_addc_u32 s45, 0, s45
	s_add_u32 s35, s35, s43
	s_mul_hi_u32 s3, s39, s2
	s_addc_u32 s35, s45, s38
	s_addc_u32 s3, s3, 0
	s_mul_i32 s2, s39, s2
	s_add_u32 s2, s35, s2
	s_addc_u32 s35, 0, s3
	s_add_u32 s38, s44, s2
	s_cselect_b64 s[2:3], -1, 0
	s_cmp_lg_u64 s[2:3], 0
	s_addc_u32 s35, s39, s35
	v_addc_co_u32_e32 v2, vcc, v1, v7, vcc
	v_mad_u64_u32 v[0:1], s[2:3], v8, s35, 0
	v_mul_hi_u32 v3, v8, s38
	v_xor_b32_e32 v9, v2, v7
	v_add_co_u32_e32 v10, vcc, v3, v0
	v_addc_co_u32_e32 v11, vcc, 0, v1, vcc
	v_mad_u64_u32 v[0:1], s[2:3], v9, s38, 0
	v_mad_u64_u32 v[2:3], s[2:3], v9, s35, 0
	v_add_co_u32_e32 v0, vcc, v10, v0
	v_addc_co_u32_e32 v0, vcc, v11, v1, vcc
	v_addc_co_u32_e32 v1, vcc, 0, v3, vcc
	v_add_co_u32_e32 v2, vcc, v0, v2
	v_addc_co_u32_e32 v0, vcc, 0, v1, vcc
	v_mul_lo_u32 v3, s37, v2
	v_mul_lo_u32 v10, s36, v0
	v_mad_u64_u32 v[0:1], s[2:3], s36, v2, 0
	v_add3_u32 v1, v1, v10, v3
	v_sub_u32_e32 v3, v9, v1
	v_mov_b32_e32 v10, s37
	v_sub_co_u32_e32 v0, vcc, v8, v0
	v_subb_co_u32_e64 v3, s[2:3], v3, v10, vcc
	v_subrev_co_u32_e64 v8, s[2:3], s36, v0
	v_subbrev_co_u32_e64 v3, s[2:3], 0, v3, s[2:3]
	v_cmp_le_u32_e64 s[2:3], s37, v3
	v_subb_co_u32_e32 v1, vcc, v9, v1, vcc
	v_cndmask_b32_e64 v10, 0, -1, s[2:3]
	v_cmp_le_u32_e64 s[2:3], s36, v8
	v_cmp_le_u32_e32 vcc, s37, v1
	v_cndmask_b32_e64 v8, 0, -1, s[2:3]
	v_cmp_eq_u32_e64 s[2:3], s37, v3
	v_cndmask_b32_e64 v9, 0, -1, vcc
	v_cmp_le_u32_e32 vcc, s36, v0
	v_cndmask_b32_e64 v3, v10, v8, s[2:3]
	v_cndmask_b32_e64 v0, 0, -1, vcc
	v_cmp_eq_u32_e32 vcc, s37, v1
	v_add_co_u32_e64 v8, s[2:3], 2, v2
	v_add_co_u32_e64 v10, s[2:3], 1, v2
	v_cndmask_b32_e32 v0, v9, v0, vcc
	v_cmp_ne_u32_e32 vcc, 0, v3
	v_cndmask_b32_e32 v1, v10, v8, vcc
	v_cmp_ne_u32_e32 vcc, 0, v0
	v_cndmask_b32_e32 v0, v2, v1, vcc
	v_xor_b32_e32 v1, s34, v7
	v_xor_b32_e32 v0, v0, v1
	v_sub_co_u32_e32 v2, vcc, v0, v1
                                        ; implicit-def: $vgpr0_vgpr1
.LBB57_13:                              ;   in Loop: Header=BB57_3 Depth=1
	s_andn2_saveexec_b64 s[2:3], s[30:31]
	s_cbranch_execz .LBB57_15
; %bb.14:                               ;   in Loop: Header=BB57_3 Depth=1
	v_cvt_f32_u32_e32 v1, s33
	s_sub_i32 s30, 0, s33
	v_rcp_iflag_f32_e32 v1, v1
	v_mul_f32_e32 v1, 0x4f7ffffe, v1
	v_cvt_u32_f32_e32 v1, v1
	v_mul_lo_u32 v2, s30, v1
	v_mul_hi_u32 v2, v1, v2
	v_add_u32_e32 v1, v1, v2
	v_mul_hi_u32 v1, v0, v1
	v_mul_lo_u32 v2, v1, s33
	v_add_u32_e32 v3, 1, v1
	v_sub_u32_e32 v0, v0, v2
	v_subrev_u32_e32 v2, s33, v0
	v_cmp_le_u32_e32 vcc, s33, v0
	v_cndmask_b32_e32 v0, v0, v2, vcc
	v_cndmask_b32_e32 v1, v1, v3, vcc
	v_add_u32_e32 v2, 1, v1
	v_cmp_le_u32_e32 vcc, s33, v0
	v_cndmask_b32_e32 v2, v1, v2, vcc
.LBB57_15:                              ;   in Loop: Header=BB57_3 Depth=1
	s_or_b64 exec, exec, s[2:3]
	v_ashrrev_i32_e32 v3, 31, v2
	v_cmp_eq_u64_e32 vcc, s[8:9], v[2:3]
	v_mul_lo_u32 v9, v5, s6
	v_cndmask_b32_e64 v0, 0, 1, vcc
	v_sub_co_u32_e32 v0, vcc, v2, v0
	v_subbrev_co_u32_e32 v1, vcc, 0, v3, vcc
	v_mul_lo_u32 v2, v1, s20
	v_mul_lo_u32 v3, v0, s21
	v_mad_u64_u32 v[0:1], s[2:3], v0, s20, 0
	v_mul_lo_u32 v10, v4, s7
	v_mov_b32_e32 v8, s19
	v_add3_u32 v1, v1, v3, v2
	v_mad_u64_u32 v[2:3], s[2:3], v4, s6, 0
	v_lshlrev_b64 v[0:1], 3, v[0:1]
	s_mov_b64 s[2:3], 0
	v_add_co_u32_e32 v7, vcc, s18, v0
	v_add3_u32 v3, v3, v10, v9
	v_addc_co_u32_e32 v8, vcc, v8, v1, vcc
	v_lshlrev_b64 v[0:1], 3, v[2:3]
	v_mov_b32_e32 v2, s17
	v_add_co_u32_e32 v0, vcc, s16, v0
	v_addc_co_u32_e32 v1, vcc, v2, v1, vcc
	global_load_dwordx2 v[9:10], v[0:1], off
	global_load_dwordx2 v[2:3], v[7:8], off
.LBB57_16:                              ;   Parent Loop BB57_3 Depth=1
                                        ; =>  This Inner Loop Header: Depth=2
	s_waitcnt vmcnt(0)
	v_add_f64 v[0:1], v[2:3], v[9:10]
	global_atomic_cmpswap_x2 v[0:1], v[7:8], v[0:3], off glc
	s_waitcnt vmcnt(0)
	v_cmp_eq_u64_e32 vcc, v[0:1], v[2:3]
	v_mov_b32_e32 v3, v1
	s_or_b64 s[2:3], vcc, s[2:3]
	v_mov_b32_e32 v2, v0
	s_andn2_b64 exec, exec, s[2:3]
	s_cbranch_execnz .LBB57_16
	s_branch .LBB57_2
.LBB57_17:
	s_endpgm
	.section	.rodata,"a",@progbits
	.p2align	6, 0x0
	.amdhsa_kernel _ZN2at4cuda17kernelHistogram1DIdslLi1ELi2ELin1ELNS0_23CUDAHistogramMemoryTypeE1EZNS0_21CUDA_tensor_histogramIdsLb1EEEbNS_6TensorES4_S4_lNS_14AccumulateTypeIT0_Lb1EE4typeES8_NS0_13TensorArgTypeES9_S9_EUllE_EEvNS0_6detail10TensorInfoIT_T1_EESF_NSC_IKS6_SE_EElS8_S8_SE_T6_
		.amdhsa_group_segment_fixed_size 0
		.amdhsa_private_segment_fixed_size 0
		.amdhsa_kernarg_size 1952
		.amdhsa_user_sgpr_count 6
		.amdhsa_user_sgpr_private_segment_buffer 1
		.amdhsa_user_sgpr_dispatch_ptr 0
		.amdhsa_user_sgpr_queue_ptr 0
		.amdhsa_user_sgpr_kernarg_segment_ptr 1
		.amdhsa_user_sgpr_dispatch_id 0
		.amdhsa_user_sgpr_flat_scratch_init 0
		.amdhsa_user_sgpr_private_segment_size 0
		.amdhsa_uses_dynamic_stack 0
		.amdhsa_system_sgpr_private_segment_wavefront_offset 0
		.amdhsa_system_sgpr_workgroup_id_x 1
		.amdhsa_system_sgpr_workgroup_id_y 0
		.amdhsa_system_sgpr_workgroup_id_z 0
		.amdhsa_system_sgpr_workgroup_info 0
		.amdhsa_system_vgpr_workitem_id 0
		.amdhsa_next_free_vgpr 18
		.amdhsa_next_free_sgpr 51
		.amdhsa_reserve_vcc 1
		.amdhsa_reserve_flat_scratch 0
		.amdhsa_float_round_mode_32 0
		.amdhsa_float_round_mode_16_64 0
		.amdhsa_float_denorm_mode_32 3
		.amdhsa_float_denorm_mode_16_64 3
		.amdhsa_dx10_clamp 1
		.amdhsa_ieee_mode 1
		.amdhsa_fp16_overflow 0
		.amdhsa_exception_fp_ieee_invalid_op 0
		.amdhsa_exception_fp_denorm_src 0
		.amdhsa_exception_fp_ieee_div_zero 0
		.amdhsa_exception_fp_ieee_overflow 0
		.amdhsa_exception_fp_ieee_underflow 0
		.amdhsa_exception_fp_ieee_inexact 0
		.amdhsa_exception_int_div_zero 0
	.end_amdhsa_kernel
	.section	.text._ZN2at4cuda17kernelHistogram1DIdslLi1ELi2ELin1ELNS0_23CUDAHistogramMemoryTypeE1EZNS0_21CUDA_tensor_histogramIdsLb1EEEbNS_6TensorES4_S4_lNS_14AccumulateTypeIT0_Lb1EE4typeES8_NS0_13TensorArgTypeES9_S9_EUllE_EEvNS0_6detail10TensorInfoIT_T1_EESF_NSC_IKS6_SE_EElS8_S8_SE_T6_,"axG",@progbits,_ZN2at4cuda17kernelHistogram1DIdslLi1ELi2ELin1ELNS0_23CUDAHistogramMemoryTypeE1EZNS0_21CUDA_tensor_histogramIdsLb1EEEbNS_6TensorES4_S4_lNS_14AccumulateTypeIT0_Lb1EE4typeES8_NS0_13TensorArgTypeES9_S9_EUllE_EEvNS0_6detail10TensorInfoIT_T1_EESF_NSC_IKS6_SE_EElS8_S8_SE_T6_,comdat
.Lfunc_end57:
	.size	_ZN2at4cuda17kernelHistogram1DIdslLi1ELi2ELin1ELNS0_23CUDAHistogramMemoryTypeE1EZNS0_21CUDA_tensor_histogramIdsLb1EEEbNS_6TensorES4_S4_lNS_14AccumulateTypeIT0_Lb1EE4typeES8_NS0_13TensorArgTypeES9_S9_EUllE_EEvNS0_6detail10TensorInfoIT_T1_EESF_NSC_IKS6_SE_EElS8_S8_SE_T6_, .Lfunc_end57-_ZN2at4cuda17kernelHistogram1DIdslLi1ELi2ELin1ELNS0_23CUDAHistogramMemoryTypeE1EZNS0_21CUDA_tensor_histogramIdsLb1EEEbNS_6TensorES4_S4_lNS_14AccumulateTypeIT0_Lb1EE4typeES8_NS0_13TensorArgTypeES9_S9_EUllE_EEvNS0_6detail10TensorInfoIT_T1_EESF_NSC_IKS6_SE_EElS8_S8_SE_T6_
                                        ; -- End function
	.set _ZN2at4cuda17kernelHistogram1DIdslLi1ELi2ELin1ELNS0_23CUDAHistogramMemoryTypeE1EZNS0_21CUDA_tensor_histogramIdsLb1EEEbNS_6TensorES4_S4_lNS_14AccumulateTypeIT0_Lb1EE4typeES8_NS0_13TensorArgTypeES9_S9_EUllE_EEvNS0_6detail10TensorInfoIT_T1_EESF_NSC_IKS6_SE_EElS8_S8_SE_T6_.num_vgpr, 18
	.set _ZN2at4cuda17kernelHistogram1DIdslLi1ELi2ELin1ELNS0_23CUDAHistogramMemoryTypeE1EZNS0_21CUDA_tensor_histogramIdsLb1EEEbNS_6TensorES4_S4_lNS_14AccumulateTypeIT0_Lb1EE4typeES8_NS0_13TensorArgTypeES9_S9_EUllE_EEvNS0_6detail10TensorInfoIT_T1_EESF_NSC_IKS6_SE_EElS8_S8_SE_T6_.num_agpr, 0
	.set _ZN2at4cuda17kernelHistogram1DIdslLi1ELi2ELin1ELNS0_23CUDAHistogramMemoryTypeE1EZNS0_21CUDA_tensor_histogramIdsLb1EEEbNS_6TensorES4_S4_lNS_14AccumulateTypeIT0_Lb1EE4typeES8_NS0_13TensorArgTypeES9_S9_EUllE_EEvNS0_6detail10TensorInfoIT_T1_EESF_NSC_IKS6_SE_EElS8_S8_SE_T6_.numbered_sgpr, 51
	.set _ZN2at4cuda17kernelHistogram1DIdslLi1ELi2ELin1ELNS0_23CUDAHistogramMemoryTypeE1EZNS0_21CUDA_tensor_histogramIdsLb1EEEbNS_6TensorES4_S4_lNS_14AccumulateTypeIT0_Lb1EE4typeES8_NS0_13TensorArgTypeES9_S9_EUllE_EEvNS0_6detail10TensorInfoIT_T1_EESF_NSC_IKS6_SE_EElS8_S8_SE_T6_.num_named_barrier, 0
	.set _ZN2at4cuda17kernelHistogram1DIdslLi1ELi2ELin1ELNS0_23CUDAHistogramMemoryTypeE1EZNS0_21CUDA_tensor_histogramIdsLb1EEEbNS_6TensorES4_S4_lNS_14AccumulateTypeIT0_Lb1EE4typeES8_NS0_13TensorArgTypeES9_S9_EUllE_EEvNS0_6detail10TensorInfoIT_T1_EESF_NSC_IKS6_SE_EElS8_S8_SE_T6_.private_seg_size, 0
	.set _ZN2at4cuda17kernelHistogram1DIdslLi1ELi2ELin1ELNS0_23CUDAHistogramMemoryTypeE1EZNS0_21CUDA_tensor_histogramIdsLb1EEEbNS_6TensorES4_S4_lNS_14AccumulateTypeIT0_Lb1EE4typeES8_NS0_13TensorArgTypeES9_S9_EUllE_EEvNS0_6detail10TensorInfoIT_T1_EESF_NSC_IKS6_SE_EElS8_S8_SE_T6_.uses_vcc, 1
	.set _ZN2at4cuda17kernelHistogram1DIdslLi1ELi2ELin1ELNS0_23CUDAHistogramMemoryTypeE1EZNS0_21CUDA_tensor_histogramIdsLb1EEEbNS_6TensorES4_S4_lNS_14AccumulateTypeIT0_Lb1EE4typeES8_NS0_13TensorArgTypeES9_S9_EUllE_EEvNS0_6detail10TensorInfoIT_T1_EESF_NSC_IKS6_SE_EElS8_S8_SE_T6_.uses_flat_scratch, 0
	.set _ZN2at4cuda17kernelHistogram1DIdslLi1ELi2ELin1ELNS0_23CUDAHistogramMemoryTypeE1EZNS0_21CUDA_tensor_histogramIdsLb1EEEbNS_6TensorES4_S4_lNS_14AccumulateTypeIT0_Lb1EE4typeES8_NS0_13TensorArgTypeES9_S9_EUllE_EEvNS0_6detail10TensorInfoIT_T1_EESF_NSC_IKS6_SE_EElS8_S8_SE_T6_.has_dyn_sized_stack, 0
	.set _ZN2at4cuda17kernelHistogram1DIdslLi1ELi2ELin1ELNS0_23CUDAHistogramMemoryTypeE1EZNS0_21CUDA_tensor_histogramIdsLb1EEEbNS_6TensorES4_S4_lNS_14AccumulateTypeIT0_Lb1EE4typeES8_NS0_13TensorArgTypeES9_S9_EUllE_EEvNS0_6detail10TensorInfoIT_T1_EESF_NSC_IKS6_SE_EElS8_S8_SE_T6_.has_recursion, 0
	.set _ZN2at4cuda17kernelHistogram1DIdslLi1ELi2ELin1ELNS0_23CUDAHistogramMemoryTypeE1EZNS0_21CUDA_tensor_histogramIdsLb1EEEbNS_6TensorES4_S4_lNS_14AccumulateTypeIT0_Lb1EE4typeES8_NS0_13TensorArgTypeES9_S9_EUllE_EEvNS0_6detail10TensorInfoIT_T1_EESF_NSC_IKS6_SE_EElS8_S8_SE_T6_.has_indirect_call, 0
	.section	.AMDGPU.csdata,"",@progbits
; Kernel info:
; codeLenInByte = 2212
; TotalNumSgprs: 55
; NumVgprs: 18
; ScratchSize: 0
; MemoryBound: 0
; FloatMode: 240
; IeeeMode: 1
; LDSByteSize: 0 bytes/workgroup (compile time only)
; SGPRBlocks: 6
; VGPRBlocks: 4
; NumSGPRsForWavesPerEU: 55
; NumVGPRsForWavesPerEU: 18
; Occupancy: 10
; WaveLimiterHint : 1
; COMPUTE_PGM_RSRC2:SCRATCH_EN: 0
; COMPUTE_PGM_RSRC2:USER_SGPR: 6
; COMPUTE_PGM_RSRC2:TRAP_HANDLER: 0
; COMPUTE_PGM_RSRC2:TGID_X_EN: 1
; COMPUTE_PGM_RSRC2:TGID_Y_EN: 0
; COMPUTE_PGM_RSRC2:TGID_Z_EN: 0
; COMPUTE_PGM_RSRC2:TIDIG_COMP_CNT: 0
	.section	.text._ZN2at4cuda17kernelHistogram1DIdslLi1ELi2ELin1ELNS0_23CUDAHistogramMemoryTypeE0EZNS0_21CUDA_tensor_histogramIdsLb1EEEbNS_6TensorES4_S4_lNS_14AccumulateTypeIT0_Lb1EE4typeES8_NS0_13TensorArgTypeES9_S9_EUllE0_EEvNS0_6detail10TensorInfoIT_T1_EESF_NSC_IKS6_SE_EElS8_S8_SE_T6_,"axG",@progbits,_ZN2at4cuda17kernelHistogram1DIdslLi1ELi2ELin1ELNS0_23CUDAHistogramMemoryTypeE0EZNS0_21CUDA_tensor_histogramIdsLb1EEEbNS_6TensorES4_S4_lNS_14AccumulateTypeIT0_Lb1EE4typeES8_NS0_13TensorArgTypeES9_S9_EUllE0_EEvNS0_6detail10TensorInfoIT_T1_EESF_NSC_IKS6_SE_EElS8_S8_SE_T6_,comdat
	.protected	_ZN2at4cuda17kernelHistogram1DIdslLi1ELi2ELin1ELNS0_23CUDAHistogramMemoryTypeE0EZNS0_21CUDA_tensor_histogramIdsLb1EEEbNS_6TensorES4_S4_lNS_14AccumulateTypeIT0_Lb1EE4typeES8_NS0_13TensorArgTypeES9_S9_EUllE0_EEvNS0_6detail10TensorInfoIT_T1_EESF_NSC_IKS6_SE_EElS8_S8_SE_T6_ ; -- Begin function _ZN2at4cuda17kernelHistogram1DIdslLi1ELi2ELin1ELNS0_23CUDAHistogramMemoryTypeE0EZNS0_21CUDA_tensor_histogramIdsLb1EEEbNS_6TensorES4_S4_lNS_14AccumulateTypeIT0_Lb1EE4typeES8_NS0_13TensorArgTypeES9_S9_EUllE0_EEvNS0_6detail10TensorInfoIT_T1_EESF_NSC_IKS6_SE_EElS8_S8_SE_T6_
	.globl	_ZN2at4cuda17kernelHistogram1DIdslLi1ELi2ELin1ELNS0_23CUDAHistogramMemoryTypeE0EZNS0_21CUDA_tensor_histogramIdsLb1EEEbNS_6TensorES4_S4_lNS_14AccumulateTypeIT0_Lb1EE4typeES8_NS0_13TensorArgTypeES9_S9_EUllE0_EEvNS0_6detail10TensorInfoIT_T1_EESF_NSC_IKS6_SE_EElS8_S8_SE_T6_
	.p2align	8
	.type	_ZN2at4cuda17kernelHistogram1DIdslLi1ELi2ELin1ELNS0_23CUDAHistogramMemoryTypeE0EZNS0_21CUDA_tensor_histogramIdsLb1EEEbNS_6TensorES4_S4_lNS_14AccumulateTypeIT0_Lb1EE4typeES8_NS0_13TensorArgTypeES9_S9_EUllE0_EEvNS0_6detail10TensorInfoIT_T1_EESF_NSC_IKS6_SE_EElS8_S8_SE_T6_,@function
_ZN2at4cuda17kernelHistogram1DIdslLi1ELi2ELin1ELNS0_23CUDAHistogramMemoryTypeE0EZNS0_21CUDA_tensor_histogramIdsLb1EEEbNS_6TensorES4_S4_lNS_14AccumulateTypeIT0_Lb1EE4typeES8_NS0_13TensorArgTypeES9_S9_EUllE0_EEvNS0_6detail10TensorInfoIT_T1_EESF_NSC_IKS6_SE_EElS8_S8_SE_T6_: ; @_ZN2at4cuda17kernelHistogram1DIdslLi1ELi2ELin1ELNS0_23CUDAHistogramMemoryTypeE0EZNS0_21CUDA_tensor_histogramIdsLb1EEEbNS_6TensorES4_S4_lNS_14AccumulateTypeIT0_Lb1EE4typeES8_NS0_13TensorArgTypeES9_S9_EUllE0_EEvNS0_6detail10TensorInfoIT_T1_EESF_NSC_IKS6_SE_EElS8_S8_SE_T6_
; %bb.0:
	s_load_dwordx4 s[16:19], s[4:5], 0x0
	v_mov_b32_e32 v1, 0
	s_add_u32 s2, s4, 0x508
	s_addc_u32 s3, s5, 0
                                        ; implicit-def: $sgpr10
                                        ; implicit-def: $sgpr7
	s_waitcnt lgkmcnt(0)
	v_cmp_gt_i64_e64 s[0:1], s[18:19], v[0:1]
	v_cmp_le_i64_e32 vcc, s[18:19], v[0:1]
	s_and_saveexec_b64 s[8:9], vcc
	s_xor_b64 s[8:9], exec, s[8:9]
	s_cbranch_execz .LBB58_2
; %bb.1:
	s_load_dword s10, s[2:3], 0xc
	s_waitcnt lgkmcnt(0)
	s_and_b32 s7, s10, 0xffff
.LBB58_2:
	s_or_saveexec_b64 s[8:9], s[8:9]
	s_load_dwordx2 s[20:21], s[4:5], 0xd0
	v_mov_b32_e32 v12, s10
	v_mov_b32_e32 v5, s7
	s_xor_b64 exec, exec, s[8:9]
	s_cbranch_execz .LBB58_6
; %bb.3:
	s_load_dword s7, s[2:3], 0xc
	v_mov_b32_e32 v2, 0
	v_mov_b32_e32 v5, v1
	v_lshl_add_u32 v6, v0, 3, 0
	s_mov_b64 s[10:11], 0
	s_waitcnt lgkmcnt(0)
	s_and_b32 s12, s7, 0xffff
	v_mov_b32_e32 v3, v2
	s_lshl_b32 s13, s12, 3
	v_mov_b32_e32 v4, v0
.LBB58_4:                               ; =>This Inner Loop Header: Depth=1
	v_add_co_u32_e32 v4, vcc, s12, v4
	v_addc_co_u32_e32 v5, vcc, 0, v5, vcc
	v_cmp_le_i64_e32 vcc, s[18:19], v[4:5]
	ds_write_b64 v6, v[2:3]
	s_or_b64 s[10:11], vcc, s[10:11]
	v_add_u32_e32 v6, s13, v6
	s_andn2_b64 exec, exec, s[10:11]
	s_cbranch_execnz .LBB58_4
; %bb.5:
	s_or_b64 exec, exec, s[10:11]
	v_mov_b32_e32 v12, s7
	v_mov_b32_e32 v5, s12
.LBB58_6:
	s_or_b64 exec, exec, s[8:9]
	s_load_dwordx8 s[8:15], s[4:5], 0x4e0
	v_mad_u64_u32 v[2:3], s[6:7], s6, v5, v[0:1]
	v_mov_b32_e32 v4, 0
	v_mov_b32_e32 v3, v4
	s_waitcnt lgkmcnt(0)
	v_cmp_gt_i64_e32 vcc, s[14:15], v[2:3]
	s_barrier
	s_and_saveexec_b64 s[6:7], vcc
	s_cbranch_execz .LBB58_23
; %bb.7:
	s_load_dword s26, s[4:5], 0x4d8
	s_load_dwordx2 s[24:25], s[4:5], 0x340
	s_add_u32 s27, s4, 0x340
	s_addc_u32 s29, s5, 0
	s_load_dword s28, s[2:3], 0x0
	s_load_dwordx2 s[22:23], s[4:5], 0x410
	s_waitcnt lgkmcnt(0)
	s_cmp_gt_i32 s26, 1
	s_cselect_b64 s[2:3], -1, 0
	s_sub_u32 s33, s12, s10
	s_subb_u32 s42, s13, s11
	s_mov_b32 s5, 0
	s_add_i32 s4, s26, -1
	s_add_i32 s43, s26, 1
	s_lshl_b64 s[4:5], s[4:5], 3
	v_mul_lo_u32 v13, s28, v5
	s_add_u32 s4, s27, s4
	s_addc_u32 s5, s29, s5
	s_add_u32 s26, s4, 8
	v_cndmask_b32_e64 v5, 0, 1, s[2:3]
	s_addc_u32 s27, s5, 0
	s_mov_b64 s[28:29], 0
	v_cmp_ne_u32_e64 s[2:3], 1, v5
	s_branch .LBB58_9
.LBB58_8:                               ;   in Loop: Header=BB58_9 Depth=1
	s_or_b64 exec, exec, s[30:31]
	v_add_co_u32_e32 v2, vcc, v2, v13
	v_addc_co_u32_e32 v3, vcc, 0, v3, vcc
	v_cmp_le_i64_e32 vcc, s[14:15], v[2:3]
	s_or_b64 s[28:29], vcc, s[28:29]
	s_andn2_b64 exec, exec, s[28:29]
	s_cbranch_execz .LBB58_23
.LBB58_9:                               ; =>This Loop Header: Depth=1
                                        ;     Child Loop BB58_10 Depth 2
                                        ;     Child Loop BB58_22 Depth 2
	v_mov_b32_e32 v6, 0
	v_mov_b32_e32 v9, v3
	;; [unrolled: 1-line block ×4, first 2 shown]
	s_and_b64 vcc, exec, s[2:3]
	s_mov_b64 s[30:31], s[26:27]
	s_mov_b32 s44, s43
	v_mov_b32_e32 v8, v2
	v_mov_b32_e32 v10, v2
	s_cbranch_vccnz .LBB58_16
.LBB58_10:                              ;   Parent Loop BB58_9 Depth=1
                                        ; =>  This Inner Loop Header: Depth=2
	s_load_dwordx2 s[34:35], s[30:31], 0x0
                                        ; implicit-def: $vgpr10_vgpr11
	s_waitcnt lgkmcnt(0)
	v_or_b32_e32 v5, s35, v9
	v_cmp_ne_u64_e32 vcc, 0, v[4:5]
	s_and_saveexec_b64 s[4:5], vcc
	s_xor_b64 s[36:37], exec, s[4:5]
	s_cbranch_execz .LBB58_12
; %bb.11:                               ;   in Loop: Header=BB58_10 Depth=2
	s_ashr_i32 s38, s35, 31
	s_add_u32 s4, s34, s38
	s_mov_b32 s39, s38
	s_addc_u32 s5, s35, s38
	s_xor_b64 s[40:41], s[4:5], s[38:39]
	v_cvt_f32_u32_e32 v5, s40
	v_cvt_f32_u32_e32 v10, s41
	s_sub_u32 s39, 0, s40
	s_subb_u32 s45, 0, s41
	v_mac_f32_e32 v5, 0x4f800000, v10
	v_rcp_f32_e32 v5, v5
	v_mul_f32_e32 v5, 0x5f7ffffc, v5
	v_mul_f32_e32 v10, 0x2f800000, v5
	v_trunc_f32_e32 v10, v10
	v_mac_f32_e32 v5, 0xcf800000, v10
	v_cvt_u32_f32_e32 v10, v10
	v_cvt_u32_f32_e32 v5, v5
	v_readfirstlane_b32 s46, v10
	v_readfirstlane_b32 s4, v5
	s_mul_i32 s5, s39, s46
	s_mul_hi_u32 s48, s39, s4
	s_mul_i32 s47, s45, s4
	s_add_i32 s5, s48, s5
	s_add_i32 s5, s5, s47
	s_mul_i32 s49, s39, s4
	s_mul_i32 s48, s4, s5
	s_mul_hi_u32 s50, s4, s49
	s_mul_hi_u32 s47, s4, s5
	s_add_u32 s48, s50, s48
	s_addc_u32 s47, 0, s47
	s_mul_hi_u32 s51, s46, s49
	s_mul_i32 s49, s46, s49
	s_add_u32 s48, s48, s49
	s_mul_hi_u32 s50, s46, s5
	s_addc_u32 s47, s47, s51
	s_addc_u32 s48, s50, 0
	s_mul_i32 s5, s46, s5
	s_add_u32 s5, s47, s5
	s_addc_u32 s47, 0, s48
	s_add_u32 s48, s4, s5
	s_cselect_b64 s[4:5], -1, 0
	s_cmp_lg_u64 s[4:5], 0
	s_addc_u32 s46, s46, s47
	s_mul_i32 s4, s39, s46
	s_mul_hi_u32 s5, s39, s48
	s_add_i32 s4, s5, s4
	s_mul_i32 s45, s45, s48
	s_add_i32 s4, s4, s45
	s_mul_i32 s39, s39, s48
	s_mul_hi_u32 s45, s46, s39
	s_mul_i32 s47, s46, s39
	s_mul_i32 s50, s48, s4
	s_mul_hi_u32 s39, s48, s39
	s_mul_hi_u32 s49, s48, s4
	s_add_u32 s39, s39, s50
	s_addc_u32 s49, 0, s49
	s_add_u32 s39, s39, s47
	s_mul_hi_u32 s5, s46, s4
	s_addc_u32 s39, s49, s45
	s_addc_u32 s5, s5, 0
	s_mul_i32 s4, s46, s4
	s_add_u32 s4, s39, s4
	s_addc_u32 s39, 0, s5
	s_add_u32 s45, s48, s4
	s_cselect_b64 s[4:5], -1, 0
	v_ashrrev_i32_e32 v5, 31, v9
	s_cmp_lg_u64 s[4:5], 0
	v_add_co_u32_e32 v10, vcc, v8, v5
	s_addc_u32 s39, s46, s39
	v_xor_b32_e32 v16, v10, v5
	v_mad_u64_u32 v[10:11], s[4:5], v16, s39, 0
	v_mul_hi_u32 v15, v16, s45
	v_addc_co_u32_e32 v14, vcc, v9, v5, vcc
	v_xor_b32_e32 v17, v14, v5
	v_add_co_u32_e32 v18, vcc, v15, v10
	v_addc_co_u32_e32 v19, vcc, 0, v11, vcc
	v_mad_u64_u32 v[10:11], s[4:5], v17, s45, 0
	v_mad_u64_u32 v[14:15], s[4:5], v17, s39, 0
	v_add_co_u32_e32 v10, vcc, v18, v10
	v_addc_co_u32_e32 v10, vcc, v19, v11, vcc
	v_addc_co_u32_e32 v11, vcc, 0, v15, vcc
	v_add_co_u32_e32 v14, vcc, v10, v14
	v_addc_co_u32_e32 v15, vcc, 0, v11, vcc
	v_mul_lo_u32 v18, s41, v14
	v_mul_lo_u32 v19, s40, v15
	v_mad_u64_u32 v[10:11], s[4:5], s40, v14, 0
	v_xor_b32_e32 v5, s38, v5
	v_add3_u32 v11, v11, v19, v18
	v_sub_u32_e32 v18, v17, v11
	v_mov_b32_e32 v19, s41
	v_sub_co_u32_e32 v10, vcc, v16, v10
	v_subb_co_u32_e64 v16, s[4:5], v18, v19, vcc
	v_subrev_co_u32_e64 v18, s[4:5], s40, v10
	v_subbrev_co_u32_e64 v16, s[4:5], 0, v16, s[4:5]
	v_cmp_le_u32_e64 s[4:5], s41, v16
	v_cndmask_b32_e64 v19, 0, -1, s[4:5]
	v_cmp_le_u32_e64 s[4:5], s40, v18
	v_cndmask_b32_e64 v18, 0, -1, s[4:5]
	v_cmp_eq_u32_e64 s[4:5], s41, v16
	v_cndmask_b32_e64 v16, v19, v18, s[4:5]
	v_add_co_u32_e64 v18, s[4:5], 2, v14
	v_subb_co_u32_e32 v11, vcc, v17, v11, vcc
	v_addc_co_u32_e64 v19, s[4:5], 0, v15, s[4:5]
	v_cmp_le_u32_e32 vcc, s41, v11
	v_add_co_u32_e64 v20, s[4:5], 1, v14
	v_cndmask_b32_e64 v17, 0, -1, vcc
	v_cmp_le_u32_e32 vcc, s40, v10
	v_addc_co_u32_e64 v21, s[4:5], 0, v15, s[4:5]
	v_cndmask_b32_e64 v10, 0, -1, vcc
	v_cmp_eq_u32_e32 vcc, s41, v11
	v_cmp_ne_u32_e64 s[4:5], 0, v16
	v_cndmask_b32_e32 v10, v17, v10, vcc
	v_cndmask_b32_e64 v16, v21, v19, s[4:5]
	v_cmp_ne_u32_e32 vcc, 0, v10
	v_cndmask_b32_e64 v11, v20, v18, s[4:5]
	v_cndmask_b32_e32 v10, v15, v16, vcc
	v_cndmask_b32_e32 v11, v14, v11, vcc
	v_xor_b32_e32 v14, v10, v5
	v_xor_b32_e32 v10, v11, v5
	v_sub_co_u32_e32 v10, vcc, v10, v5
	v_subb_co_u32_e32 v11, vcc, v14, v5, vcc
.LBB58_12:                              ;   in Loop: Header=BB58_10 Depth=2
	s_andn2_saveexec_b64 s[4:5], s[36:37]
	s_cbranch_execz .LBB58_14
; %bb.13:                               ;   in Loop: Header=BB58_10 Depth=2
	v_cvt_f32_u32_e32 v5, s34
	s_sub_i32 s36, 0, s34
	v_rcp_iflag_f32_e32 v5, v5
	v_mul_f32_e32 v5, 0x4f7ffffe, v5
	v_cvt_u32_f32_e32 v5, v5
	v_mul_lo_u32 v10, s36, v5
	v_mul_hi_u32 v10, v5, v10
	v_add_u32_e32 v5, v5, v10
	v_mul_hi_u32 v5, v8, v5
	v_mul_lo_u32 v10, v5, s34
	v_add_u32_e32 v11, 1, v5
	v_sub_u32_e32 v10, v8, v10
	v_subrev_u32_e32 v14, s34, v10
	v_cmp_le_u32_e32 vcc, s34, v10
	v_cndmask_b32_e32 v10, v10, v14, vcc
	v_cndmask_b32_e32 v5, v5, v11, vcc
	v_add_u32_e32 v11, 1, v5
	v_cmp_le_u32_e32 vcc, s34, v10
	v_cndmask_b32_e32 v10, v5, v11, vcc
	v_mov_b32_e32 v11, v4
.LBB58_14:                              ;   in Loop: Header=BB58_10 Depth=2
	s_or_b64 exec, exec, s[4:5]
	v_mul_lo_u32 v5, v11, s34
	v_mul_lo_u32 v16, v10, s35
	v_mad_u64_u32 v[14:15], s[4:5], v10, s34, 0
	s_load_dwordx2 s[4:5], s[30:31], 0xc8
	s_add_i32 s44, s44, -1
	v_add3_u32 v5, v15, v16, v5
	v_sub_co_u32_e32 v8, vcc, v8, v14
	v_subb_co_u32_e32 v5, vcc, v9, v5, vcc
	s_waitcnt lgkmcnt(0)
	v_mul_lo_u32 v5, s4, v5
	v_mul_lo_u32 v9, s5, v8
	v_mad_u64_u32 v[6:7], s[4:5], s4, v8, v[6:7]
	s_add_u32 s30, s30, -8
	s_addc_u32 s31, s31, -1
	s_cmp_gt_u32 s44, 2
	v_add3_u32 v7, v9, v7, v5
	s_cbranch_scc0 .LBB58_16
; %bb.15:                               ;   in Loop: Header=BB58_10 Depth=2
	v_mov_b32_e32 v8, v10
	v_mov_b32_e32 v9, v11
	s_branch .LBB58_10
.LBB58_16:                              ;   in Loop: Header=BB58_9 Depth=1
	v_mul_lo_u32 v5, s23, v10
	v_mul_lo_u32 v11, s22, v11
	v_mad_u64_u32 v[8:9], s[4:5], s22, v10, 0
	v_add3_u32 v9, v9, v11, v5
	v_lshlrev_b64 v[8:9], 1, v[8:9]
	v_mov_b32_e32 v5, s25
	v_add_co_u32_e32 v8, vcc, s24, v8
	v_addc_co_u32_e32 v9, vcc, v5, v9, vcc
	v_lshlrev_b64 v[5:6], 1, v[6:7]
	v_add_co_u32_e32 v5, vcc, v8, v5
	v_addc_co_u32_e32 v6, vcc, v9, v6, vcc
	global_load_ushort v5, v[5:6], off
	s_waitcnt vmcnt(0)
	v_bfe_i32 v5, v5, 0, 16
	v_ashrrev_i32_e32 v6, 31, v5
	v_cmp_le_i64_e32 vcc, s[10:11], v[5:6]
	v_cmp_ge_i64_e64 s[4:5], s[12:13], v[5:6]
	s_and_b64 s[4:5], vcc, s[4:5]
	s_and_saveexec_b64 s[30:31], s[4:5]
	s_cbranch_execz .LBB58_8
; %bb.17:                               ;   in Loop: Header=BB58_9 Depth=1
	v_mov_b32_e32 v7, s11
	v_subrev_co_u32_e32 v5, vcc, s10, v5
	v_subb_co_u32_e32 v6, vcc, v6, v7, vcc
	v_mul_lo_u32 v8, v6, s8
	v_mul_lo_u32 v9, v5, s9
	v_mad_u64_u32 v[6:7], s[4:5], v5, s8, 0
	v_add3_u32 v7, v7, v9, v8
	v_or_b32_e32 v5, s42, v7
	v_cmp_ne_u64_e32 vcc, 0, v[4:5]
                                        ; implicit-def: $vgpr8_vgpr9
	s_and_saveexec_b64 s[4:5], vcc
	s_xor_b64 s[34:35], exec, s[4:5]
	s_cbranch_execz .LBB58_19
; %bb.18:                               ;   in Loop: Header=BB58_9 Depth=1
	s_ashr_i32 s36, s42, 31
	s_add_u32 s4, s33, s36
	s_mov_b32 s37, s36
	s_addc_u32 s5, s42, s36
	s_xor_b64 s[38:39], s[4:5], s[36:37]
	v_cvt_f32_u32_e32 v5, s38
	v_cvt_f32_u32_e32 v8, s39
	s_sub_u32 s37, 0, s38
	s_subb_u32 s40, 0, s39
	v_ashrrev_i32_e32 v9, 31, v7
	v_mac_f32_e32 v5, 0x4f800000, v8
	v_rcp_f32_e32 v5, v5
	v_mul_f32_e32 v5, 0x5f7ffffc, v5
	v_mul_f32_e32 v8, 0x2f800000, v5
	v_trunc_f32_e32 v8, v8
	v_mac_f32_e32 v5, 0xcf800000, v8
	v_cvt_u32_f32_e32 v8, v8
	v_cvt_u32_f32_e32 v5, v5
	v_readfirstlane_b32 s41, v8
	v_readfirstlane_b32 s4, v5
	s_mul_i32 s5, s37, s41
	s_mul_hi_u32 s45, s37, s4
	s_mul_i32 s44, s40, s4
	s_add_i32 s5, s45, s5
	s_add_i32 s5, s5, s44
	s_mul_i32 s46, s37, s4
	s_mul_i32 s45, s4, s5
	s_mul_hi_u32 s47, s4, s46
	s_mul_hi_u32 s44, s4, s5
	s_add_u32 s45, s47, s45
	s_addc_u32 s44, 0, s44
	s_mul_hi_u32 s48, s41, s46
	s_mul_i32 s46, s41, s46
	s_add_u32 s45, s45, s46
	s_mul_hi_u32 s47, s41, s5
	s_addc_u32 s44, s44, s48
	s_addc_u32 s45, s47, 0
	s_mul_i32 s5, s41, s5
	s_add_u32 s5, s44, s5
	s_addc_u32 s44, 0, s45
	s_add_u32 s45, s4, s5
	s_cselect_b64 s[4:5], -1, 0
	s_cmp_lg_u64 s[4:5], 0
	s_addc_u32 s41, s41, s44
	s_mul_i32 s4, s37, s41
	s_mul_hi_u32 s5, s37, s45
	s_add_i32 s4, s5, s4
	s_mul_i32 s40, s40, s45
	s_add_i32 s4, s4, s40
	s_mul_i32 s37, s37, s45
	s_mul_hi_u32 s40, s41, s37
	s_mul_i32 s44, s41, s37
	s_mul_i32 s47, s45, s4
	s_mul_hi_u32 s37, s45, s37
	s_mul_hi_u32 s46, s45, s4
	s_add_u32 s37, s37, s47
	s_addc_u32 s46, 0, s46
	s_add_u32 s37, s37, s44
	s_mul_hi_u32 s5, s41, s4
	s_addc_u32 s37, s46, s40
	s_addc_u32 s5, s5, 0
	s_mul_i32 s4, s41, s4
	s_add_u32 s4, s37, s4
	s_addc_u32 s37, 0, s5
	s_add_u32 s40, s45, s4
	s_cselect_b64 s[4:5], -1, 0
	s_cmp_lg_u64 s[4:5], 0
	v_add_co_u32_e32 v5, vcc, v6, v9
	s_addc_u32 s37, s41, s37
	v_xor_b32_e32 v10, v5, v9
	v_mad_u64_u32 v[5:6], s[4:5], v10, s37, 0
	v_mul_hi_u32 v8, v10, s40
	v_addc_co_u32_e32 v7, vcc, v7, v9, vcc
	v_xor_b32_e32 v11, v7, v9
	v_add_co_u32_e32 v14, vcc, v8, v5
	v_addc_co_u32_e32 v15, vcc, 0, v6, vcc
	v_mad_u64_u32 v[5:6], s[4:5], v11, s40, 0
	v_mad_u64_u32 v[7:8], s[4:5], v11, s37, 0
	v_add_co_u32_e32 v5, vcc, v14, v5
	v_addc_co_u32_e32 v5, vcc, v15, v6, vcc
	v_addc_co_u32_e32 v6, vcc, 0, v8, vcc
	v_add_co_u32_e32 v7, vcc, v5, v7
	v_addc_co_u32_e32 v5, vcc, 0, v6, vcc
	v_mul_lo_u32 v8, s39, v7
	v_mul_lo_u32 v14, s38, v5
	v_mad_u64_u32 v[5:6], s[4:5], s38, v7, 0
	v_add3_u32 v6, v6, v14, v8
	v_sub_u32_e32 v8, v11, v6
	v_mov_b32_e32 v14, s39
	v_sub_co_u32_e32 v5, vcc, v10, v5
	v_subb_co_u32_e64 v8, s[4:5], v8, v14, vcc
	v_subrev_co_u32_e64 v10, s[4:5], s38, v5
	v_subbrev_co_u32_e64 v8, s[4:5], 0, v8, s[4:5]
	v_cmp_le_u32_e64 s[4:5], s39, v8
	v_subb_co_u32_e32 v6, vcc, v11, v6, vcc
	v_cndmask_b32_e64 v14, 0, -1, s[4:5]
	v_cmp_le_u32_e64 s[4:5], s38, v10
	v_cmp_le_u32_e32 vcc, s39, v6
	v_cndmask_b32_e64 v10, 0, -1, s[4:5]
	v_cmp_eq_u32_e64 s[4:5], s39, v8
	v_cndmask_b32_e64 v11, 0, -1, vcc
	v_cmp_le_u32_e32 vcc, s38, v5
	v_cndmask_b32_e64 v8, v14, v10, s[4:5]
	v_cndmask_b32_e64 v5, 0, -1, vcc
	v_cmp_eq_u32_e32 vcc, s39, v6
	v_add_co_u32_e64 v10, s[4:5], 2, v7
	v_add_co_u32_e64 v14, s[4:5], 1, v7
	v_cndmask_b32_e32 v5, v11, v5, vcc
	v_cmp_ne_u32_e32 vcc, 0, v8
	v_cndmask_b32_e32 v6, v14, v10, vcc
	v_cmp_ne_u32_e32 vcc, 0, v5
	v_cndmask_b32_e32 v5, v7, v6, vcc
	v_xor_b32_e32 v6, s36, v9
	v_xor_b32_e32 v5, v5, v6
	v_sub_co_u32_e32 v8, vcc, v5, v6
                                        ; implicit-def: $vgpr6_vgpr7
.LBB58_19:                              ;   in Loop: Header=BB58_9 Depth=1
	s_andn2_saveexec_b64 s[4:5], s[34:35]
	s_cbranch_execz .LBB58_21
; %bb.20:                               ;   in Loop: Header=BB58_9 Depth=1
	v_cvt_f32_u32_e32 v5, s33
	s_sub_i32 s34, 0, s33
	v_rcp_iflag_f32_e32 v5, v5
	v_mul_f32_e32 v5, 0x4f7ffffe, v5
	v_cvt_u32_f32_e32 v5, v5
	v_mul_lo_u32 v7, s34, v5
	v_mul_hi_u32 v7, v5, v7
	v_add_u32_e32 v5, v5, v7
	v_mul_hi_u32 v5, v6, v5
	v_mul_lo_u32 v7, v5, s33
	v_add_u32_e32 v8, 1, v5
	v_sub_u32_e32 v6, v6, v7
	v_subrev_u32_e32 v7, s33, v6
	v_cmp_le_u32_e32 vcc, s33, v6
	v_cndmask_b32_e32 v6, v6, v7, vcc
	v_cndmask_b32_e32 v5, v5, v8, vcc
	v_add_u32_e32 v7, 1, v5
	v_cmp_le_u32_e32 vcc, s33, v6
	v_cndmask_b32_e32 v8, v5, v7, vcc
.LBB58_21:                              ;   in Loop: Header=BB58_9 Depth=1
	s_or_b64 exec, exec, s[4:5]
	v_ashrrev_i32_e32 v9, 31, v8
	v_cmp_eq_u64_e32 vcc, s[8:9], v[8:9]
	s_mov_b64 s[4:5], 0
	v_subbrev_co_u32_e32 v5, vcc, 0, v8, vcc
	v_lshl_add_u32 v7, v5, 3, 0
	ds_read_b64 v[5:6], v7
.LBB58_22:                              ;   Parent Loop BB58_9 Depth=1
                                        ; =>  This Inner Loop Header: Depth=2
	s_waitcnt lgkmcnt(0)
	v_add_f64 v[8:9], v[5:6], 1.0
	ds_cmpst_rtn_b64 v[8:9], v7, v[5:6], v[8:9]
	s_waitcnt lgkmcnt(0)
	v_cmp_eq_u64_e32 vcc, v[8:9], v[5:6]
	v_mov_b32_e32 v5, v8
	s_or_b64 s[4:5], vcc, s[4:5]
	v_mov_b32_e32 v6, v9
	s_andn2_b64 exec, exec, s[4:5]
	s_cbranch_execnz .LBB58_22
	s_branch .LBB58_8
.LBB58_23:
	s_or_b64 exec, exec, s[6:7]
; %bb.24:
	s_barrier
	s_and_saveexec_b64 s[2:3], s[0:1]
	s_cbranch_execz .LBB58_29
; %bb.25:
	v_and_b32_e32 v10, 0xffff, v12
	s_mov_b64 s[0:1], 0
	v_mov_b32_e32 v11, s17
.LBB58_26:                              ; =>This Loop Header: Depth=1
                                        ;     Child Loop BB58_27 Depth 2
	v_mul_lo_u32 v4, v1, s20
	v_mul_lo_u32 v5, v0, s21
	v_mad_u64_u32 v[2:3], s[2:3], v0, s20, 0
	s_mov_b64 s[2:3], 0
	v_add3_u32 v3, v3, v5, v4
	v_lshlrev_b64 v[2:3], 3, v[2:3]
	v_add_co_u32_e32 v6, vcc, s16, v2
	v_addc_co_u32_e32 v7, vcc, v11, v3, vcc
	global_load_dwordx2 v[4:5], v[6:7], off
	v_lshl_add_u32 v2, v0, 3, 0
	ds_read_b64 v[8:9], v2
.LBB58_27:                              ;   Parent Loop BB58_26 Depth=1
                                        ; =>  This Inner Loop Header: Depth=2
	s_waitcnt vmcnt(0) lgkmcnt(0)
	v_add_f64 v[2:3], v[4:5], v[8:9]
	global_atomic_cmpswap_x2 v[2:3], v[6:7], v[2:5], off glc
	s_waitcnt vmcnt(0)
	v_cmp_eq_u64_e32 vcc, v[2:3], v[4:5]
	v_mov_b32_e32 v5, v3
	s_or_b64 s[2:3], vcc, s[2:3]
	v_mov_b32_e32 v4, v2
	s_andn2_b64 exec, exec, s[2:3]
	s_cbranch_execnz .LBB58_27
; %bb.28:                               ;   in Loop: Header=BB58_26 Depth=1
	s_or_b64 exec, exec, s[2:3]
	v_add_co_u32_e32 v0, vcc, v0, v10
	v_addc_co_u32_e32 v1, vcc, 0, v1, vcc
	v_cmp_le_i64_e32 vcc, s[18:19], v[0:1]
	s_or_b64 s[0:1], vcc, s[0:1]
	s_andn2_b64 exec, exec, s[0:1]
	s_cbranch_execnz .LBB58_26
.LBB58_29:
	s_endpgm
	.section	.rodata,"a",@progbits
	.p2align	6, 0x0
	.amdhsa_kernel _ZN2at4cuda17kernelHistogram1DIdslLi1ELi2ELin1ELNS0_23CUDAHistogramMemoryTypeE0EZNS0_21CUDA_tensor_histogramIdsLb1EEEbNS_6TensorES4_S4_lNS_14AccumulateTypeIT0_Lb1EE4typeES8_NS0_13TensorArgTypeES9_S9_EUllE0_EEvNS0_6detail10TensorInfoIT_T1_EESF_NSC_IKS6_SE_EElS8_S8_SE_T6_
		.amdhsa_group_segment_fixed_size 0
		.amdhsa_private_segment_fixed_size 0
		.amdhsa_kernarg_size 1544
		.amdhsa_user_sgpr_count 6
		.amdhsa_user_sgpr_private_segment_buffer 1
		.amdhsa_user_sgpr_dispatch_ptr 0
		.amdhsa_user_sgpr_queue_ptr 0
		.amdhsa_user_sgpr_kernarg_segment_ptr 1
		.amdhsa_user_sgpr_dispatch_id 0
		.amdhsa_user_sgpr_flat_scratch_init 0
		.amdhsa_user_sgpr_private_segment_size 0
		.amdhsa_uses_dynamic_stack 0
		.amdhsa_system_sgpr_private_segment_wavefront_offset 0
		.amdhsa_system_sgpr_workgroup_id_x 1
		.amdhsa_system_sgpr_workgroup_id_y 0
		.amdhsa_system_sgpr_workgroup_id_z 0
		.amdhsa_system_sgpr_workgroup_info 0
		.amdhsa_system_vgpr_workitem_id 0
		.amdhsa_next_free_vgpr 22
		.amdhsa_next_free_sgpr 52
		.amdhsa_reserve_vcc 1
		.amdhsa_reserve_flat_scratch 0
		.amdhsa_float_round_mode_32 0
		.amdhsa_float_round_mode_16_64 0
		.amdhsa_float_denorm_mode_32 3
		.amdhsa_float_denorm_mode_16_64 3
		.amdhsa_dx10_clamp 1
		.amdhsa_ieee_mode 1
		.amdhsa_fp16_overflow 0
		.amdhsa_exception_fp_ieee_invalid_op 0
		.amdhsa_exception_fp_denorm_src 0
		.amdhsa_exception_fp_ieee_div_zero 0
		.amdhsa_exception_fp_ieee_overflow 0
		.amdhsa_exception_fp_ieee_underflow 0
		.amdhsa_exception_fp_ieee_inexact 0
		.amdhsa_exception_int_div_zero 0
	.end_amdhsa_kernel
	.section	.text._ZN2at4cuda17kernelHistogram1DIdslLi1ELi2ELin1ELNS0_23CUDAHistogramMemoryTypeE0EZNS0_21CUDA_tensor_histogramIdsLb1EEEbNS_6TensorES4_S4_lNS_14AccumulateTypeIT0_Lb1EE4typeES8_NS0_13TensorArgTypeES9_S9_EUllE0_EEvNS0_6detail10TensorInfoIT_T1_EESF_NSC_IKS6_SE_EElS8_S8_SE_T6_,"axG",@progbits,_ZN2at4cuda17kernelHistogram1DIdslLi1ELi2ELin1ELNS0_23CUDAHistogramMemoryTypeE0EZNS0_21CUDA_tensor_histogramIdsLb1EEEbNS_6TensorES4_S4_lNS_14AccumulateTypeIT0_Lb1EE4typeES8_NS0_13TensorArgTypeES9_S9_EUllE0_EEvNS0_6detail10TensorInfoIT_T1_EESF_NSC_IKS6_SE_EElS8_S8_SE_T6_,comdat
.Lfunc_end58:
	.size	_ZN2at4cuda17kernelHistogram1DIdslLi1ELi2ELin1ELNS0_23CUDAHistogramMemoryTypeE0EZNS0_21CUDA_tensor_histogramIdsLb1EEEbNS_6TensorES4_S4_lNS_14AccumulateTypeIT0_Lb1EE4typeES8_NS0_13TensorArgTypeES9_S9_EUllE0_EEvNS0_6detail10TensorInfoIT_T1_EESF_NSC_IKS6_SE_EElS8_S8_SE_T6_, .Lfunc_end58-_ZN2at4cuda17kernelHistogram1DIdslLi1ELi2ELin1ELNS0_23CUDAHistogramMemoryTypeE0EZNS0_21CUDA_tensor_histogramIdsLb1EEEbNS_6TensorES4_S4_lNS_14AccumulateTypeIT0_Lb1EE4typeES8_NS0_13TensorArgTypeES9_S9_EUllE0_EEvNS0_6detail10TensorInfoIT_T1_EESF_NSC_IKS6_SE_EElS8_S8_SE_T6_
                                        ; -- End function
	.set _ZN2at4cuda17kernelHistogram1DIdslLi1ELi2ELin1ELNS0_23CUDAHistogramMemoryTypeE0EZNS0_21CUDA_tensor_histogramIdsLb1EEEbNS_6TensorES4_S4_lNS_14AccumulateTypeIT0_Lb1EE4typeES8_NS0_13TensorArgTypeES9_S9_EUllE0_EEvNS0_6detail10TensorInfoIT_T1_EESF_NSC_IKS6_SE_EElS8_S8_SE_T6_.num_vgpr, 22
	.set _ZN2at4cuda17kernelHistogram1DIdslLi1ELi2ELin1ELNS0_23CUDAHistogramMemoryTypeE0EZNS0_21CUDA_tensor_histogramIdsLb1EEEbNS_6TensorES4_S4_lNS_14AccumulateTypeIT0_Lb1EE4typeES8_NS0_13TensorArgTypeES9_S9_EUllE0_EEvNS0_6detail10TensorInfoIT_T1_EESF_NSC_IKS6_SE_EElS8_S8_SE_T6_.num_agpr, 0
	.set _ZN2at4cuda17kernelHistogram1DIdslLi1ELi2ELin1ELNS0_23CUDAHistogramMemoryTypeE0EZNS0_21CUDA_tensor_histogramIdsLb1EEEbNS_6TensorES4_S4_lNS_14AccumulateTypeIT0_Lb1EE4typeES8_NS0_13TensorArgTypeES9_S9_EUllE0_EEvNS0_6detail10TensorInfoIT_T1_EESF_NSC_IKS6_SE_EElS8_S8_SE_T6_.numbered_sgpr, 52
	.set _ZN2at4cuda17kernelHistogram1DIdslLi1ELi2ELin1ELNS0_23CUDAHistogramMemoryTypeE0EZNS0_21CUDA_tensor_histogramIdsLb1EEEbNS_6TensorES4_S4_lNS_14AccumulateTypeIT0_Lb1EE4typeES8_NS0_13TensorArgTypeES9_S9_EUllE0_EEvNS0_6detail10TensorInfoIT_T1_EESF_NSC_IKS6_SE_EElS8_S8_SE_T6_.num_named_barrier, 0
	.set _ZN2at4cuda17kernelHistogram1DIdslLi1ELi2ELin1ELNS0_23CUDAHistogramMemoryTypeE0EZNS0_21CUDA_tensor_histogramIdsLb1EEEbNS_6TensorES4_S4_lNS_14AccumulateTypeIT0_Lb1EE4typeES8_NS0_13TensorArgTypeES9_S9_EUllE0_EEvNS0_6detail10TensorInfoIT_T1_EESF_NSC_IKS6_SE_EElS8_S8_SE_T6_.private_seg_size, 0
	.set _ZN2at4cuda17kernelHistogram1DIdslLi1ELi2ELin1ELNS0_23CUDAHistogramMemoryTypeE0EZNS0_21CUDA_tensor_histogramIdsLb1EEEbNS_6TensorES4_S4_lNS_14AccumulateTypeIT0_Lb1EE4typeES8_NS0_13TensorArgTypeES9_S9_EUllE0_EEvNS0_6detail10TensorInfoIT_T1_EESF_NSC_IKS6_SE_EElS8_S8_SE_T6_.uses_vcc, 1
	.set _ZN2at4cuda17kernelHistogram1DIdslLi1ELi2ELin1ELNS0_23CUDAHistogramMemoryTypeE0EZNS0_21CUDA_tensor_histogramIdsLb1EEEbNS_6TensorES4_S4_lNS_14AccumulateTypeIT0_Lb1EE4typeES8_NS0_13TensorArgTypeES9_S9_EUllE0_EEvNS0_6detail10TensorInfoIT_T1_EESF_NSC_IKS6_SE_EElS8_S8_SE_T6_.uses_flat_scratch, 0
	.set _ZN2at4cuda17kernelHistogram1DIdslLi1ELi2ELin1ELNS0_23CUDAHistogramMemoryTypeE0EZNS0_21CUDA_tensor_histogramIdsLb1EEEbNS_6TensorES4_S4_lNS_14AccumulateTypeIT0_Lb1EE4typeES8_NS0_13TensorArgTypeES9_S9_EUllE0_EEvNS0_6detail10TensorInfoIT_T1_EESF_NSC_IKS6_SE_EElS8_S8_SE_T6_.has_dyn_sized_stack, 0
	.set _ZN2at4cuda17kernelHistogram1DIdslLi1ELi2ELin1ELNS0_23CUDAHistogramMemoryTypeE0EZNS0_21CUDA_tensor_histogramIdsLb1EEEbNS_6TensorES4_S4_lNS_14AccumulateTypeIT0_Lb1EE4typeES8_NS0_13TensorArgTypeES9_S9_EUllE0_EEvNS0_6detail10TensorInfoIT_T1_EESF_NSC_IKS6_SE_EElS8_S8_SE_T6_.has_recursion, 0
	.set _ZN2at4cuda17kernelHistogram1DIdslLi1ELi2ELin1ELNS0_23CUDAHistogramMemoryTypeE0EZNS0_21CUDA_tensor_histogramIdsLb1EEEbNS_6TensorES4_S4_lNS_14AccumulateTypeIT0_Lb1EE4typeES8_NS0_13TensorArgTypeES9_S9_EUllE0_EEvNS0_6detail10TensorInfoIT_T1_EESF_NSC_IKS6_SE_EElS8_S8_SE_T6_.has_indirect_call, 0
	.section	.AMDGPU.csdata,"",@progbits
; Kernel info:
; codeLenInByte = 2428
; TotalNumSgprs: 56
; NumVgprs: 22
; ScratchSize: 0
; MemoryBound: 0
; FloatMode: 240
; IeeeMode: 1
; LDSByteSize: 0 bytes/workgroup (compile time only)
; SGPRBlocks: 6
; VGPRBlocks: 5
; NumSGPRsForWavesPerEU: 56
; NumVGPRsForWavesPerEU: 22
; Occupancy: 10
; WaveLimiterHint : 1
; COMPUTE_PGM_RSRC2:SCRATCH_EN: 0
; COMPUTE_PGM_RSRC2:USER_SGPR: 6
; COMPUTE_PGM_RSRC2:TRAP_HANDLER: 0
; COMPUTE_PGM_RSRC2:TGID_X_EN: 1
; COMPUTE_PGM_RSRC2:TGID_Y_EN: 0
; COMPUTE_PGM_RSRC2:TGID_Z_EN: 0
; COMPUTE_PGM_RSRC2:TIDIG_COMP_CNT: 0
	.section	.text._ZN2at4cuda17kernelHistogram1DIdslLi1ELi2ELin1ELNS0_23CUDAHistogramMemoryTypeE1EZNS0_21CUDA_tensor_histogramIdsLb1EEEbNS_6TensorES4_S4_lNS_14AccumulateTypeIT0_Lb1EE4typeES8_NS0_13TensorArgTypeES9_S9_EUllE0_EEvNS0_6detail10TensorInfoIT_T1_EESF_NSC_IKS6_SE_EElS8_S8_SE_T6_,"axG",@progbits,_ZN2at4cuda17kernelHistogram1DIdslLi1ELi2ELin1ELNS0_23CUDAHistogramMemoryTypeE1EZNS0_21CUDA_tensor_histogramIdsLb1EEEbNS_6TensorES4_S4_lNS_14AccumulateTypeIT0_Lb1EE4typeES8_NS0_13TensorArgTypeES9_S9_EUllE0_EEvNS0_6detail10TensorInfoIT_T1_EESF_NSC_IKS6_SE_EElS8_S8_SE_T6_,comdat
	.protected	_ZN2at4cuda17kernelHistogram1DIdslLi1ELi2ELin1ELNS0_23CUDAHistogramMemoryTypeE1EZNS0_21CUDA_tensor_histogramIdsLb1EEEbNS_6TensorES4_S4_lNS_14AccumulateTypeIT0_Lb1EE4typeES8_NS0_13TensorArgTypeES9_S9_EUllE0_EEvNS0_6detail10TensorInfoIT_T1_EESF_NSC_IKS6_SE_EElS8_S8_SE_T6_ ; -- Begin function _ZN2at4cuda17kernelHistogram1DIdslLi1ELi2ELin1ELNS0_23CUDAHistogramMemoryTypeE1EZNS0_21CUDA_tensor_histogramIdsLb1EEEbNS_6TensorES4_S4_lNS_14AccumulateTypeIT0_Lb1EE4typeES8_NS0_13TensorArgTypeES9_S9_EUllE0_EEvNS0_6detail10TensorInfoIT_T1_EESF_NSC_IKS6_SE_EElS8_S8_SE_T6_
	.globl	_ZN2at4cuda17kernelHistogram1DIdslLi1ELi2ELin1ELNS0_23CUDAHistogramMemoryTypeE1EZNS0_21CUDA_tensor_histogramIdsLb1EEEbNS_6TensorES4_S4_lNS_14AccumulateTypeIT0_Lb1EE4typeES8_NS0_13TensorArgTypeES9_S9_EUllE0_EEvNS0_6detail10TensorInfoIT_T1_EESF_NSC_IKS6_SE_EElS8_S8_SE_T6_
	.p2align	8
	.type	_ZN2at4cuda17kernelHistogram1DIdslLi1ELi2ELin1ELNS0_23CUDAHistogramMemoryTypeE1EZNS0_21CUDA_tensor_histogramIdsLb1EEEbNS_6TensorES4_S4_lNS_14AccumulateTypeIT0_Lb1EE4typeES8_NS0_13TensorArgTypeES9_S9_EUllE0_EEvNS0_6detail10TensorInfoIT_T1_EESF_NSC_IKS6_SE_EElS8_S8_SE_T6_,@function
_ZN2at4cuda17kernelHistogram1DIdslLi1ELi2ELin1ELNS0_23CUDAHistogramMemoryTypeE1EZNS0_21CUDA_tensor_histogramIdsLb1EEEbNS_6TensorES4_S4_lNS_14AccumulateTypeIT0_Lb1EE4typeES8_NS0_13TensorArgTypeES9_S9_EUllE0_EEvNS0_6detail10TensorInfoIT_T1_EESF_NSC_IKS6_SE_EElS8_S8_SE_T6_: ; @_ZN2at4cuda17kernelHistogram1DIdslLi1ELi2ELin1ELNS0_23CUDAHistogramMemoryTypeE1EZNS0_21CUDA_tensor_histogramIdsLb1EEEbNS_6TensorES4_S4_lNS_14AccumulateTypeIT0_Lb1EE4typeES8_NS0_13TensorArgTypeES9_S9_EUllE0_EEvNS0_6detail10TensorInfoIT_T1_EESF_NSC_IKS6_SE_EElS8_S8_SE_T6_
; %bb.0:
	s_load_dword s2, s[4:5], 0x514
	s_load_dwordx8 s[8:15], s[4:5], 0x4e0
	s_add_u32 s0, s4, 0x508
	s_addc_u32 s1, s5, 0
	v_mov_b32_e32 v6, 0
	s_waitcnt lgkmcnt(0)
	s_and_b32 s2, s2, 0xffff
	s_mul_i32 s6, s6, s2
	v_add_u32_e32 v4, s6, v0
	v_mov_b32_e32 v5, v6
	v_cmp_gt_i64_e32 vcc, s[14:15], v[4:5]
	s_and_saveexec_b64 s[6:7], vcc
	s_cbranch_execz .LBB59_17
; %bb.1:
	s_load_dword s22, s[4:5], 0x4d8
	s_load_dword s3, s[0:1], 0x0
	s_add_u32 s23, s4, 0x340
	s_addc_u32 s24, s5, 0
	s_load_dwordx2 s[6:7], s[4:5], 0x0
	s_load_dwordx2 s[16:17], s[4:5], 0xd0
	;; [unrolled: 1-line block ×4, first 2 shown]
	s_waitcnt lgkmcnt(0)
	s_cmp_gt_i32 s22, 1
	s_cselect_b64 s[0:1], -1, 0
	s_sub_u32 s33, s12, s10
	s_subb_u32 s36, s13, s11
	s_mul_i32 s37, s3, s2
	s_mov_b32 s3, 0
	s_add_i32 s2, s22, -1
	s_add_i32 s38, s22, 1
	s_lshl_b64 s[2:3], s[2:3], 3
	s_add_u32 s2, s23, s2
	s_addc_u32 s3, s24, s3
	s_add_u32 s4, s2, 8
	v_cndmask_b32_e64 v0, 0, 1, s[0:1]
	s_addc_u32 s5, s3, 0
	s_mov_b64 s[22:23], 0
	v_cmp_ne_u32_e64 s[0:1], 1, v0
	s_branch .LBB59_3
.LBB59_2:                               ;   in Loop: Header=BB59_3 Depth=1
	s_or_b64 exec, exec, s[24:25]
	v_add_co_u32_e32 v4, vcc, s37, v4
	v_addc_co_u32_e32 v5, vcc, 0, v5, vcc
	v_cmp_le_i64_e32 vcc, s[14:15], v[4:5]
	s_or_b64 s[22:23], vcc, s[22:23]
	s_andn2_b64 exec, exec, s[22:23]
	s_cbranch_execz .LBB59_17
.LBB59_3:                               ; =>This Loop Header: Depth=1
                                        ;     Child Loop BB59_4 Depth 2
                                        ;     Child Loop BB59_16 Depth 2
	v_mov_b32_e32 v0, 0
	v_mov_b32_e32 v2, v4
	;; [unrolled: 1-line block ×4, first 2 shown]
	s_and_b64 vcc, exec, s[0:1]
	s_mov_b64 s[24:25], s[4:5]
	s_mov_b32 s39, s38
	v_mov_b32_e32 v3, v5
	v_mov_b32_e32 v7, v4
	s_cbranch_vccnz .LBB59_10
.LBB59_4:                               ;   Parent Loop BB59_3 Depth=1
                                        ; =>  This Inner Loop Header: Depth=2
	s_load_dwordx2 s[26:27], s[24:25], 0x0
	s_waitcnt lgkmcnt(0)
	v_or_b32_e32 v7, s27, v3
	v_cmp_ne_u64_e32 vcc, 0, v[6:7]
                                        ; implicit-def: $vgpr7_vgpr8
	s_and_saveexec_b64 s[2:3], vcc
	s_xor_b64 s[28:29], exec, s[2:3]
	s_cbranch_execz .LBB59_6
; %bb.5:                                ;   in Loop: Header=BB59_4 Depth=2
	s_ashr_i32 s30, s27, 31
	s_add_u32 s2, s26, s30
	s_mov_b32 s31, s30
	s_addc_u32 s3, s27, s30
	s_xor_b64 s[34:35], s[2:3], s[30:31]
	v_cvt_f32_u32_e32 v7, s34
	v_cvt_f32_u32_e32 v8, s35
	s_sub_u32 s31, 0, s34
	s_subb_u32 s40, 0, s35
	v_ashrrev_i32_e32 v11, 31, v3
	v_mac_f32_e32 v7, 0x4f800000, v8
	v_rcp_f32_e32 v7, v7
	v_mul_f32_e32 v7, 0x5f7ffffc, v7
	v_mul_f32_e32 v8, 0x2f800000, v7
	v_trunc_f32_e32 v8, v8
	v_mac_f32_e32 v7, 0xcf800000, v8
	v_cvt_u32_f32_e32 v8, v8
	v_cvt_u32_f32_e32 v7, v7
	v_readfirstlane_b32 s41, v8
	v_readfirstlane_b32 s2, v7
	s_mul_i32 s3, s31, s41
	s_mul_hi_u32 s43, s31, s2
	s_mul_i32 s42, s40, s2
	s_add_i32 s3, s43, s3
	s_add_i32 s3, s3, s42
	s_mul_i32 s44, s31, s2
	s_mul_i32 s43, s2, s3
	s_mul_hi_u32 s45, s2, s44
	s_mul_hi_u32 s42, s2, s3
	s_add_u32 s43, s45, s43
	s_addc_u32 s42, 0, s42
	s_mul_hi_u32 s46, s41, s44
	s_mul_i32 s44, s41, s44
	s_add_u32 s43, s43, s44
	s_mul_hi_u32 s45, s41, s3
	s_addc_u32 s42, s42, s46
	s_addc_u32 s43, s45, 0
	s_mul_i32 s3, s41, s3
	s_add_u32 s3, s42, s3
	s_addc_u32 s42, 0, s43
	s_add_u32 s43, s2, s3
	s_cselect_b64 s[2:3], -1, 0
	s_cmp_lg_u64 s[2:3], 0
	s_addc_u32 s41, s41, s42
	s_mul_i32 s2, s31, s41
	s_mul_hi_u32 s3, s31, s43
	s_add_i32 s2, s3, s2
	s_mul_i32 s40, s40, s43
	s_add_i32 s2, s2, s40
	s_mul_i32 s31, s31, s43
	s_mul_hi_u32 s40, s41, s31
	s_mul_i32 s42, s41, s31
	s_mul_i32 s45, s43, s2
	s_mul_hi_u32 s31, s43, s31
	s_mul_hi_u32 s44, s43, s2
	s_add_u32 s31, s31, s45
	s_addc_u32 s44, 0, s44
	s_add_u32 s31, s31, s42
	s_mul_hi_u32 s3, s41, s2
	s_addc_u32 s31, s44, s40
	s_addc_u32 s3, s3, 0
	s_mul_i32 s2, s41, s2
	s_add_u32 s2, s31, s2
	s_addc_u32 s31, 0, s3
	s_add_u32 s40, s43, s2
	s_cselect_b64 s[2:3], -1, 0
	s_cmp_lg_u64 s[2:3], 0
	v_add_co_u32_e32 v7, vcc, v2, v11
	s_addc_u32 s31, s41, s31
	v_xor_b32_e32 v12, v7, v11
	v_mad_u64_u32 v[7:8], s[2:3], v12, s31, 0
	v_mul_hi_u32 v10, v12, s40
	v_addc_co_u32_e32 v9, vcc, v3, v11, vcc
	v_xor_b32_e32 v13, v9, v11
	v_add_co_u32_e32 v14, vcc, v10, v7
	v_addc_co_u32_e32 v15, vcc, 0, v8, vcc
	v_mad_u64_u32 v[7:8], s[2:3], v13, s40, 0
	v_mad_u64_u32 v[9:10], s[2:3], v13, s31, 0
	v_add_co_u32_e32 v7, vcc, v14, v7
	v_addc_co_u32_e32 v7, vcc, v15, v8, vcc
	v_addc_co_u32_e32 v8, vcc, 0, v10, vcc
	v_add_co_u32_e32 v9, vcc, v7, v9
	v_addc_co_u32_e32 v10, vcc, 0, v8, vcc
	v_mul_lo_u32 v14, s35, v9
	v_mul_lo_u32 v15, s34, v10
	v_mad_u64_u32 v[7:8], s[2:3], s34, v9, 0
	v_add3_u32 v8, v8, v15, v14
	v_sub_u32_e32 v14, v13, v8
	v_mov_b32_e32 v15, s35
	v_sub_co_u32_e32 v7, vcc, v12, v7
	v_subb_co_u32_e64 v12, s[2:3], v14, v15, vcc
	v_subrev_co_u32_e64 v14, s[2:3], s34, v7
	v_subbrev_co_u32_e64 v12, s[2:3], 0, v12, s[2:3]
	v_cmp_le_u32_e64 s[2:3], s35, v12
	v_cndmask_b32_e64 v15, 0, -1, s[2:3]
	v_cmp_le_u32_e64 s[2:3], s34, v14
	v_cndmask_b32_e64 v14, 0, -1, s[2:3]
	v_cmp_eq_u32_e64 s[2:3], s35, v12
	v_cndmask_b32_e64 v12, v15, v14, s[2:3]
	v_add_co_u32_e64 v14, s[2:3], 2, v9
	v_subb_co_u32_e32 v8, vcc, v13, v8, vcc
	v_addc_co_u32_e64 v15, s[2:3], 0, v10, s[2:3]
	v_cmp_le_u32_e32 vcc, s35, v8
	v_add_co_u32_e64 v16, s[2:3], 1, v9
	v_cndmask_b32_e64 v13, 0, -1, vcc
	v_cmp_le_u32_e32 vcc, s34, v7
	v_addc_co_u32_e64 v17, s[2:3], 0, v10, s[2:3]
	v_cndmask_b32_e64 v7, 0, -1, vcc
	v_cmp_eq_u32_e32 vcc, s35, v8
	v_cmp_ne_u32_e64 s[2:3], 0, v12
	v_cndmask_b32_e32 v7, v13, v7, vcc
	v_cndmask_b32_e64 v12, v17, v15, s[2:3]
	v_cmp_ne_u32_e32 vcc, 0, v7
	v_cndmask_b32_e64 v8, v16, v14, s[2:3]
	v_cndmask_b32_e32 v7, v10, v12, vcc
	v_cndmask_b32_e32 v8, v9, v8, vcc
	v_xor_b32_e32 v9, s30, v11
	v_xor_b32_e32 v10, v7, v9
	;; [unrolled: 1-line block ×3, first 2 shown]
	v_sub_co_u32_e32 v7, vcc, v7, v9
	v_subb_co_u32_e32 v8, vcc, v10, v9, vcc
.LBB59_6:                               ;   in Loop: Header=BB59_4 Depth=2
	s_andn2_saveexec_b64 s[2:3], s[28:29]
	s_cbranch_execz .LBB59_8
; %bb.7:                                ;   in Loop: Header=BB59_4 Depth=2
	v_cvt_f32_u32_e32 v7, s26
	s_sub_i32 s28, 0, s26
	v_rcp_iflag_f32_e32 v7, v7
	v_mul_f32_e32 v7, 0x4f7ffffe, v7
	v_cvt_u32_f32_e32 v7, v7
	v_mul_lo_u32 v8, s28, v7
	v_mul_hi_u32 v8, v7, v8
	v_add_u32_e32 v7, v7, v8
	v_mul_hi_u32 v7, v2, v7
	v_mul_lo_u32 v8, v7, s26
	v_add_u32_e32 v9, 1, v7
	v_sub_u32_e32 v8, v2, v8
	v_subrev_u32_e32 v10, s26, v8
	v_cmp_le_u32_e32 vcc, s26, v8
	v_cndmask_b32_e32 v8, v8, v10, vcc
	v_cndmask_b32_e32 v7, v7, v9, vcc
	v_add_u32_e32 v9, 1, v7
	v_cmp_le_u32_e32 vcc, s26, v8
	v_cndmask_b32_e32 v7, v7, v9, vcc
	v_mov_b32_e32 v8, v6
.LBB59_8:                               ;   in Loop: Header=BB59_4 Depth=2
	s_or_b64 exec, exec, s[2:3]
	v_mul_lo_u32 v11, v8, s26
	v_mul_lo_u32 v12, v7, s27
	v_mad_u64_u32 v[9:10], s[2:3], v7, s26, 0
	s_load_dwordx2 s[2:3], s[24:25], 0xc8
	s_add_i32 s39, s39, -1
	v_add3_u32 v10, v10, v12, v11
	v_sub_co_u32_e32 v2, vcc, v2, v9
	v_subb_co_u32_e32 v3, vcc, v3, v10, vcc
	s_waitcnt lgkmcnt(0)
	v_mul_lo_u32 v3, s2, v3
	v_mul_lo_u32 v9, s3, v2
	v_mad_u64_u32 v[0:1], s[2:3], s2, v2, v[0:1]
	s_add_u32 s24, s24, -8
	s_addc_u32 s25, s25, -1
	s_cmp_gt_u32 s39, 2
	v_add3_u32 v1, v9, v1, v3
	s_cbranch_scc0 .LBB59_10
; %bb.9:                                ;   in Loop: Header=BB59_4 Depth=2
	v_mov_b32_e32 v2, v7
	v_mov_b32_e32 v3, v8
	s_branch .LBB59_4
.LBB59_10:                              ;   in Loop: Header=BB59_3 Depth=1
	v_mul_lo_u32 v9, s19, v7
	v_mul_lo_u32 v8, s18, v8
	v_mad_u64_u32 v[2:3], s[2:3], s18, v7, 0
	v_mov_b32_e32 v7, s21
	v_lshlrev_b64 v[0:1], 1, v[0:1]
	v_add3_u32 v3, v3, v8, v9
	v_lshlrev_b64 v[2:3], 1, v[2:3]
	v_add_co_u32_e32 v2, vcc, s20, v2
	v_addc_co_u32_e32 v3, vcc, v7, v3, vcc
	v_add_co_u32_e32 v0, vcc, v2, v0
	v_addc_co_u32_e32 v1, vcc, v3, v1, vcc
	global_load_ushort v0, v[0:1], off
	s_waitcnt vmcnt(0)
	v_bfe_i32 v0, v0, 0, 16
	v_ashrrev_i32_e32 v1, 31, v0
	v_cmp_le_i64_e32 vcc, s[10:11], v[0:1]
	v_cmp_ge_i64_e64 s[2:3], s[12:13], v[0:1]
	s_and_b64 s[2:3], vcc, s[2:3]
	s_and_saveexec_b64 s[24:25], s[2:3]
	s_cbranch_execz .LBB59_2
; %bb.11:                               ;   in Loop: Header=BB59_3 Depth=1
	v_mov_b32_e32 v2, s11
	v_subrev_co_u32_e32 v0, vcc, s10, v0
	v_subb_co_u32_e32 v1, vcc, v1, v2, vcc
	v_mul_lo_u32 v2, v1, s8
	v_mul_lo_u32 v3, v0, s9
	v_mad_u64_u32 v[0:1], s[2:3], v0, s8, 0
	v_add3_u32 v1, v1, v3, v2
	v_or_b32_e32 v7, s36, v1
	v_cmp_ne_u64_e32 vcc, 0, v[6:7]
                                        ; implicit-def: $vgpr2_vgpr3
	s_and_saveexec_b64 s[2:3], vcc
	s_xor_b64 s[26:27], exec, s[2:3]
	s_cbranch_execz .LBB59_13
; %bb.12:                               ;   in Loop: Header=BB59_3 Depth=1
	s_ashr_i32 s28, s36, 31
	s_add_u32 s2, s33, s28
	s_mov_b32 s29, s28
	s_addc_u32 s3, s36, s28
	s_xor_b64 s[30:31], s[2:3], s[28:29]
	v_cvt_f32_u32_e32 v2, s30
	v_cvt_f32_u32_e32 v3, s31
	s_sub_u32 s29, 0, s30
	s_subb_u32 s34, 0, s31
	v_ashrrev_i32_e32 v7, 31, v1
	v_mac_f32_e32 v2, 0x4f800000, v3
	v_rcp_f32_e32 v2, v2
	v_add_co_u32_e32 v0, vcc, v0, v7
	v_xor_b32_e32 v8, v0, v7
	v_mul_f32_e32 v2, 0x5f7ffffc, v2
	v_mul_f32_e32 v3, 0x2f800000, v2
	v_trunc_f32_e32 v3, v3
	v_mac_f32_e32 v2, 0xcf800000, v3
	v_cvt_u32_f32_e32 v3, v3
	v_cvt_u32_f32_e32 v2, v2
	v_readfirstlane_b32 s35, v3
	v_readfirstlane_b32 s2, v2
	s_mul_i32 s3, s29, s35
	s_mul_hi_u32 s40, s29, s2
	s_mul_i32 s39, s34, s2
	s_add_i32 s3, s40, s3
	s_add_i32 s3, s3, s39
	s_mul_i32 s41, s29, s2
	s_mul_i32 s40, s2, s3
	s_mul_hi_u32 s42, s2, s41
	s_mul_hi_u32 s39, s2, s3
	s_add_u32 s40, s42, s40
	s_addc_u32 s39, 0, s39
	s_mul_hi_u32 s43, s35, s41
	s_mul_i32 s41, s35, s41
	s_add_u32 s40, s40, s41
	s_mul_hi_u32 s42, s35, s3
	s_addc_u32 s39, s39, s43
	s_addc_u32 s40, s42, 0
	s_mul_i32 s3, s35, s3
	s_add_u32 s3, s39, s3
	s_addc_u32 s39, 0, s40
	s_add_u32 s40, s2, s3
	s_cselect_b64 s[2:3], -1, 0
	s_cmp_lg_u64 s[2:3], 0
	s_addc_u32 s35, s35, s39
	s_mul_i32 s2, s29, s35
	s_mul_hi_u32 s3, s29, s40
	s_add_i32 s2, s3, s2
	s_mul_i32 s34, s34, s40
	s_add_i32 s2, s2, s34
	s_mul_i32 s29, s29, s40
	s_mul_hi_u32 s34, s35, s29
	s_mul_i32 s39, s35, s29
	s_mul_i32 s42, s40, s2
	s_mul_hi_u32 s29, s40, s29
	s_mul_hi_u32 s41, s40, s2
	s_add_u32 s29, s29, s42
	s_addc_u32 s41, 0, s41
	s_add_u32 s29, s29, s39
	s_mul_hi_u32 s3, s35, s2
	s_addc_u32 s29, s41, s34
	s_addc_u32 s3, s3, 0
	s_mul_i32 s2, s35, s2
	s_add_u32 s2, s29, s2
	s_addc_u32 s29, 0, s3
	s_add_u32 s34, s40, s2
	s_cselect_b64 s[2:3], -1, 0
	s_cmp_lg_u64 s[2:3], 0
	s_addc_u32 s29, s35, s29
	v_addc_co_u32_e32 v2, vcc, v1, v7, vcc
	v_mad_u64_u32 v[0:1], s[2:3], v8, s29, 0
	v_mul_hi_u32 v3, v8, s34
	v_xor_b32_e32 v9, v2, v7
	v_add_co_u32_e32 v10, vcc, v3, v0
	v_addc_co_u32_e32 v11, vcc, 0, v1, vcc
	v_mad_u64_u32 v[0:1], s[2:3], v9, s34, 0
	v_mad_u64_u32 v[2:3], s[2:3], v9, s29, 0
	v_add_co_u32_e32 v0, vcc, v10, v0
	v_addc_co_u32_e32 v0, vcc, v11, v1, vcc
	v_addc_co_u32_e32 v1, vcc, 0, v3, vcc
	v_add_co_u32_e32 v2, vcc, v0, v2
	v_addc_co_u32_e32 v0, vcc, 0, v1, vcc
	v_mul_lo_u32 v3, s31, v2
	v_mul_lo_u32 v10, s30, v0
	v_mad_u64_u32 v[0:1], s[2:3], s30, v2, 0
	v_add3_u32 v1, v1, v10, v3
	v_sub_u32_e32 v3, v9, v1
	v_mov_b32_e32 v10, s31
	v_sub_co_u32_e32 v0, vcc, v8, v0
	v_subb_co_u32_e64 v3, s[2:3], v3, v10, vcc
	v_subrev_co_u32_e64 v8, s[2:3], s30, v0
	v_subbrev_co_u32_e64 v3, s[2:3], 0, v3, s[2:3]
	v_cmp_le_u32_e64 s[2:3], s31, v3
	v_subb_co_u32_e32 v1, vcc, v9, v1, vcc
	v_cndmask_b32_e64 v10, 0, -1, s[2:3]
	v_cmp_le_u32_e64 s[2:3], s30, v8
	v_cmp_le_u32_e32 vcc, s31, v1
	v_cndmask_b32_e64 v8, 0, -1, s[2:3]
	v_cmp_eq_u32_e64 s[2:3], s31, v3
	v_cndmask_b32_e64 v9, 0, -1, vcc
	v_cmp_le_u32_e32 vcc, s30, v0
	v_cndmask_b32_e64 v3, v10, v8, s[2:3]
	v_cndmask_b32_e64 v0, 0, -1, vcc
	v_cmp_eq_u32_e32 vcc, s31, v1
	v_add_co_u32_e64 v8, s[2:3], 2, v2
	v_add_co_u32_e64 v10, s[2:3], 1, v2
	v_cndmask_b32_e32 v0, v9, v0, vcc
	v_cmp_ne_u32_e32 vcc, 0, v3
	v_cndmask_b32_e32 v1, v10, v8, vcc
	v_cmp_ne_u32_e32 vcc, 0, v0
	v_cndmask_b32_e32 v0, v2, v1, vcc
	v_xor_b32_e32 v1, s28, v7
	v_xor_b32_e32 v0, v0, v1
	v_sub_co_u32_e32 v2, vcc, v0, v1
                                        ; implicit-def: $vgpr0_vgpr1
.LBB59_13:                              ;   in Loop: Header=BB59_3 Depth=1
	s_andn2_saveexec_b64 s[2:3], s[26:27]
	s_cbranch_execz .LBB59_15
; %bb.14:                               ;   in Loop: Header=BB59_3 Depth=1
	v_cvt_f32_u32_e32 v1, s33
	s_sub_i32 s26, 0, s33
	v_rcp_iflag_f32_e32 v1, v1
	v_mul_f32_e32 v1, 0x4f7ffffe, v1
	v_cvt_u32_f32_e32 v1, v1
	v_mul_lo_u32 v2, s26, v1
	v_mul_hi_u32 v2, v1, v2
	v_add_u32_e32 v1, v1, v2
	v_mul_hi_u32 v1, v0, v1
	v_mul_lo_u32 v2, v1, s33
	v_add_u32_e32 v3, 1, v1
	v_sub_u32_e32 v0, v0, v2
	v_subrev_u32_e32 v2, s33, v0
	v_cmp_le_u32_e32 vcc, s33, v0
	v_cndmask_b32_e32 v0, v0, v2, vcc
	v_cndmask_b32_e32 v1, v1, v3, vcc
	v_add_u32_e32 v2, 1, v1
	v_cmp_le_u32_e32 vcc, s33, v0
	v_cndmask_b32_e32 v2, v1, v2, vcc
.LBB59_15:                              ;   in Loop: Header=BB59_3 Depth=1
	s_or_b64 exec, exec, s[2:3]
	v_ashrrev_i32_e32 v3, 31, v2
	v_cmp_eq_u64_e32 vcc, s[8:9], v[2:3]
	v_cndmask_b32_e64 v0, 0, 1, vcc
	v_sub_co_u32_e32 v0, vcc, v2, v0
	v_subbrev_co_u32_e32 v1, vcc, 0, v3, vcc
	v_mul_lo_u32 v2, v1, s16
	v_mul_lo_u32 v3, v0, s17
	v_mad_u64_u32 v[0:1], s[2:3], v0, s16, 0
	s_mov_b64 s[2:3], 0
	v_add3_u32 v1, v1, v3, v2
	v_lshlrev_b64 v[0:1], 3, v[0:1]
	v_mov_b32_e32 v2, s7
	v_add_co_u32_e32 v7, vcc, s6, v0
	v_addc_co_u32_e32 v8, vcc, v2, v1, vcc
	global_load_dwordx2 v[2:3], v[7:8], off
.LBB59_16:                              ;   Parent Loop BB59_3 Depth=1
                                        ; =>  This Inner Loop Header: Depth=2
	s_waitcnt vmcnt(0)
	v_add_f64 v[0:1], v[2:3], 1.0
	global_atomic_cmpswap_x2 v[0:1], v[7:8], v[0:3], off glc
	s_waitcnt vmcnt(0)
	v_cmp_eq_u64_e32 vcc, v[0:1], v[2:3]
	v_mov_b32_e32 v3, v1
	s_or_b64 s[2:3], vcc, s[2:3]
	v_mov_b32_e32 v2, v0
	s_andn2_b64 exec, exec, s[2:3]
	s_cbranch_execnz .LBB59_16
	s_branch .LBB59_2
.LBB59_17:
	s_endpgm
	.section	.rodata,"a",@progbits
	.p2align	6, 0x0
	.amdhsa_kernel _ZN2at4cuda17kernelHistogram1DIdslLi1ELi2ELin1ELNS0_23CUDAHistogramMemoryTypeE1EZNS0_21CUDA_tensor_histogramIdsLb1EEEbNS_6TensorES4_S4_lNS_14AccumulateTypeIT0_Lb1EE4typeES8_NS0_13TensorArgTypeES9_S9_EUllE0_EEvNS0_6detail10TensorInfoIT_T1_EESF_NSC_IKS6_SE_EElS8_S8_SE_T6_
		.amdhsa_group_segment_fixed_size 0
		.amdhsa_private_segment_fixed_size 0
		.amdhsa_kernarg_size 1544
		.amdhsa_user_sgpr_count 6
		.amdhsa_user_sgpr_private_segment_buffer 1
		.amdhsa_user_sgpr_dispatch_ptr 0
		.amdhsa_user_sgpr_queue_ptr 0
		.amdhsa_user_sgpr_kernarg_segment_ptr 1
		.amdhsa_user_sgpr_dispatch_id 0
		.amdhsa_user_sgpr_flat_scratch_init 0
		.amdhsa_user_sgpr_private_segment_size 0
		.amdhsa_uses_dynamic_stack 0
		.amdhsa_system_sgpr_private_segment_wavefront_offset 0
		.amdhsa_system_sgpr_workgroup_id_x 1
		.amdhsa_system_sgpr_workgroup_id_y 0
		.amdhsa_system_sgpr_workgroup_id_z 0
		.amdhsa_system_sgpr_workgroup_info 0
		.amdhsa_system_vgpr_workitem_id 0
		.amdhsa_next_free_vgpr 18
		.amdhsa_next_free_sgpr 47
		.amdhsa_reserve_vcc 1
		.amdhsa_reserve_flat_scratch 0
		.amdhsa_float_round_mode_32 0
		.amdhsa_float_round_mode_16_64 0
		.amdhsa_float_denorm_mode_32 3
		.amdhsa_float_denorm_mode_16_64 3
		.amdhsa_dx10_clamp 1
		.amdhsa_ieee_mode 1
		.amdhsa_fp16_overflow 0
		.amdhsa_exception_fp_ieee_invalid_op 0
		.amdhsa_exception_fp_denorm_src 0
		.amdhsa_exception_fp_ieee_div_zero 0
		.amdhsa_exception_fp_ieee_overflow 0
		.amdhsa_exception_fp_ieee_underflow 0
		.amdhsa_exception_fp_ieee_inexact 0
		.amdhsa_exception_int_div_zero 0
	.end_amdhsa_kernel
	.section	.text._ZN2at4cuda17kernelHistogram1DIdslLi1ELi2ELin1ELNS0_23CUDAHistogramMemoryTypeE1EZNS0_21CUDA_tensor_histogramIdsLb1EEEbNS_6TensorES4_S4_lNS_14AccumulateTypeIT0_Lb1EE4typeES8_NS0_13TensorArgTypeES9_S9_EUllE0_EEvNS0_6detail10TensorInfoIT_T1_EESF_NSC_IKS6_SE_EElS8_S8_SE_T6_,"axG",@progbits,_ZN2at4cuda17kernelHistogram1DIdslLi1ELi2ELin1ELNS0_23CUDAHistogramMemoryTypeE1EZNS0_21CUDA_tensor_histogramIdsLb1EEEbNS_6TensorES4_S4_lNS_14AccumulateTypeIT0_Lb1EE4typeES8_NS0_13TensorArgTypeES9_S9_EUllE0_EEvNS0_6detail10TensorInfoIT_T1_EESF_NSC_IKS6_SE_EElS8_S8_SE_T6_,comdat
.Lfunc_end59:
	.size	_ZN2at4cuda17kernelHistogram1DIdslLi1ELi2ELin1ELNS0_23CUDAHistogramMemoryTypeE1EZNS0_21CUDA_tensor_histogramIdsLb1EEEbNS_6TensorES4_S4_lNS_14AccumulateTypeIT0_Lb1EE4typeES8_NS0_13TensorArgTypeES9_S9_EUllE0_EEvNS0_6detail10TensorInfoIT_T1_EESF_NSC_IKS6_SE_EElS8_S8_SE_T6_, .Lfunc_end59-_ZN2at4cuda17kernelHistogram1DIdslLi1ELi2ELin1ELNS0_23CUDAHistogramMemoryTypeE1EZNS0_21CUDA_tensor_histogramIdsLb1EEEbNS_6TensorES4_S4_lNS_14AccumulateTypeIT0_Lb1EE4typeES8_NS0_13TensorArgTypeES9_S9_EUllE0_EEvNS0_6detail10TensorInfoIT_T1_EESF_NSC_IKS6_SE_EElS8_S8_SE_T6_
                                        ; -- End function
	.set _ZN2at4cuda17kernelHistogram1DIdslLi1ELi2ELin1ELNS0_23CUDAHistogramMemoryTypeE1EZNS0_21CUDA_tensor_histogramIdsLb1EEEbNS_6TensorES4_S4_lNS_14AccumulateTypeIT0_Lb1EE4typeES8_NS0_13TensorArgTypeES9_S9_EUllE0_EEvNS0_6detail10TensorInfoIT_T1_EESF_NSC_IKS6_SE_EElS8_S8_SE_T6_.num_vgpr, 18
	.set _ZN2at4cuda17kernelHistogram1DIdslLi1ELi2ELin1ELNS0_23CUDAHistogramMemoryTypeE1EZNS0_21CUDA_tensor_histogramIdsLb1EEEbNS_6TensorES4_S4_lNS_14AccumulateTypeIT0_Lb1EE4typeES8_NS0_13TensorArgTypeES9_S9_EUllE0_EEvNS0_6detail10TensorInfoIT_T1_EESF_NSC_IKS6_SE_EElS8_S8_SE_T6_.num_agpr, 0
	.set _ZN2at4cuda17kernelHistogram1DIdslLi1ELi2ELin1ELNS0_23CUDAHistogramMemoryTypeE1EZNS0_21CUDA_tensor_histogramIdsLb1EEEbNS_6TensorES4_S4_lNS_14AccumulateTypeIT0_Lb1EE4typeES8_NS0_13TensorArgTypeES9_S9_EUllE0_EEvNS0_6detail10TensorInfoIT_T1_EESF_NSC_IKS6_SE_EElS8_S8_SE_T6_.numbered_sgpr, 47
	.set _ZN2at4cuda17kernelHistogram1DIdslLi1ELi2ELin1ELNS0_23CUDAHistogramMemoryTypeE1EZNS0_21CUDA_tensor_histogramIdsLb1EEEbNS_6TensorES4_S4_lNS_14AccumulateTypeIT0_Lb1EE4typeES8_NS0_13TensorArgTypeES9_S9_EUllE0_EEvNS0_6detail10TensorInfoIT_T1_EESF_NSC_IKS6_SE_EElS8_S8_SE_T6_.num_named_barrier, 0
	.set _ZN2at4cuda17kernelHistogram1DIdslLi1ELi2ELin1ELNS0_23CUDAHistogramMemoryTypeE1EZNS0_21CUDA_tensor_histogramIdsLb1EEEbNS_6TensorES4_S4_lNS_14AccumulateTypeIT0_Lb1EE4typeES8_NS0_13TensorArgTypeES9_S9_EUllE0_EEvNS0_6detail10TensorInfoIT_T1_EESF_NSC_IKS6_SE_EElS8_S8_SE_T6_.private_seg_size, 0
	.set _ZN2at4cuda17kernelHistogram1DIdslLi1ELi2ELin1ELNS0_23CUDAHistogramMemoryTypeE1EZNS0_21CUDA_tensor_histogramIdsLb1EEEbNS_6TensorES4_S4_lNS_14AccumulateTypeIT0_Lb1EE4typeES8_NS0_13TensorArgTypeES9_S9_EUllE0_EEvNS0_6detail10TensorInfoIT_T1_EESF_NSC_IKS6_SE_EElS8_S8_SE_T6_.uses_vcc, 1
	.set _ZN2at4cuda17kernelHistogram1DIdslLi1ELi2ELin1ELNS0_23CUDAHistogramMemoryTypeE1EZNS0_21CUDA_tensor_histogramIdsLb1EEEbNS_6TensorES4_S4_lNS_14AccumulateTypeIT0_Lb1EE4typeES8_NS0_13TensorArgTypeES9_S9_EUllE0_EEvNS0_6detail10TensorInfoIT_T1_EESF_NSC_IKS6_SE_EElS8_S8_SE_T6_.uses_flat_scratch, 0
	.set _ZN2at4cuda17kernelHistogram1DIdslLi1ELi2ELin1ELNS0_23CUDAHistogramMemoryTypeE1EZNS0_21CUDA_tensor_histogramIdsLb1EEEbNS_6TensorES4_S4_lNS_14AccumulateTypeIT0_Lb1EE4typeES8_NS0_13TensorArgTypeES9_S9_EUllE0_EEvNS0_6detail10TensorInfoIT_T1_EESF_NSC_IKS6_SE_EElS8_S8_SE_T6_.has_dyn_sized_stack, 0
	.set _ZN2at4cuda17kernelHistogram1DIdslLi1ELi2ELin1ELNS0_23CUDAHistogramMemoryTypeE1EZNS0_21CUDA_tensor_histogramIdsLb1EEEbNS_6TensorES4_S4_lNS_14AccumulateTypeIT0_Lb1EE4typeES8_NS0_13TensorArgTypeES9_S9_EUllE0_EEvNS0_6detail10TensorInfoIT_T1_EESF_NSC_IKS6_SE_EElS8_S8_SE_T6_.has_recursion, 0
	.set _ZN2at4cuda17kernelHistogram1DIdslLi1ELi2ELin1ELNS0_23CUDAHistogramMemoryTypeE1EZNS0_21CUDA_tensor_histogramIdsLb1EEEbNS_6TensorES4_S4_lNS_14AccumulateTypeIT0_Lb1EE4typeES8_NS0_13TensorArgTypeES9_S9_EUllE0_EEvNS0_6detail10TensorInfoIT_T1_EESF_NSC_IKS6_SE_EElS8_S8_SE_T6_.has_indirect_call, 0
	.section	.AMDGPU.csdata,"",@progbits
; Kernel info:
; codeLenInByte = 2132
; TotalNumSgprs: 51
; NumVgprs: 18
; ScratchSize: 0
; MemoryBound: 0
; FloatMode: 240
; IeeeMode: 1
; LDSByteSize: 0 bytes/workgroup (compile time only)
; SGPRBlocks: 6
; VGPRBlocks: 4
; NumSGPRsForWavesPerEU: 51
; NumVGPRsForWavesPerEU: 18
; Occupancy: 10
; WaveLimiterHint : 1
; COMPUTE_PGM_RSRC2:SCRATCH_EN: 0
; COMPUTE_PGM_RSRC2:USER_SGPR: 6
; COMPUTE_PGM_RSRC2:TRAP_HANDLER: 0
; COMPUTE_PGM_RSRC2:TGID_X_EN: 1
; COMPUTE_PGM_RSRC2:TGID_Y_EN: 0
; COMPUTE_PGM_RSRC2:TGID_Z_EN: 0
; COMPUTE_PGM_RSRC2:TIDIG_COMP_CNT: 0
	.section	.text._ZN2at4cuda17kernelHistogram1DIhhlLi1ELi2ELin1ELNS0_23CUDAHistogramMemoryTypeE0EZNS0_21CUDA_tensor_histogramIhhLb0EEEbNS_6TensorES4_S4_lNS_14AccumulateTypeIT0_Lb1EE4typeES8_NS0_13TensorArgTypeES9_S9_EUllE_EEvNS0_6detail10TensorInfoIT_T1_EESF_NSC_IKS6_SE_EElS8_S8_SE_T6_,"axG",@progbits,_ZN2at4cuda17kernelHistogram1DIhhlLi1ELi2ELin1ELNS0_23CUDAHistogramMemoryTypeE0EZNS0_21CUDA_tensor_histogramIhhLb0EEEbNS_6TensorES4_S4_lNS_14AccumulateTypeIT0_Lb1EE4typeES8_NS0_13TensorArgTypeES9_S9_EUllE_EEvNS0_6detail10TensorInfoIT_T1_EESF_NSC_IKS6_SE_EElS8_S8_SE_T6_,comdat
	.protected	_ZN2at4cuda17kernelHistogram1DIhhlLi1ELi2ELin1ELNS0_23CUDAHistogramMemoryTypeE0EZNS0_21CUDA_tensor_histogramIhhLb0EEEbNS_6TensorES4_S4_lNS_14AccumulateTypeIT0_Lb1EE4typeES8_NS0_13TensorArgTypeES9_S9_EUllE_EEvNS0_6detail10TensorInfoIT_T1_EESF_NSC_IKS6_SE_EElS8_S8_SE_T6_ ; -- Begin function _ZN2at4cuda17kernelHistogram1DIhhlLi1ELi2ELin1ELNS0_23CUDAHistogramMemoryTypeE0EZNS0_21CUDA_tensor_histogramIhhLb0EEEbNS_6TensorES4_S4_lNS_14AccumulateTypeIT0_Lb1EE4typeES8_NS0_13TensorArgTypeES9_S9_EUllE_EEvNS0_6detail10TensorInfoIT_T1_EESF_NSC_IKS6_SE_EElS8_S8_SE_T6_
	.globl	_ZN2at4cuda17kernelHistogram1DIhhlLi1ELi2ELin1ELNS0_23CUDAHistogramMemoryTypeE0EZNS0_21CUDA_tensor_histogramIhhLb0EEEbNS_6TensorES4_S4_lNS_14AccumulateTypeIT0_Lb1EE4typeES8_NS0_13TensorArgTypeES9_S9_EUllE_EEvNS0_6detail10TensorInfoIT_T1_EESF_NSC_IKS6_SE_EElS8_S8_SE_T6_
	.p2align	8
	.type	_ZN2at4cuda17kernelHistogram1DIhhlLi1ELi2ELin1ELNS0_23CUDAHistogramMemoryTypeE0EZNS0_21CUDA_tensor_histogramIhhLb0EEEbNS_6TensorES4_S4_lNS_14AccumulateTypeIT0_Lb1EE4typeES8_NS0_13TensorArgTypeES9_S9_EUllE_EEvNS0_6detail10TensorInfoIT_T1_EESF_NSC_IKS6_SE_EElS8_S8_SE_T6_,@function
_ZN2at4cuda17kernelHistogram1DIhhlLi1ELi2ELin1ELNS0_23CUDAHistogramMemoryTypeE0EZNS0_21CUDA_tensor_histogramIhhLb0EEEbNS_6TensorES4_S4_lNS_14AccumulateTypeIT0_Lb1EE4typeES8_NS0_13TensorArgTypeES9_S9_EUllE_EEvNS0_6detail10TensorInfoIT_T1_EESF_NSC_IKS6_SE_EElS8_S8_SE_T6_: ; @_ZN2at4cuda17kernelHistogram1DIhhlLi1ELi2ELin1ELNS0_23CUDAHistogramMemoryTypeE0EZNS0_21CUDA_tensor_histogramIhhLb0EEEbNS_6TensorES4_S4_lNS_14AccumulateTypeIT0_Lb1EE4typeES8_NS0_13TensorArgTypeES9_S9_EUllE_EEvNS0_6detail10TensorInfoIT_T1_EESF_NSC_IKS6_SE_EElS8_S8_SE_T6_
; %bb.0:
	s_load_dwordx4 s[16:19], s[4:5], 0x0
	s_load_dwordx2 s[20:21], s[4:5], 0x500
	s_load_dwordx8 s[8:15], s[4:5], 0x4e0
	v_mov_b32_e32 v1, 0
	s_add_u32 s26, s4, 0x6a0
	s_waitcnt lgkmcnt(0)
	v_cmp_gt_i64_e64 s[0:1], s[18:19], v[0:1]
	v_cmp_le_i64_e32 vcc, s[18:19], v[0:1]
	s_addc_u32 s27, s5, 0
                                        ; implicit-def: $sgpr7
	s_and_saveexec_b64 s[2:3], vcc
	s_xor_b64 s[2:3], exec, s[2:3]
; %bb.1:
	s_load_dword s7, s[26:27], 0xc
; %bb.2:
	s_or_saveexec_b64 s[22:23], s[2:3]
	s_waitcnt lgkmcnt(0)
	v_mov_b32_e32 v2, s7
	s_xor_b64 exec, exec, s[22:23]
	s_cbranch_execz .LBB60_12
; %bb.3:
	v_add_u32_e32 v2, 1, v0
	v_mov_b32_e32 v3, 0
	s_load_dword s7, s[26:27], 0xc
	v_cmp_gt_i64_e32 vcc, s[18:19], v[2:3]
	v_mov_b32_e32 v4, s19
	v_cndmask_b32_e32 v5, 0, v4, vcc
	v_mov_b32_e32 v4, s18
	v_cndmask_b32_e32 v2, v2, v4, vcc
	v_sub_co_u32_e32 v4, vcc, v2, v0
	s_waitcnt lgkmcnt(0)
	s_and_b32 s30, s7, 0xffff
	v_subbrev_co_u32_e32 v5, vcc, 0, v5, vcc
	v_cmp_lt_u64_e32 vcc, 3, v[4:5]
	s_cmp_eq_u32 s30, 1
	s_cselect_b64 s[2:3], -1, 0
	v_mov_b32_e32 v7, v1
	s_and_b64 s[2:3], vcc, s[2:3]
	s_mov_b64 s[28:29], -1
	v_mov_b32_e32 v6, v0
	s_and_saveexec_b64 s[24:25], s[2:3]
	s_cbranch_execz .LBB60_7
; %bb.4:
	v_mov_b32_e32 v7, v5
	v_and_b32_e32 v6, -4, v4
	v_mov_b32_e32 v9, v7
	v_add_u32_e32 v2, 0, v0
	s_mov_b64 s[2:3], 0
	v_mov_b32_e32 v8, v6
.LBB60_5:                               ; =>This Inner Loop Header: Depth=1
	v_add_co_u32_e32 v8, vcc, -4, v8
	v_addc_co_u32_e32 v9, vcc, -1, v9, vcc
	v_cmp_eq_u64_e32 vcc, 0, v[8:9]
	ds_write_b32 v2, v3
	s_or_b64 s[2:3], vcc, s[2:3]
	v_add_u32_e32 v2, 4, v2
	s_andn2_b64 exec, exec, s[2:3]
	s_cbranch_execnz .LBB60_5
; %bb.6:
	s_or_b64 exec, exec, s[2:3]
	v_cmp_ne_u64_e32 vcc, v[4:5], v[6:7]
	v_add_co_u32_e64 v6, s[2:3], v6, v0
	v_addc_co_u32_e64 v7, s[2:3], 0, v7, s[2:3]
	s_orn2_b64 s[28:29], vcc, exec
.LBB60_7:
	s_or_b64 exec, exec, s[24:25]
	v_mov_b32_e32 v2, 1
	s_and_saveexec_b64 s[2:3], s[28:29]
	s_cbranch_execz .LBB60_11
; %bb.8:
	v_add_u32_e32 v2, 0, v6
	s_mov_b64 s[24:25], 0
	v_mov_b32_e32 v3, 0
.LBB60_9:                               ; =>This Inner Loop Header: Depth=1
	v_add_co_u32_e32 v6, vcc, s30, v6
	v_addc_co_u32_e32 v7, vcc, 0, v7, vcc
	v_cmp_le_i64_e32 vcc, s[18:19], v[6:7]
	ds_write_b8 v2, v3
	s_or_b64 s[24:25], vcc, s[24:25]
	v_add_u32_e32 v2, s30, v2
	s_andn2_b64 exec, exec, s[24:25]
	s_cbranch_execnz .LBB60_9
; %bb.10:
	s_or_b64 exec, exec, s[24:25]
	v_mov_b32_e32 v2, s7
.LBB60_11:
	s_or_b64 exec, exec, s[2:3]
.LBB60_12:
	s_or_b64 exec, exec, s[22:23]
	v_and_b32_e32 v12, 0xffff, v2
	v_mad_u64_u32 v[2:3], s[2:3], s6, v12, v[0:1]
	s_load_dwordx2 s[22:23], s[4:5], 0xd0
	v_mov_b32_e32 v4, 0
	v_mov_b32_e32 v3, v4
	v_cmp_gt_i64_e32 vcc, s[14:15], v[2:3]
	s_waitcnt lgkmcnt(0)
	s_barrier
	s_and_saveexec_b64 s[6:7], vcc
	s_cbranch_execz .LBB60_29
; %bb.13:
	s_load_dword s30, s[4:5], 0x4d8
	s_add_u32 s34, s4, 0x340
	s_load_dword s31, s[26:27], 0x0
	s_load_dwordx2 s[24:25], s[4:5], 0x410
	s_addc_u32 s35, s5, 0
	s_load_dwordx2 s[26:27], s[4:5], 0x5d0
	s_load_dwordx2 s[28:29], s[4:5], 0x340
	s_waitcnt lgkmcnt(0)
	s_cmp_gt_i32 s30, 1
	s_cselect_b64 s[2:3], -1, 0
	s_sub_u32 s33, s12, s10
	s_subb_u32 s48, s13, s11
	v_mul_lo_u32 v13, s31, v12
	s_mov_b32 s31, 0
	s_add_i32 s49, s30, 1
	s_add_i32 s30, s30, -1
	s_lshl_b64 s[4:5], s[30:31], 3
	s_add_u32 s4, s34, s4
	s_addc_u32 s5, s35, s5
	s_add_u32 s34, s4, 8
	v_cndmask_b32_e64 v5, 0, 1, s[2:3]
	s_addc_u32 s35, s5, 0
	s_mov_b64 s[36:37], 0
	s_movk_i32 s30, 0xff
	v_cmp_ne_u32_e64 s[2:3], 1, v5
	s_branch .LBB60_15
.LBB60_14:                              ;   in Loop: Header=BB60_15 Depth=1
	s_or_b64 exec, exec, s[38:39]
	v_add_co_u32_e32 v2, vcc, v2, v13
	v_addc_co_u32_e32 v3, vcc, 0, v3, vcc
	v_cmp_le_i64_e32 vcc, s[14:15], v[2:3]
	s_or_b64 s[36:37], vcc, s[36:37]
	s_andn2_b64 exec, exec, s[36:37]
	s_cbranch_execz .LBB60_29
.LBB60_15:                              ; =>This Loop Header: Depth=1
                                        ;     Child Loop BB60_16 Depth 2
                                        ;     Child Loop BB60_28 Depth 2
	v_mov_b32_e32 v6, 0
	v_mov_b32_e32 v9, v3
	v_mov_b32_e32 v11, v3
	v_mov_b32_e32 v7, 0
	s_and_b64 vcc, exec, s[2:3]
	s_mov_b64 s[38:39], s[34:35]
	s_mov_b32 s50, s49
	v_mov_b32_e32 v8, v2
	v_mov_b32_e32 v10, v2
	s_cbranch_vccnz .LBB60_22
.LBB60_16:                              ;   Parent Loop BB60_15 Depth=1
                                        ; =>  This Inner Loop Header: Depth=2
	s_load_dwordx2 s[40:41], s[38:39], 0x0
                                        ; implicit-def: $vgpr10_vgpr11
	s_waitcnt lgkmcnt(0)
	v_or_b32_e32 v5, s41, v9
	v_cmp_ne_u64_e32 vcc, 0, v[4:5]
	s_and_saveexec_b64 s[4:5], vcc
	s_xor_b64 s[42:43], exec, s[4:5]
	s_cbranch_execz .LBB60_18
; %bb.17:                               ;   in Loop: Header=BB60_16 Depth=2
	s_ashr_i32 s44, s41, 31
	s_add_u32 s4, s40, s44
	s_mov_b32 s45, s44
	s_addc_u32 s5, s41, s44
	s_xor_b64 s[46:47], s[4:5], s[44:45]
	v_cvt_f32_u32_e32 v5, s46
	v_cvt_f32_u32_e32 v10, s47
	s_sub_u32 s45, 0, s46
	s_subb_u32 s51, 0, s47
	v_mac_f32_e32 v5, 0x4f800000, v10
	v_rcp_f32_e32 v5, v5
	v_mul_f32_e32 v5, 0x5f7ffffc, v5
	v_mul_f32_e32 v10, 0x2f800000, v5
	v_trunc_f32_e32 v10, v10
	v_mac_f32_e32 v5, 0xcf800000, v10
	v_cvt_u32_f32_e32 v10, v10
	v_cvt_u32_f32_e32 v5, v5
	v_readfirstlane_b32 s52, v10
	v_readfirstlane_b32 s4, v5
	s_mul_i32 s5, s45, s52
	s_mul_hi_u32 s54, s45, s4
	s_mul_i32 s53, s51, s4
	s_add_i32 s5, s54, s5
	s_add_i32 s5, s5, s53
	s_mul_i32 s55, s45, s4
	s_mul_i32 s54, s4, s5
	s_mul_hi_u32 s56, s4, s55
	s_mul_hi_u32 s53, s4, s5
	s_add_u32 s54, s56, s54
	s_addc_u32 s53, 0, s53
	s_mul_hi_u32 s57, s52, s55
	s_mul_i32 s55, s52, s55
	s_add_u32 s54, s54, s55
	s_mul_hi_u32 s56, s52, s5
	s_addc_u32 s53, s53, s57
	s_addc_u32 s54, s56, 0
	s_mul_i32 s5, s52, s5
	s_add_u32 s5, s53, s5
	s_addc_u32 s53, 0, s54
	s_add_u32 s54, s4, s5
	s_cselect_b64 s[4:5], -1, 0
	s_cmp_lg_u64 s[4:5], 0
	s_addc_u32 s52, s52, s53
	s_mul_i32 s4, s45, s52
	s_mul_hi_u32 s5, s45, s54
	s_add_i32 s4, s5, s4
	s_mul_i32 s51, s51, s54
	s_add_i32 s4, s4, s51
	s_mul_i32 s45, s45, s54
	s_mul_hi_u32 s51, s52, s45
	s_mul_i32 s53, s52, s45
	s_mul_i32 s56, s54, s4
	s_mul_hi_u32 s45, s54, s45
	s_mul_hi_u32 s55, s54, s4
	s_add_u32 s45, s45, s56
	s_addc_u32 s55, 0, s55
	s_add_u32 s45, s45, s53
	s_mul_hi_u32 s5, s52, s4
	s_addc_u32 s45, s55, s51
	s_addc_u32 s5, s5, 0
	s_mul_i32 s4, s52, s4
	s_add_u32 s4, s45, s4
	s_addc_u32 s45, 0, s5
	s_add_u32 s51, s54, s4
	s_cselect_b64 s[4:5], -1, 0
	v_ashrrev_i32_e32 v5, 31, v9
	s_cmp_lg_u64 s[4:5], 0
	v_add_co_u32_e32 v10, vcc, v8, v5
	s_addc_u32 s45, s52, s45
	v_xor_b32_e32 v16, v10, v5
	v_mad_u64_u32 v[10:11], s[4:5], v16, s45, 0
	v_mul_hi_u32 v15, v16, s51
	v_addc_co_u32_e32 v14, vcc, v9, v5, vcc
	v_xor_b32_e32 v17, v14, v5
	v_add_co_u32_e32 v18, vcc, v15, v10
	v_addc_co_u32_e32 v19, vcc, 0, v11, vcc
	v_mad_u64_u32 v[10:11], s[4:5], v17, s51, 0
	v_mad_u64_u32 v[14:15], s[4:5], v17, s45, 0
	v_add_co_u32_e32 v10, vcc, v18, v10
	v_addc_co_u32_e32 v10, vcc, v19, v11, vcc
	v_addc_co_u32_e32 v11, vcc, 0, v15, vcc
	v_add_co_u32_e32 v14, vcc, v10, v14
	v_addc_co_u32_e32 v15, vcc, 0, v11, vcc
	v_mul_lo_u32 v18, s47, v14
	v_mul_lo_u32 v19, s46, v15
	v_mad_u64_u32 v[10:11], s[4:5], s46, v14, 0
	v_xor_b32_e32 v5, s44, v5
	v_add3_u32 v11, v11, v19, v18
	v_sub_u32_e32 v18, v17, v11
	v_mov_b32_e32 v19, s47
	v_sub_co_u32_e32 v10, vcc, v16, v10
	v_subb_co_u32_e64 v16, s[4:5], v18, v19, vcc
	v_subrev_co_u32_e64 v18, s[4:5], s46, v10
	v_subbrev_co_u32_e64 v16, s[4:5], 0, v16, s[4:5]
	v_cmp_le_u32_e64 s[4:5], s47, v16
	v_cndmask_b32_e64 v19, 0, -1, s[4:5]
	v_cmp_le_u32_e64 s[4:5], s46, v18
	v_cndmask_b32_e64 v18, 0, -1, s[4:5]
	v_cmp_eq_u32_e64 s[4:5], s47, v16
	v_cndmask_b32_e64 v16, v19, v18, s[4:5]
	v_add_co_u32_e64 v18, s[4:5], 2, v14
	v_subb_co_u32_e32 v11, vcc, v17, v11, vcc
	v_addc_co_u32_e64 v19, s[4:5], 0, v15, s[4:5]
	v_cmp_le_u32_e32 vcc, s47, v11
	v_add_co_u32_e64 v20, s[4:5], 1, v14
	v_cndmask_b32_e64 v17, 0, -1, vcc
	v_cmp_le_u32_e32 vcc, s46, v10
	v_addc_co_u32_e64 v21, s[4:5], 0, v15, s[4:5]
	v_cndmask_b32_e64 v10, 0, -1, vcc
	v_cmp_eq_u32_e32 vcc, s47, v11
	v_cmp_ne_u32_e64 s[4:5], 0, v16
	v_cndmask_b32_e32 v10, v17, v10, vcc
	v_cndmask_b32_e64 v16, v21, v19, s[4:5]
	v_cmp_ne_u32_e32 vcc, 0, v10
	v_cndmask_b32_e64 v11, v20, v18, s[4:5]
	v_cndmask_b32_e32 v10, v15, v16, vcc
	v_cndmask_b32_e32 v11, v14, v11, vcc
	v_xor_b32_e32 v14, v10, v5
	v_xor_b32_e32 v10, v11, v5
	v_sub_co_u32_e32 v10, vcc, v10, v5
	v_subb_co_u32_e32 v11, vcc, v14, v5, vcc
.LBB60_18:                              ;   in Loop: Header=BB60_16 Depth=2
	s_andn2_saveexec_b64 s[4:5], s[42:43]
	s_cbranch_execz .LBB60_20
; %bb.19:                               ;   in Loop: Header=BB60_16 Depth=2
	v_cvt_f32_u32_e32 v5, s40
	s_sub_i32 s42, 0, s40
	v_rcp_iflag_f32_e32 v5, v5
	v_mul_f32_e32 v5, 0x4f7ffffe, v5
	v_cvt_u32_f32_e32 v5, v5
	v_mul_lo_u32 v10, s42, v5
	v_mul_hi_u32 v10, v5, v10
	v_add_u32_e32 v5, v5, v10
	v_mul_hi_u32 v5, v8, v5
	v_mul_lo_u32 v10, v5, s40
	v_add_u32_e32 v11, 1, v5
	v_sub_u32_e32 v10, v8, v10
	v_subrev_u32_e32 v14, s40, v10
	v_cmp_le_u32_e32 vcc, s40, v10
	v_cndmask_b32_e32 v10, v10, v14, vcc
	v_cndmask_b32_e32 v5, v5, v11, vcc
	v_add_u32_e32 v11, 1, v5
	v_cmp_le_u32_e32 vcc, s40, v10
	v_cndmask_b32_e32 v10, v5, v11, vcc
	v_mov_b32_e32 v11, v4
.LBB60_20:                              ;   in Loop: Header=BB60_16 Depth=2
	s_or_b64 exec, exec, s[4:5]
	v_mul_lo_u32 v5, v11, s40
	v_mul_lo_u32 v16, v10, s41
	v_mad_u64_u32 v[14:15], s[4:5], v10, s40, 0
	s_load_dwordx2 s[4:5], s[38:39], 0xc8
	s_add_i32 s50, s50, -1
	v_add3_u32 v5, v15, v16, v5
	v_sub_co_u32_e32 v8, vcc, v8, v14
	v_subb_co_u32_e32 v5, vcc, v9, v5, vcc
	s_waitcnt lgkmcnt(0)
	v_mul_lo_u32 v5, s4, v5
	v_mul_lo_u32 v9, s5, v8
	v_mad_u64_u32 v[6:7], s[4:5], s4, v8, v[6:7]
	s_add_u32 s38, s38, -8
	s_addc_u32 s39, s39, -1
	s_cmp_gt_u32 s50, 2
	v_add3_u32 v7, v9, v7, v5
	s_cbranch_scc0 .LBB60_22
; %bb.21:                               ;   in Loop: Header=BB60_16 Depth=2
	v_mov_b32_e32 v8, v10
	v_mov_b32_e32 v9, v11
	s_branch .LBB60_16
.LBB60_22:                              ;   in Loop: Header=BB60_15 Depth=1
	v_mov_b32_e32 v8, s28
	v_mov_b32_e32 v9, s29
	v_mul_lo_u32 v5, s24, v11
	v_mul_lo_u32 v11, s25, v10
	v_mad_u64_u32 v[8:9], s[4:5], s24, v10, v[8:9]
	v_add3_u32 v9, v11, v9, v5
	v_add_co_u32_e32 v5, vcc, v8, v6
	v_addc_co_u32_e32 v6, vcc, v9, v7, vcc
	global_load_ubyte v5, v[5:6], off
	v_mov_b32_e32 v6, s31
	s_waitcnt vmcnt(0)
	v_and_b32_e32 v5, 0xffff, v5
	v_cmp_le_i64_e32 vcc, s[10:11], v[5:6]
	v_cmp_ge_i64_e64 s[4:5], s[12:13], v[5:6]
	s_and_b64 s[4:5], vcc, s[4:5]
	s_and_saveexec_b64 s[38:39], s[4:5]
	s_cbranch_execz .LBB60_14
; %bb.23:                               ;   in Loop: Header=BB60_15 Depth=1
	v_mov_b32_e32 v6, s11
	v_subrev_co_u32_e32 v5, vcc, s10, v5
	v_subb_co_u32_e32 v6, vcc, 0, v6, vcc
	v_mul_lo_u32 v8, v6, s8
	v_mul_lo_u32 v9, v5, s9
	v_mad_u64_u32 v[6:7], s[4:5], v5, s8, 0
	v_add3_u32 v7, v7, v9, v8
	v_or_b32_e32 v5, s48, v7
	v_cmp_ne_u64_e32 vcc, 0, v[4:5]
                                        ; implicit-def: $vgpr8_vgpr9
	s_and_saveexec_b64 s[4:5], vcc
	s_xor_b64 s[40:41], exec, s[4:5]
	s_cbranch_execz .LBB60_25
; %bb.24:                               ;   in Loop: Header=BB60_15 Depth=1
	s_ashr_i32 s42, s48, 31
	s_add_u32 s4, s33, s42
	s_mov_b32 s43, s42
	s_addc_u32 s5, s48, s42
	s_xor_b64 s[44:45], s[4:5], s[42:43]
	v_cvt_f32_u32_e32 v5, s44
	v_cvt_f32_u32_e32 v8, s45
	s_sub_u32 s43, 0, s44
	s_subb_u32 s46, 0, s45
	v_ashrrev_i32_e32 v9, 31, v7
	v_mac_f32_e32 v5, 0x4f800000, v8
	v_rcp_f32_e32 v5, v5
	v_mul_f32_e32 v5, 0x5f7ffffc, v5
	v_mul_f32_e32 v8, 0x2f800000, v5
	v_trunc_f32_e32 v8, v8
	v_mac_f32_e32 v5, 0xcf800000, v8
	v_cvt_u32_f32_e32 v8, v8
	v_cvt_u32_f32_e32 v5, v5
	v_readfirstlane_b32 s47, v8
	v_readfirstlane_b32 s4, v5
	s_mul_i32 s5, s43, s47
	s_mul_hi_u32 s51, s43, s4
	s_mul_i32 s50, s46, s4
	s_add_i32 s5, s51, s5
	s_add_i32 s5, s5, s50
	s_mul_i32 s52, s43, s4
	s_mul_i32 s51, s4, s5
	s_mul_hi_u32 s53, s4, s52
	s_mul_hi_u32 s50, s4, s5
	s_add_u32 s51, s53, s51
	s_addc_u32 s50, 0, s50
	s_mul_hi_u32 s54, s47, s52
	s_mul_i32 s52, s47, s52
	s_add_u32 s51, s51, s52
	s_mul_hi_u32 s53, s47, s5
	s_addc_u32 s50, s50, s54
	s_addc_u32 s51, s53, 0
	s_mul_i32 s5, s47, s5
	s_add_u32 s5, s50, s5
	s_addc_u32 s50, 0, s51
	s_add_u32 s51, s4, s5
	s_cselect_b64 s[4:5], -1, 0
	s_cmp_lg_u64 s[4:5], 0
	s_addc_u32 s47, s47, s50
	s_mul_i32 s4, s43, s47
	s_mul_hi_u32 s5, s43, s51
	s_add_i32 s4, s5, s4
	s_mul_i32 s46, s46, s51
	s_add_i32 s4, s4, s46
	s_mul_i32 s43, s43, s51
	s_mul_hi_u32 s46, s47, s43
	s_mul_i32 s50, s47, s43
	s_mul_i32 s53, s51, s4
	s_mul_hi_u32 s43, s51, s43
	s_mul_hi_u32 s52, s51, s4
	s_add_u32 s43, s43, s53
	s_addc_u32 s52, 0, s52
	s_add_u32 s43, s43, s50
	s_mul_hi_u32 s5, s47, s4
	s_addc_u32 s43, s52, s46
	s_addc_u32 s5, s5, 0
	s_mul_i32 s4, s47, s4
	s_add_u32 s4, s43, s4
	s_addc_u32 s43, 0, s5
	s_add_u32 s46, s51, s4
	s_cselect_b64 s[4:5], -1, 0
	s_cmp_lg_u64 s[4:5], 0
	v_add_co_u32_e32 v5, vcc, v6, v9
	s_addc_u32 s43, s47, s43
	v_xor_b32_e32 v10, v5, v9
	v_mad_u64_u32 v[5:6], s[4:5], v10, s43, 0
	v_mul_hi_u32 v8, v10, s46
	v_addc_co_u32_e32 v7, vcc, v7, v9, vcc
	v_xor_b32_e32 v11, v7, v9
	v_add_co_u32_e32 v14, vcc, v8, v5
	v_addc_co_u32_e32 v15, vcc, 0, v6, vcc
	v_mad_u64_u32 v[5:6], s[4:5], v11, s46, 0
	v_mad_u64_u32 v[7:8], s[4:5], v11, s43, 0
	v_add_co_u32_e32 v5, vcc, v14, v5
	v_addc_co_u32_e32 v5, vcc, v15, v6, vcc
	v_addc_co_u32_e32 v6, vcc, 0, v8, vcc
	v_add_co_u32_e32 v7, vcc, v5, v7
	v_addc_co_u32_e32 v5, vcc, 0, v6, vcc
	v_mul_lo_u32 v8, s45, v7
	v_mul_lo_u32 v14, s44, v5
	v_mad_u64_u32 v[5:6], s[4:5], s44, v7, 0
	v_add3_u32 v6, v6, v14, v8
	v_sub_u32_e32 v8, v11, v6
	v_mov_b32_e32 v14, s45
	v_sub_co_u32_e32 v5, vcc, v10, v5
	v_subb_co_u32_e64 v8, s[4:5], v8, v14, vcc
	v_subrev_co_u32_e64 v10, s[4:5], s44, v5
	v_subbrev_co_u32_e64 v8, s[4:5], 0, v8, s[4:5]
	v_cmp_le_u32_e64 s[4:5], s45, v8
	v_subb_co_u32_e32 v6, vcc, v11, v6, vcc
	v_cndmask_b32_e64 v14, 0, -1, s[4:5]
	v_cmp_le_u32_e64 s[4:5], s44, v10
	v_cmp_le_u32_e32 vcc, s45, v6
	v_cndmask_b32_e64 v10, 0, -1, s[4:5]
	v_cmp_eq_u32_e64 s[4:5], s45, v8
	v_cndmask_b32_e64 v11, 0, -1, vcc
	v_cmp_le_u32_e32 vcc, s44, v5
	v_cndmask_b32_e64 v8, v14, v10, s[4:5]
	v_cndmask_b32_e64 v5, 0, -1, vcc
	v_cmp_eq_u32_e32 vcc, s45, v6
	v_add_co_u32_e64 v10, s[4:5], 2, v7
	v_add_co_u32_e64 v14, s[4:5], 1, v7
	v_cndmask_b32_e32 v5, v11, v5, vcc
	v_cmp_ne_u32_e32 vcc, 0, v8
	v_cndmask_b32_e32 v6, v14, v10, vcc
	v_cmp_ne_u32_e32 vcc, 0, v5
	v_cndmask_b32_e32 v5, v7, v6, vcc
	v_xor_b32_e32 v6, s42, v9
	v_xor_b32_e32 v5, v5, v6
	v_sub_co_u32_e32 v8, vcc, v5, v6
                                        ; implicit-def: $vgpr6_vgpr7
.LBB60_25:                              ;   in Loop: Header=BB60_15 Depth=1
	s_andn2_saveexec_b64 s[4:5], s[40:41]
	s_cbranch_execz .LBB60_27
; %bb.26:                               ;   in Loop: Header=BB60_15 Depth=1
	v_cvt_f32_u32_e32 v5, s33
	s_sub_i32 s40, 0, s33
	v_rcp_iflag_f32_e32 v5, v5
	v_mul_f32_e32 v5, 0x4f7ffffe, v5
	v_cvt_u32_f32_e32 v5, v5
	v_mul_lo_u32 v7, s40, v5
	v_mul_hi_u32 v7, v5, v7
	v_add_u32_e32 v5, v5, v7
	v_mul_hi_u32 v5, v6, v5
	v_mul_lo_u32 v7, v5, s33
	v_add_u32_e32 v8, 1, v5
	v_sub_u32_e32 v6, v6, v7
	v_subrev_u32_e32 v7, s33, v6
	v_cmp_le_u32_e32 vcc, s33, v6
	v_cndmask_b32_e32 v6, v6, v7, vcc
	v_cndmask_b32_e32 v5, v5, v8, vcc
	v_add_u32_e32 v7, 1, v5
	v_cmp_le_u32_e32 vcc, s33, v6
	v_cndmask_b32_e32 v8, v5, v7, vcc
.LBB60_27:                              ;   in Loop: Header=BB60_15 Depth=1
	s_or_b64 exec, exec, s[4:5]
	v_mov_b32_e32 v5, s20
	v_mov_b32_e32 v6, s21
	v_mad_u64_u32 v[5:6], s[4:5], v2, s26, v[5:6]
	v_mul_lo_u32 v7, v2, s27
	v_mul_lo_u32 v9, v3, s26
	s_mov_b64 s[4:5], 0
	v_add3_u32 v6, v9, v6, v7
	global_load_ubyte v5, v[5:6], off
	v_ashrrev_i32_e32 v9, 31, v8
	v_cmp_eq_u64_e32 vcc, s[8:9], v[8:9]
	v_subbrev_co_u32_e32 v6, vcc, 0, v8, vcc
	v_add_u32_e32 v9, 0, v6
	v_and_b32_e32 v7, -4, v9
	ds_read_b32 v8, v7
	v_and_b32_e32 v6, 3, v9
	v_sub_u32_e32 v10, 0, v6
	v_lshlrev_b32_e32 v6, 3, v6
	v_lshlrev_b32_e64 v7, v6, s30
	v_not_b32_e32 v7, v7
	v_add_u32_e32 v9, v9, v10
.LBB60_28:                              ;   Parent Loop BB60_15 Depth=1
                                        ; =>  This Inner Loop Header: Depth=2
	s_waitcnt lgkmcnt(0)
	v_lshrrev_b32_e32 v10, v6, v8
	s_waitcnt vmcnt(0)
	v_add_u16_e32 v10, v5, v10
	v_and_b32_e32 v11, v8, v7
	v_and_b32_e32 v10, 0xff, v10
	v_lshl_or_b32 v10, v10, v6, v11
	ds_cmpst_rtn_b32 v10, v9, v8, v10
	s_waitcnt lgkmcnt(0)
	v_cmp_eq_u32_e32 vcc, v8, v10
	s_or_b64 s[4:5], vcc, s[4:5]
	v_mov_b32_e32 v8, v10
	s_andn2_b64 exec, exec, s[4:5]
	s_cbranch_execnz .LBB60_28
	s_branch .LBB60_14
.LBB60_29:
	s_or_b64 exec, exec, s[6:7]
; %bb.30:
	s_barrier
	s_and_saveexec_b64 s[2:3], s[0:1]
	s_cbranch_execz .LBB60_35
; %bb.31:
	v_mov_b32_e32 v2, s16
	s_mov_b64 s[0:1], 0
	v_mov_b32_e32 v3, s17
	s_movk_i32 s4, 0xff
.LBB60_32:                              ; =>This Loop Header: Depth=1
                                        ;     Child Loop BB60_33 Depth 2
	v_mad_u64_u32 v[4:5], s[2:3], v0, s22, v[2:3]
	v_mul_lo_u32 v6, v0, s23
	v_mul_lo_u32 v7, v1, s22
	v_add3_u32 v5, v7, v5, v6
	v_and_b32_e32 v6, 3, v4
	v_sub_co_u32_e32 v7, vcc, 0, v6
	v_subb_co_u32_e64 v8, s[2:3], 0, 0, vcc
	v_add_co_u32_e32 v4, vcc, v4, v7
	v_addc_co_u32_e32 v5, vcc, v5, v8, vcc
	global_load_dword v7, v[4:5], off
	v_add_u32_e32 v8, 0, v0
	ds_read_u8 v8, v8
	v_lshlrev_b32_e32 v9, 3, v6
	v_lshlrev_b32_e64 v6, v9, s4
	v_not_b32_e32 v10, v6
	s_mov_b64 s[2:3], 0
.LBB60_33:                              ;   Parent Loop BB60_32 Depth=1
                                        ; =>  This Inner Loop Header: Depth=2
	s_waitcnt vmcnt(0)
	v_lshrrev_b32_e32 v6, v9, v7
	s_waitcnt lgkmcnt(0)
	v_add_u16_e32 v6, v8, v6
	v_and_b32_e32 v11, v7, v10
	v_and_b32_e32 v6, 0xff, v6
	v_lshl_or_b32 v6, v6, v9, v11
	global_atomic_cmpswap v6, v[4:5], v[6:7], off glc
	s_waitcnt vmcnt(0)
	v_cmp_eq_u32_e32 vcc, v7, v6
	s_or_b64 s[2:3], vcc, s[2:3]
	v_mov_b32_e32 v7, v6
	s_andn2_b64 exec, exec, s[2:3]
	s_cbranch_execnz .LBB60_33
; %bb.34:                               ;   in Loop: Header=BB60_32 Depth=1
	s_or_b64 exec, exec, s[2:3]
	v_add_co_u32_e32 v0, vcc, v0, v12
	v_addc_co_u32_e32 v1, vcc, 0, v1, vcc
	v_cmp_le_i64_e32 vcc, s[18:19], v[0:1]
	s_or_b64 s[0:1], vcc, s[0:1]
	s_andn2_b64 exec, exec, s[0:1]
	s_cbranch_execnz .LBB60_32
.LBB60_35:
	s_endpgm
	.section	.rodata,"a",@progbits
	.p2align	6, 0x0
	.amdhsa_kernel _ZN2at4cuda17kernelHistogram1DIhhlLi1ELi2ELin1ELNS0_23CUDAHistogramMemoryTypeE0EZNS0_21CUDA_tensor_histogramIhhLb0EEEbNS_6TensorES4_S4_lNS_14AccumulateTypeIT0_Lb1EE4typeES8_NS0_13TensorArgTypeES9_S9_EUllE_EEvNS0_6detail10TensorInfoIT_T1_EESF_NSC_IKS6_SE_EElS8_S8_SE_T6_
		.amdhsa_group_segment_fixed_size 0
		.amdhsa_private_segment_fixed_size 0
		.amdhsa_kernarg_size 1952
		.amdhsa_user_sgpr_count 6
		.amdhsa_user_sgpr_private_segment_buffer 1
		.amdhsa_user_sgpr_dispatch_ptr 0
		.amdhsa_user_sgpr_queue_ptr 0
		.amdhsa_user_sgpr_kernarg_segment_ptr 1
		.amdhsa_user_sgpr_dispatch_id 0
		.amdhsa_user_sgpr_flat_scratch_init 0
		.amdhsa_user_sgpr_private_segment_size 0
		.amdhsa_uses_dynamic_stack 0
		.amdhsa_system_sgpr_private_segment_wavefront_offset 0
		.amdhsa_system_sgpr_workgroup_id_x 1
		.amdhsa_system_sgpr_workgroup_id_y 0
		.amdhsa_system_sgpr_workgroup_id_z 0
		.amdhsa_system_sgpr_workgroup_info 0
		.amdhsa_system_vgpr_workitem_id 0
		.amdhsa_next_free_vgpr 22
		.amdhsa_next_free_sgpr 58
		.amdhsa_reserve_vcc 1
		.amdhsa_reserve_flat_scratch 0
		.amdhsa_float_round_mode_32 0
		.amdhsa_float_round_mode_16_64 0
		.amdhsa_float_denorm_mode_32 3
		.amdhsa_float_denorm_mode_16_64 3
		.amdhsa_dx10_clamp 1
		.amdhsa_ieee_mode 1
		.amdhsa_fp16_overflow 0
		.amdhsa_exception_fp_ieee_invalid_op 0
		.amdhsa_exception_fp_denorm_src 0
		.amdhsa_exception_fp_ieee_div_zero 0
		.amdhsa_exception_fp_ieee_overflow 0
		.amdhsa_exception_fp_ieee_underflow 0
		.amdhsa_exception_fp_ieee_inexact 0
		.amdhsa_exception_int_div_zero 0
	.end_amdhsa_kernel
	.section	.text._ZN2at4cuda17kernelHistogram1DIhhlLi1ELi2ELin1ELNS0_23CUDAHistogramMemoryTypeE0EZNS0_21CUDA_tensor_histogramIhhLb0EEEbNS_6TensorES4_S4_lNS_14AccumulateTypeIT0_Lb1EE4typeES8_NS0_13TensorArgTypeES9_S9_EUllE_EEvNS0_6detail10TensorInfoIT_T1_EESF_NSC_IKS6_SE_EElS8_S8_SE_T6_,"axG",@progbits,_ZN2at4cuda17kernelHistogram1DIhhlLi1ELi2ELin1ELNS0_23CUDAHistogramMemoryTypeE0EZNS0_21CUDA_tensor_histogramIhhLb0EEEbNS_6TensorES4_S4_lNS_14AccumulateTypeIT0_Lb1EE4typeES8_NS0_13TensorArgTypeES9_S9_EUllE_EEvNS0_6detail10TensorInfoIT_T1_EESF_NSC_IKS6_SE_EElS8_S8_SE_T6_,comdat
.Lfunc_end60:
	.size	_ZN2at4cuda17kernelHistogram1DIhhlLi1ELi2ELin1ELNS0_23CUDAHistogramMemoryTypeE0EZNS0_21CUDA_tensor_histogramIhhLb0EEEbNS_6TensorES4_S4_lNS_14AccumulateTypeIT0_Lb1EE4typeES8_NS0_13TensorArgTypeES9_S9_EUllE_EEvNS0_6detail10TensorInfoIT_T1_EESF_NSC_IKS6_SE_EElS8_S8_SE_T6_, .Lfunc_end60-_ZN2at4cuda17kernelHistogram1DIhhlLi1ELi2ELin1ELNS0_23CUDAHistogramMemoryTypeE0EZNS0_21CUDA_tensor_histogramIhhLb0EEEbNS_6TensorES4_S4_lNS_14AccumulateTypeIT0_Lb1EE4typeES8_NS0_13TensorArgTypeES9_S9_EUllE_EEvNS0_6detail10TensorInfoIT_T1_EESF_NSC_IKS6_SE_EElS8_S8_SE_T6_
                                        ; -- End function
	.set _ZN2at4cuda17kernelHistogram1DIhhlLi1ELi2ELin1ELNS0_23CUDAHistogramMemoryTypeE0EZNS0_21CUDA_tensor_histogramIhhLb0EEEbNS_6TensorES4_S4_lNS_14AccumulateTypeIT0_Lb1EE4typeES8_NS0_13TensorArgTypeES9_S9_EUllE_EEvNS0_6detail10TensorInfoIT_T1_EESF_NSC_IKS6_SE_EElS8_S8_SE_T6_.num_vgpr, 22
	.set _ZN2at4cuda17kernelHistogram1DIhhlLi1ELi2ELin1ELNS0_23CUDAHistogramMemoryTypeE0EZNS0_21CUDA_tensor_histogramIhhLb0EEEbNS_6TensorES4_S4_lNS_14AccumulateTypeIT0_Lb1EE4typeES8_NS0_13TensorArgTypeES9_S9_EUllE_EEvNS0_6detail10TensorInfoIT_T1_EESF_NSC_IKS6_SE_EElS8_S8_SE_T6_.num_agpr, 0
	.set _ZN2at4cuda17kernelHistogram1DIhhlLi1ELi2ELin1ELNS0_23CUDAHistogramMemoryTypeE0EZNS0_21CUDA_tensor_histogramIhhLb0EEEbNS_6TensorES4_S4_lNS_14AccumulateTypeIT0_Lb1EE4typeES8_NS0_13TensorArgTypeES9_S9_EUllE_EEvNS0_6detail10TensorInfoIT_T1_EESF_NSC_IKS6_SE_EElS8_S8_SE_T6_.numbered_sgpr, 58
	.set _ZN2at4cuda17kernelHistogram1DIhhlLi1ELi2ELin1ELNS0_23CUDAHistogramMemoryTypeE0EZNS0_21CUDA_tensor_histogramIhhLb0EEEbNS_6TensorES4_S4_lNS_14AccumulateTypeIT0_Lb1EE4typeES8_NS0_13TensorArgTypeES9_S9_EUllE_EEvNS0_6detail10TensorInfoIT_T1_EESF_NSC_IKS6_SE_EElS8_S8_SE_T6_.num_named_barrier, 0
	.set _ZN2at4cuda17kernelHistogram1DIhhlLi1ELi2ELin1ELNS0_23CUDAHistogramMemoryTypeE0EZNS0_21CUDA_tensor_histogramIhhLb0EEEbNS_6TensorES4_S4_lNS_14AccumulateTypeIT0_Lb1EE4typeES8_NS0_13TensorArgTypeES9_S9_EUllE_EEvNS0_6detail10TensorInfoIT_T1_EESF_NSC_IKS6_SE_EElS8_S8_SE_T6_.private_seg_size, 0
	.set _ZN2at4cuda17kernelHistogram1DIhhlLi1ELi2ELin1ELNS0_23CUDAHistogramMemoryTypeE0EZNS0_21CUDA_tensor_histogramIhhLb0EEEbNS_6TensorES4_S4_lNS_14AccumulateTypeIT0_Lb1EE4typeES8_NS0_13TensorArgTypeES9_S9_EUllE_EEvNS0_6detail10TensorInfoIT_T1_EESF_NSC_IKS6_SE_EElS8_S8_SE_T6_.uses_vcc, 1
	.set _ZN2at4cuda17kernelHistogram1DIhhlLi1ELi2ELin1ELNS0_23CUDAHistogramMemoryTypeE0EZNS0_21CUDA_tensor_histogramIhhLb0EEEbNS_6TensorES4_S4_lNS_14AccumulateTypeIT0_Lb1EE4typeES8_NS0_13TensorArgTypeES9_S9_EUllE_EEvNS0_6detail10TensorInfoIT_T1_EESF_NSC_IKS6_SE_EElS8_S8_SE_T6_.uses_flat_scratch, 0
	.set _ZN2at4cuda17kernelHistogram1DIhhlLi1ELi2ELin1ELNS0_23CUDAHistogramMemoryTypeE0EZNS0_21CUDA_tensor_histogramIhhLb0EEEbNS_6TensorES4_S4_lNS_14AccumulateTypeIT0_Lb1EE4typeES8_NS0_13TensorArgTypeES9_S9_EUllE_EEvNS0_6detail10TensorInfoIT_T1_EESF_NSC_IKS6_SE_EElS8_S8_SE_T6_.has_dyn_sized_stack, 0
	.set _ZN2at4cuda17kernelHistogram1DIhhlLi1ELi2ELin1ELNS0_23CUDAHistogramMemoryTypeE0EZNS0_21CUDA_tensor_histogramIhhLb0EEEbNS_6TensorES4_S4_lNS_14AccumulateTypeIT0_Lb1EE4typeES8_NS0_13TensorArgTypeES9_S9_EUllE_EEvNS0_6detail10TensorInfoIT_T1_EESF_NSC_IKS6_SE_EElS8_S8_SE_T6_.has_recursion, 0
	.set _ZN2at4cuda17kernelHistogram1DIhhlLi1ELi2ELin1ELNS0_23CUDAHistogramMemoryTypeE0EZNS0_21CUDA_tensor_histogramIhhLb0EEEbNS_6TensorES4_S4_lNS_14AccumulateTypeIT0_Lb1EE4typeES8_NS0_13TensorArgTypeES9_S9_EUllE_EEvNS0_6detail10TensorInfoIT_T1_EESF_NSC_IKS6_SE_EElS8_S8_SE_T6_.has_indirect_call, 0
	.section	.AMDGPU.csdata,"",@progbits
; Kernel info:
; codeLenInByte = 2712
; TotalNumSgprs: 62
; NumVgprs: 22
; ScratchSize: 0
; MemoryBound: 0
; FloatMode: 240
; IeeeMode: 1
; LDSByteSize: 0 bytes/workgroup (compile time only)
; SGPRBlocks: 7
; VGPRBlocks: 5
; NumSGPRsForWavesPerEU: 62
; NumVGPRsForWavesPerEU: 22
; Occupancy: 10
; WaveLimiterHint : 1
; COMPUTE_PGM_RSRC2:SCRATCH_EN: 0
; COMPUTE_PGM_RSRC2:USER_SGPR: 6
; COMPUTE_PGM_RSRC2:TRAP_HANDLER: 0
; COMPUTE_PGM_RSRC2:TGID_X_EN: 1
; COMPUTE_PGM_RSRC2:TGID_Y_EN: 0
; COMPUTE_PGM_RSRC2:TGID_Z_EN: 0
; COMPUTE_PGM_RSRC2:TIDIG_COMP_CNT: 0
	.section	.text._ZN2at4cuda17kernelHistogram1DIhhlLi1ELi2ELin1ELNS0_23CUDAHistogramMemoryTypeE1EZNS0_21CUDA_tensor_histogramIhhLb0EEEbNS_6TensorES4_S4_lNS_14AccumulateTypeIT0_Lb1EE4typeES8_NS0_13TensorArgTypeES9_S9_EUllE_EEvNS0_6detail10TensorInfoIT_T1_EESF_NSC_IKS6_SE_EElS8_S8_SE_T6_,"axG",@progbits,_ZN2at4cuda17kernelHistogram1DIhhlLi1ELi2ELin1ELNS0_23CUDAHistogramMemoryTypeE1EZNS0_21CUDA_tensor_histogramIhhLb0EEEbNS_6TensorES4_S4_lNS_14AccumulateTypeIT0_Lb1EE4typeES8_NS0_13TensorArgTypeES9_S9_EUllE_EEvNS0_6detail10TensorInfoIT_T1_EESF_NSC_IKS6_SE_EElS8_S8_SE_T6_,comdat
	.protected	_ZN2at4cuda17kernelHistogram1DIhhlLi1ELi2ELin1ELNS0_23CUDAHistogramMemoryTypeE1EZNS0_21CUDA_tensor_histogramIhhLb0EEEbNS_6TensorES4_S4_lNS_14AccumulateTypeIT0_Lb1EE4typeES8_NS0_13TensorArgTypeES9_S9_EUllE_EEvNS0_6detail10TensorInfoIT_T1_EESF_NSC_IKS6_SE_EElS8_S8_SE_T6_ ; -- Begin function _ZN2at4cuda17kernelHistogram1DIhhlLi1ELi2ELin1ELNS0_23CUDAHistogramMemoryTypeE1EZNS0_21CUDA_tensor_histogramIhhLb0EEEbNS_6TensorES4_S4_lNS_14AccumulateTypeIT0_Lb1EE4typeES8_NS0_13TensorArgTypeES9_S9_EUllE_EEvNS0_6detail10TensorInfoIT_T1_EESF_NSC_IKS6_SE_EElS8_S8_SE_T6_
	.globl	_ZN2at4cuda17kernelHistogram1DIhhlLi1ELi2ELin1ELNS0_23CUDAHistogramMemoryTypeE1EZNS0_21CUDA_tensor_histogramIhhLb0EEEbNS_6TensorES4_S4_lNS_14AccumulateTypeIT0_Lb1EE4typeES8_NS0_13TensorArgTypeES9_S9_EUllE_EEvNS0_6detail10TensorInfoIT_T1_EESF_NSC_IKS6_SE_EElS8_S8_SE_T6_
	.p2align	8
	.type	_ZN2at4cuda17kernelHistogram1DIhhlLi1ELi2ELin1ELNS0_23CUDAHistogramMemoryTypeE1EZNS0_21CUDA_tensor_histogramIhhLb0EEEbNS_6TensorES4_S4_lNS_14AccumulateTypeIT0_Lb1EE4typeES8_NS0_13TensorArgTypeES9_S9_EUllE_EEvNS0_6detail10TensorInfoIT_T1_EESF_NSC_IKS6_SE_EElS8_S8_SE_T6_,@function
_ZN2at4cuda17kernelHistogram1DIhhlLi1ELi2ELin1ELNS0_23CUDAHistogramMemoryTypeE1EZNS0_21CUDA_tensor_histogramIhhLb0EEEbNS_6TensorES4_S4_lNS_14AccumulateTypeIT0_Lb1EE4typeES8_NS0_13TensorArgTypeES9_S9_EUllE_EEvNS0_6detail10TensorInfoIT_T1_EESF_NSC_IKS6_SE_EElS8_S8_SE_T6_: ; @_ZN2at4cuda17kernelHistogram1DIhhlLi1ELi2ELin1ELNS0_23CUDAHistogramMemoryTypeE1EZNS0_21CUDA_tensor_histogramIhhLb0EEEbNS_6TensorES4_S4_lNS_14AccumulateTypeIT0_Lb1EE4typeES8_NS0_13TensorArgTypeES9_S9_EUllE_EEvNS0_6detail10TensorInfoIT_T1_EESF_NSC_IKS6_SE_EElS8_S8_SE_T6_
; %bb.0:
	s_load_dword s2, s[4:5], 0x6ac
	s_load_dwordx8 s[8:15], s[4:5], 0x4e0
	s_add_u32 s0, s4, 0x6a0
	s_addc_u32 s1, s5, 0
	v_mov_b32_e32 v2, 0
	s_waitcnt lgkmcnt(0)
	s_and_b32 s2, s2, 0xffff
	s_mul_i32 s6, s6, s2
	v_add_u32_e32 v0, s6, v0
	v_mov_b32_e32 v1, v2
	v_cmp_gt_i64_e32 vcc, s[14:15], v[0:1]
	s_and_saveexec_b64 s[6:7], vcc
	s_cbranch_execz .LBB61_17
; %bb.1:
	s_load_dwordx2 s[6:7], s[4:5], 0x5d0
	s_load_dword s3, s[4:5], 0x4d8
	s_load_dwordx2 s[16:17], s[4:5], 0x500
	s_add_u32 s26, s4, 0x340
	s_load_dword s28, s[0:1], 0x0
	s_addc_u32 s27, s5, 0
	s_waitcnt lgkmcnt(0)
	s_cmp_gt_i32 s3, 1
	s_cselect_b64 s[0:1], -1, 0
	s_load_dwordx2 s[18:19], s[4:5], 0x0
	s_load_dwordx2 s[20:21], s[4:5], 0xd0
	s_load_dwordx2 s[22:23], s[4:5], 0x410
	s_load_dwordx2 s[24:25], s[4:5], 0x340
	s_sub_u32 s33, s12, s10
	s_subb_u32 s42, s13, s11
	s_mov_b32 s5, 0
	s_add_i32 s4, s3, -1
	s_mul_i32 s43, s28, s2
	s_add_i32 s44, s3, 1
	s_lshl_b64 s[2:3], s[4:5], 3
	s_add_u32 s2, s26, s2
	s_addc_u32 s3, s27, s3
	s_add_u32 s26, s2, 8
	v_cndmask_b32_e64 v3, 0, 1, s[0:1]
	s_addc_u32 s27, s3, 0
	s_mov_b64 s[28:29], 0
	s_movk_i32 s4, 0xff
	v_cmp_ne_u32_e64 s[0:1], 1, v3
	s_branch .LBB61_3
.LBB61_2:                               ;   in Loop: Header=BB61_3 Depth=1
	s_or_b64 exec, exec, s[30:31]
	v_add_co_u32_e32 v0, vcc, s43, v0
	v_addc_co_u32_e32 v1, vcc, 0, v1, vcc
	v_cmp_le_i64_e32 vcc, s[14:15], v[0:1]
	s_or_b64 s[28:29], vcc, s[28:29]
	s_andn2_b64 exec, exec, s[28:29]
	s_cbranch_execz .LBB61_17
.LBB61_3:                               ; =>This Loop Header: Depth=1
                                        ;     Child Loop BB61_4 Depth 2
                                        ;     Child Loop BB61_16 Depth 2
	v_mov_b32_e32 v4, 0
	v_mov_b32_e32 v7, v1
	;; [unrolled: 1-line block ×4, first 2 shown]
	s_and_b64 vcc, exec, s[0:1]
	s_mov_b64 s[30:31], s[26:27]
	s_mov_b32 s45, s44
	v_mov_b32_e32 v6, v0
	v_mov_b32_e32 v8, v0
	s_cbranch_vccnz .LBB61_10
.LBB61_4:                               ;   Parent Loop BB61_3 Depth=1
                                        ; =>  This Inner Loop Header: Depth=2
	s_load_dwordx2 s[34:35], s[30:31], 0x0
                                        ; implicit-def: $vgpr8_vgpr9
	s_waitcnt lgkmcnt(0)
	v_or_b32_e32 v3, s35, v7
	v_cmp_ne_u64_e32 vcc, 0, v[2:3]
	s_and_saveexec_b64 s[2:3], vcc
	s_xor_b64 s[36:37], exec, s[2:3]
	s_cbranch_execz .LBB61_6
; %bb.5:                                ;   in Loop: Header=BB61_4 Depth=2
	s_ashr_i32 s38, s35, 31
	s_add_u32 s2, s34, s38
	s_mov_b32 s39, s38
	s_addc_u32 s3, s35, s38
	s_xor_b64 s[40:41], s[2:3], s[38:39]
	v_cvt_f32_u32_e32 v3, s40
	v_cvt_f32_u32_e32 v8, s41
	s_sub_u32 s39, 0, s40
	s_subb_u32 s46, 0, s41
	v_mac_f32_e32 v3, 0x4f800000, v8
	v_rcp_f32_e32 v3, v3
	v_mul_f32_e32 v3, 0x5f7ffffc, v3
	v_mul_f32_e32 v8, 0x2f800000, v3
	v_trunc_f32_e32 v8, v8
	v_mac_f32_e32 v3, 0xcf800000, v8
	v_cvt_u32_f32_e32 v8, v8
	v_cvt_u32_f32_e32 v3, v3
	v_readfirstlane_b32 s47, v8
	v_readfirstlane_b32 s2, v3
	s_mul_i32 s3, s39, s47
	s_mul_hi_u32 s49, s39, s2
	s_mul_i32 s48, s46, s2
	s_add_i32 s3, s49, s3
	s_add_i32 s3, s3, s48
	s_mul_i32 s50, s39, s2
	s_mul_i32 s49, s2, s3
	s_mul_hi_u32 s51, s2, s50
	s_mul_hi_u32 s48, s2, s3
	s_add_u32 s49, s51, s49
	s_addc_u32 s48, 0, s48
	s_mul_hi_u32 s52, s47, s50
	s_mul_i32 s50, s47, s50
	s_add_u32 s49, s49, s50
	s_mul_hi_u32 s51, s47, s3
	s_addc_u32 s48, s48, s52
	s_addc_u32 s49, s51, 0
	s_mul_i32 s3, s47, s3
	s_add_u32 s3, s48, s3
	s_addc_u32 s48, 0, s49
	s_add_u32 s49, s2, s3
	s_cselect_b64 s[2:3], -1, 0
	s_cmp_lg_u64 s[2:3], 0
	s_addc_u32 s47, s47, s48
	s_mul_i32 s2, s39, s47
	s_mul_hi_u32 s3, s39, s49
	s_add_i32 s2, s3, s2
	s_mul_i32 s46, s46, s49
	s_add_i32 s2, s2, s46
	s_mul_i32 s39, s39, s49
	s_mul_hi_u32 s46, s47, s39
	s_mul_i32 s48, s47, s39
	s_mul_i32 s51, s49, s2
	s_mul_hi_u32 s39, s49, s39
	s_mul_hi_u32 s50, s49, s2
	s_add_u32 s39, s39, s51
	s_addc_u32 s50, 0, s50
	s_add_u32 s39, s39, s48
	s_mul_hi_u32 s3, s47, s2
	s_addc_u32 s39, s50, s46
	s_addc_u32 s3, s3, 0
	s_mul_i32 s2, s47, s2
	s_add_u32 s2, s39, s2
	s_addc_u32 s39, 0, s3
	s_add_u32 s46, s49, s2
	s_cselect_b64 s[2:3], -1, 0
	v_ashrrev_i32_e32 v3, 31, v7
	s_cmp_lg_u64 s[2:3], 0
	v_add_co_u32_e32 v8, vcc, v6, v3
	s_addc_u32 s39, s47, s39
	v_xor_b32_e32 v12, v8, v3
	v_mad_u64_u32 v[8:9], s[2:3], v12, s39, 0
	v_mul_hi_u32 v11, v12, s46
	v_addc_co_u32_e32 v10, vcc, v7, v3, vcc
	v_xor_b32_e32 v13, v10, v3
	v_add_co_u32_e32 v14, vcc, v11, v8
	v_addc_co_u32_e32 v15, vcc, 0, v9, vcc
	v_mad_u64_u32 v[8:9], s[2:3], v13, s46, 0
	v_mad_u64_u32 v[10:11], s[2:3], v13, s39, 0
	v_add_co_u32_e32 v8, vcc, v14, v8
	v_addc_co_u32_e32 v8, vcc, v15, v9, vcc
	v_addc_co_u32_e32 v9, vcc, 0, v11, vcc
	v_add_co_u32_e32 v10, vcc, v8, v10
	v_addc_co_u32_e32 v11, vcc, 0, v9, vcc
	v_mul_lo_u32 v14, s41, v10
	v_mul_lo_u32 v15, s40, v11
	v_mad_u64_u32 v[8:9], s[2:3], s40, v10, 0
	v_xor_b32_e32 v3, s38, v3
	v_add3_u32 v9, v9, v15, v14
	v_sub_u32_e32 v14, v13, v9
	v_mov_b32_e32 v15, s41
	v_sub_co_u32_e32 v8, vcc, v12, v8
	v_subb_co_u32_e64 v12, s[2:3], v14, v15, vcc
	v_subrev_co_u32_e64 v14, s[2:3], s40, v8
	v_subbrev_co_u32_e64 v12, s[2:3], 0, v12, s[2:3]
	v_cmp_le_u32_e64 s[2:3], s41, v12
	v_cndmask_b32_e64 v15, 0, -1, s[2:3]
	v_cmp_le_u32_e64 s[2:3], s40, v14
	v_cndmask_b32_e64 v14, 0, -1, s[2:3]
	v_cmp_eq_u32_e64 s[2:3], s41, v12
	v_cndmask_b32_e64 v12, v15, v14, s[2:3]
	v_add_co_u32_e64 v14, s[2:3], 2, v10
	v_subb_co_u32_e32 v9, vcc, v13, v9, vcc
	v_addc_co_u32_e64 v15, s[2:3], 0, v11, s[2:3]
	v_cmp_le_u32_e32 vcc, s41, v9
	v_add_co_u32_e64 v16, s[2:3], 1, v10
	v_cndmask_b32_e64 v13, 0, -1, vcc
	v_cmp_le_u32_e32 vcc, s40, v8
	v_addc_co_u32_e64 v17, s[2:3], 0, v11, s[2:3]
	v_cndmask_b32_e64 v8, 0, -1, vcc
	v_cmp_eq_u32_e32 vcc, s41, v9
	v_cmp_ne_u32_e64 s[2:3], 0, v12
	v_cndmask_b32_e32 v8, v13, v8, vcc
	v_cndmask_b32_e64 v12, v17, v15, s[2:3]
	v_cmp_ne_u32_e32 vcc, 0, v8
	v_cndmask_b32_e64 v9, v16, v14, s[2:3]
	v_cndmask_b32_e32 v8, v11, v12, vcc
	v_cndmask_b32_e32 v9, v10, v9, vcc
	v_xor_b32_e32 v10, v8, v3
	v_xor_b32_e32 v8, v9, v3
	v_sub_co_u32_e32 v8, vcc, v8, v3
	v_subb_co_u32_e32 v9, vcc, v10, v3, vcc
.LBB61_6:                               ;   in Loop: Header=BB61_4 Depth=2
	s_andn2_saveexec_b64 s[2:3], s[36:37]
	s_cbranch_execz .LBB61_8
; %bb.7:                                ;   in Loop: Header=BB61_4 Depth=2
	v_cvt_f32_u32_e32 v3, s34
	s_sub_i32 s36, 0, s34
	v_rcp_iflag_f32_e32 v3, v3
	v_mul_f32_e32 v3, 0x4f7ffffe, v3
	v_cvt_u32_f32_e32 v3, v3
	v_mul_lo_u32 v8, s36, v3
	v_mul_hi_u32 v8, v3, v8
	v_add_u32_e32 v3, v3, v8
	v_mul_hi_u32 v3, v6, v3
	v_mul_lo_u32 v8, v3, s34
	v_add_u32_e32 v9, 1, v3
	v_sub_u32_e32 v8, v6, v8
	v_subrev_u32_e32 v10, s34, v8
	v_cmp_le_u32_e32 vcc, s34, v8
	v_cndmask_b32_e32 v8, v8, v10, vcc
	v_cndmask_b32_e32 v3, v3, v9, vcc
	v_add_u32_e32 v9, 1, v3
	v_cmp_le_u32_e32 vcc, s34, v8
	v_cndmask_b32_e32 v8, v3, v9, vcc
	v_mov_b32_e32 v9, v2
.LBB61_8:                               ;   in Loop: Header=BB61_4 Depth=2
	s_or_b64 exec, exec, s[2:3]
	v_mul_lo_u32 v3, v9, s34
	v_mul_lo_u32 v12, v8, s35
	v_mad_u64_u32 v[10:11], s[2:3], v8, s34, 0
	s_load_dwordx2 s[2:3], s[30:31], 0xc8
	s_add_i32 s45, s45, -1
	v_add3_u32 v3, v11, v12, v3
	v_sub_co_u32_e32 v6, vcc, v6, v10
	v_subb_co_u32_e32 v3, vcc, v7, v3, vcc
	s_waitcnt lgkmcnt(0)
	v_mul_lo_u32 v3, s2, v3
	v_mul_lo_u32 v7, s3, v6
	v_mad_u64_u32 v[4:5], s[2:3], s2, v6, v[4:5]
	s_add_u32 s30, s30, -8
	s_addc_u32 s31, s31, -1
	s_cmp_gt_u32 s45, 2
	v_add3_u32 v5, v7, v5, v3
	s_cbranch_scc0 .LBB61_10
; %bb.9:                                ;   in Loop: Header=BB61_4 Depth=2
	v_mov_b32_e32 v6, v8
	v_mov_b32_e32 v7, v9
	s_branch .LBB61_4
.LBB61_10:                              ;   in Loop: Header=BB61_3 Depth=1
	s_waitcnt lgkmcnt(0)
	v_mov_b32_e32 v6, s24
	v_mov_b32_e32 v7, s25
	v_mul_lo_u32 v3, s22, v9
	v_mul_lo_u32 v9, s23, v8
	v_mad_u64_u32 v[6:7], s[2:3], s22, v8, v[6:7]
	v_add3_u32 v7, v9, v7, v3
	v_add_co_u32_e32 v3, vcc, v6, v4
	v_addc_co_u32_e32 v4, vcc, v7, v5, vcc
	global_load_ubyte v3, v[3:4], off
	v_mov_b32_e32 v4, s5
	s_waitcnt vmcnt(0)
	v_and_b32_e32 v3, 0xffff, v3
	v_cmp_le_i64_e32 vcc, s[10:11], v[3:4]
	v_cmp_ge_i64_e64 s[2:3], s[12:13], v[3:4]
	s_and_b64 s[2:3], vcc, s[2:3]
	s_and_saveexec_b64 s[30:31], s[2:3]
	s_cbranch_execz .LBB61_2
; %bb.11:                               ;   in Loop: Header=BB61_3 Depth=1
	v_mov_b32_e32 v4, s11
	v_subrev_co_u32_e32 v3, vcc, s10, v3
	v_subb_co_u32_e32 v4, vcc, 0, v4, vcc
	v_mul_lo_u32 v6, v4, s8
	v_mul_lo_u32 v7, v3, s9
	v_mad_u64_u32 v[4:5], s[2:3], v3, s8, 0
	v_add3_u32 v5, v5, v7, v6
	v_or_b32_e32 v3, s42, v5
	v_cmp_ne_u64_e32 vcc, 0, v[2:3]
                                        ; implicit-def: $vgpr6_vgpr7
	s_and_saveexec_b64 s[2:3], vcc
	s_xor_b64 s[34:35], exec, s[2:3]
	s_cbranch_execz .LBB61_13
; %bb.12:                               ;   in Loop: Header=BB61_3 Depth=1
	s_ashr_i32 s36, s42, 31
	s_add_u32 s2, s33, s36
	s_mov_b32 s37, s36
	s_addc_u32 s3, s42, s36
	s_xor_b64 s[38:39], s[2:3], s[36:37]
	v_cvt_f32_u32_e32 v3, s38
	v_cvt_f32_u32_e32 v6, s39
	s_sub_u32 s37, 0, s38
	s_subb_u32 s40, 0, s39
	v_ashrrev_i32_e32 v7, 31, v5
	v_mac_f32_e32 v3, 0x4f800000, v6
	v_rcp_f32_e32 v3, v3
	v_mul_f32_e32 v3, 0x5f7ffffc, v3
	v_mul_f32_e32 v6, 0x2f800000, v3
	v_trunc_f32_e32 v6, v6
	v_mac_f32_e32 v3, 0xcf800000, v6
	v_cvt_u32_f32_e32 v6, v6
	v_cvt_u32_f32_e32 v3, v3
	v_readfirstlane_b32 s41, v6
	v_readfirstlane_b32 s2, v3
	s_mul_i32 s3, s37, s41
	s_mul_hi_u32 s46, s37, s2
	s_mul_i32 s45, s40, s2
	s_add_i32 s3, s46, s3
	s_add_i32 s3, s3, s45
	s_mul_i32 s47, s37, s2
	s_mul_i32 s46, s2, s3
	s_mul_hi_u32 s48, s2, s47
	s_mul_hi_u32 s45, s2, s3
	s_add_u32 s46, s48, s46
	s_addc_u32 s45, 0, s45
	s_mul_hi_u32 s49, s41, s47
	s_mul_i32 s47, s41, s47
	s_add_u32 s46, s46, s47
	s_mul_hi_u32 s48, s41, s3
	s_addc_u32 s45, s45, s49
	s_addc_u32 s46, s48, 0
	s_mul_i32 s3, s41, s3
	s_add_u32 s3, s45, s3
	s_addc_u32 s45, 0, s46
	s_add_u32 s46, s2, s3
	s_cselect_b64 s[2:3], -1, 0
	s_cmp_lg_u64 s[2:3], 0
	s_addc_u32 s41, s41, s45
	s_mul_i32 s2, s37, s41
	s_mul_hi_u32 s3, s37, s46
	s_add_i32 s2, s3, s2
	s_mul_i32 s40, s40, s46
	s_add_i32 s2, s2, s40
	s_mul_i32 s37, s37, s46
	s_mul_hi_u32 s40, s41, s37
	s_mul_i32 s45, s41, s37
	s_mul_i32 s48, s46, s2
	s_mul_hi_u32 s37, s46, s37
	s_mul_hi_u32 s47, s46, s2
	s_add_u32 s37, s37, s48
	s_addc_u32 s47, 0, s47
	s_add_u32 s37, s37, s45
	s_mul_hi_u32 s3, s41, s2
	s_addc_u32 s37, s47, s40
	s_addc_u32 s3, s3, 0
	s_mul_i32 s2, s41, s2
	s_add_u32 s2, s37, s2
	s_addc_u32 s37, 0, s3
	s_add_u32 s40, s46, s2
	s_cselect_b64 s[2:3], -1, 0
	s_cmp_lg_u64 s[2:3], 0
	v_add_co_u32_e32 v3, vcc, v4, v7
	s_addc_u32 s37, s41, s37
	v_xor_b32_e32 v8, v3, v7
	v_mad_u64_u32 v[3:4], s[2:3], v8, s37, 0
	v_mul_hi_u32 v6, v8, s40
	v_addc_co_u32_e32 v5, vcc, v5, v7, vcc
	v_xor_b32_e32 v9, v5, v7
	v_add_co_u32_e32 v10, vcc, v6, v3
	v_addc_co_u32_e32 v11, vcc, 0, v4, vcc
	v_mad_u64_u32 v[3:4], s[2:3], v9, s40, 0
	v_mad_u64_u32 v[5:6], s[2:3], v9, s37, 0
	v_add_co_u32_e32 v3, vcc, v10, v3
	v_addc_co_u32_e32 v3, vcc, v11, v4, vcc
	v_addc_co_u32_e32 v4, vcc, 0, v6, vcc
	v_add_co_u32_e32 v5, vcc, v3, v5
	v_addc_co_u32_e32 v3, vcc, 0, v4, vcc
	v_mul_lo_u32 v6, s39, v5
	v_mul_lo_u32 v10, s38, v3
	v_mad_u64_u32 v[3:4], s[2:3], s38, v5, 0
	v_add3_u32 v4, v4, v10, v6
	v_sub_u32_e32 v6, v9, v4
	v_mov_b32_e32 v10, s39
	v_sub_co_u32_e32 v3, vcc, v8, v3
	v_subb_co_u32_e64 v6, s[2:3], v6, v10, vcc
	v_subrev_co_u32_e64 v8, s[2:3], s38, v3
	v_subbrev_co_u32_e64 v6, s[2:3], 0, v6, s[2:3]
	v_cmp_le_u32_e64 s[2:3], s39, v6
	v_subb_co_u32_e32 v4, vcc, v9, v4, vcc
	v_cndmask_b32_e64 v10, 0, -1, s[2:3]
	v_cmp_le_u32_e64 s[2:3], s38, v8
	v_cmp_le_u32_e32 vcc, s39, v4
	v_cndmask_b32_e64 v8, 0, -1, s[2:3]
	v_cmp_eq_u32_e64 s[2:3], s39, v6
	v_cndmask_b32_e64 v9, 0, -1, vcc
	v_cmp_le_u32_e32 vcc, s38, v3
	v_cndmask_b32_e64 v6, v10, v8, s[2:3]
	v_cndmask_b32_e64 v3, 0, -1, vcc
	v_cmp_eq_u32_e32 vcc, s39, v4
	v_add_co_u32_e64 v8, s[2:3], 2, v5
	v_add_co_u32_e64 v10, s[2:3], 1, v5
	v_cndmask_b32_e32 v3, v9, v3, vcc
	v_cmp_ne_u32_e32 vcc, 0, v6
	v_cndmask_b32_e32 v4, v10, v8, vcc
	v_cmp_ne_u32_e32 vcc, 0, v3
	v_cndmask_b32_e32 v3, v5, v4, vcc
	v_xor_b32_e32 v4, s36, v7
	v_xor_b32_e32 v3, v3, v4
	v_sub_co_u32_e32 v6, vcc, v3, v4
                                        ; implicit-def: $vgpr4_vgpr5
.LBB61_13:                              ;   in Loop: Header=BB61_3 Depth=1
	s_andn2_saveexec_b64 s[2:3], s[34:35]
	s_cbranch_execz .LBB61_15
; %bb.14:                               ;   in Loop: Header=BB61_3 Depth=1
	v_cvt_f32_u32_e32 v3, s33
	s_sub_i32 s34, 0, s33
	v_rcp_iflag_f32_e32 v3, v3
	v_mul_f32_e32 v3, 0x4f7ffffe, v3
	v_cvt_u32_f32_e32 v3, v3
	v_mul_lo_u32 v5, s34, v3
	v_mul_hi_u32 v5, v3, v5
	v_add_u32_e32 v3, v3, v5
	v_mul_hi_u32 v3, v4, v3
	v_mul_lo_u32 v5, v3, s33
	v_add_u32_e32 v6, 1, v3
	v_sub_u32_e32 v4, v4, v5
	v_subrev_u32_e32 v5, s33, v4
	v_cmp_le_u32_e32 vcc, s33, v4
	v_cndmask_b32_e32 v4, v4, v5, vcc
	v_cndmask_b32_e32 v3, v3, v6, vcc
	v_add_u32_e32 v5, 1, v3
	v_cmp_le_u32_e32 vcc, s33, v4
	v_cndmask_b32_e32 v6, v3, v5, vcc
.LBB61_15:                              ;   in Loop: Header=BB61_3 Depth=1
	s_or_b64 exec, exec, s[2:3]
	v_ashrrev_i32_e32 v7, 31, v6
	v_cmp_eq_u64_e32 vcc, s[8:9], v[6:7]
	v_mul_lo_u32 v9, v0, s7
	v_cndmask_b32_e64 v3, 0, 1, vcc
	v_sub_co_u32_e32 v5, vcc, v6, v3
	v_subbrev_co_u32_e32 v3, vcc, 0, v7, vcc
	v_mul_lo_u32 v8, v3, s20
	v_mov_b32_e32 v3, s18
	v_mov_b32_e32 v4, s19
	v_mul_lo_u32 v7, v5, s21
	v_mad_u64_u32 v[3:4], s[2:3], v5, s20, v[3:4]
	v_mov_b32_e32 v5, s16
	v_mov_b32_e32 v6, s17
	v_mad_u64_u32 v[5:6], s[2:3], v0, s6, v[5:6]
	v_mul_lo_u32 v10, v1, s6
	v_add3_u32 v4, v8, v4, v7
	v_add3_u32 v6, v10, v6, v9
	global_load_ubyte v7, v[5:6], off
	v_and_b32_e32 v5, 3, v3
	v_sub_co_u32_e32 v6, vcc, 0, v5
	v_subb_co_u32_e64 v8, s[2:3], 0, 0, vcc
	v_add_co_u32_e32 v3, vcc, v3, v6
	v_addc_co_u32_e32 v4, vcc, v4, v8, vcc
	global_load_dword v6, v[3:4], off
	v_lshlrev_b32_e32 v8, 3, v5
	v_lshlrev_b32_e64 v5, v8, s4
	s_mov_b64 s[2:3], 0
	v_not_b32_e32 v9, v5
.LBB61_16:                              ;   Parent Loop BB61_3 Depth=1
                                        ; =>  This Inner Loop Header: Depth=2
	s_waitcnt vmcnt(0)
	v_lshrrev_b32_e32 v5, v8, v6
	v_add_u16_e32 v5, v7, v5
	v_and_b32_e32 v10, v6, v9
	v_and_b32_e32 v5, 0xff, v5
	v_lshl_or_b32 v5, v5, v8, v10
	global_atomic_cmpswap v5, v[3:4], v[5:6], off glc
	s_waitcnt vmcnt(0)
	v_cmp_eq_u32_e32 vcc, v6, v5
	s_or_b64 s[2:3], vcc, s[2:3]
	v_mov_b32_e32 v6, v5
	s_andn2_b64 exec, exec, s[2:3]
	s_cbranch_execnz .LBB61_16
	s_branch .LBB61_2
.LBB61_17:
	s_endpgm
	.section	.rodata,"a",@progbits
	.p2align	6, 0x0
	.amdhsa_kernel _ZN2at4cuda17kernelHistogram1DIhhlLi1ELi2ELin1ELNS0_23CUDAHistogramMemoryTypeE1EZNS0_21CUDA_tensor_histogramIhhLb0EEEbNS_6TensorES4_S4_lNS_14AccumulateTypeIT0_Lb1EE4typeES8_NS0_13TensorArgTypeES9_S9_EUllE_EEvNS0_6detail10TensorInfoIT_T1_EESF_NSC_IKS6_SE_EElS8_S8_SE_T6_
		.amdhsa_group_segment_fixed_size 0
		.amdhsa_private_segment_fixed_size 0
		.amdhsa_kernarg_size 1952
		.amdhsa_user_sgpr_count 6
		.amdhsa_user_sgpr_private_segment_buffer 1
		.amdhsa_user_sgpr_dispatch_ptr 0
		.amdhsa_user_sgpr_queue_ptr 0
		.amdhsa_user_sgpr_kernarg_segment_ptr 1
		.amdhsa_user_sgpr_dispatch_id 0
		.amdhsa_user_sgpr_flat_scratch_init 0
		.amdhsa_user_sgpr_private_segment_size 0
		.amdhsa_uses_dynamic_stack 0
		.amdhsa_system_sgpr_private_segment_wavefront_offset 0
		.amdhsa_system_sgpr_workgroup_id_x 1
		.amdhsa_system_sgpr_workgroup_id_y 0
		.amdhsa_system_sgpr_workgroup_id_z 0
		.amdhsa_system_sgpr_workgroup_info 0
		.amdhsa_system_vgpr_workitem_id 0
		.amdhsa_next_free_vgpr 18
		.amdhsa_next_free_sgpr 53
		.amdhsa_reserve_vcc 1
		.amdhsa_reserve_flat_scratch 0
		.amdhsa_float_round_mode_32 0
		.amdhsa_float_round_mode_16_64 0
		.amdhsa_float_denorm_mode_32 3
		.amdhsa_float_denorm_mode_16_64 3
		.amdhsa_dx10_clamp 1
		.amdhsa_ieee_mode 1
		.amdhsa_fp16_overflow 0
		.amdhsa_exception_fp_ieee_invalid_op 0
		.amdhsa_exception_fp_denorm_src 0
		.amdhsa_exception_fp_ieee_div_zero 0
		.amdhsa_exception_fp_ieee_overflow 0
		.amdhsa_exception_fp_ieee_underflow 0
		.amdhsa_exception_fp_ieee_inexact 0
		.amdhsa_exception_int_div_zero 0
	.end_amdhsa_kernel
	.section	.text._ZN2at4cuda17kernelHistogram1DIhhlLi1ELi2ELin1ELNS0_23CUDAHistogramMemoryTypeE1EZNS0_21CUDA_tensor_histogramIhhLb0EEEbNS_6TensorES4_S4_lNS_14AccumulateTypeIT0_Lb1EE4typeES8_NS0_13TensorArgTypeES9_S9_EUllE_EEvNS0_6detail10TensorInfoIT_T1_EESF_NSC_IKS6_SE_EElS8_S8_SE_T6_,"axG",@progbits,_ZN2at4cuda17kernelHistogram1DIhhlLi1ELi2ELin1ELNS0_23CUDAHistogramMemoryTypeE1EZNS0_21CUDA_tensor_histogramIhhLb0EEEbNS_6TensorES4_S4_lNS_14AccumulateTypeIT0_Lb1EE4typeES8_NS0_13TensorArgTypeES9_S9_EUllE_EEvNS0_6detail10TensorInfoIT_T1_EESF_NSC_IKS6_SE_EElS8_S8_SE_T6_,comdat
.Lfunc_end61:
	.size	_ZN2at4cuda17kernelHistogram1DIhhlLi1ELi2ELin1ELNS0_23CUDAHistogramMemoryTypeE1EZNS0_21CUDA_tensor_histogramIhhLb0EEEbNS_6TensorES4_S4_lNS_14AccumulateTypeIT0_Lb1EE4typeES8_NS0_13TensorArgTypeES9_S9_EUllE_EEvNS0_6detail10TensorInfoIT_T1_EESF_NSC_IKS6_SE_EElS8_S8_SE_T6_, .Lfunc_end61-_ZN2at4cuda17kernelHistogram1DIhhlLi1ELi2ELin1ELNS0_23CUDAHistogramMemoryTypeE1EZNS0_21CUDA_tensor_histogramIhhLb0EEEbNS_6TensorES4_S4_lNS_14AccumulateTypeIT0_Lb1EE4typeES8_NS0_13TensorArgTypeES9_S9_EUllE_EEvNS0_6detail10TensorInfoIT_T1_EESF_NSC_IKS6_SE_EElS8_S8_SE_T6_
                                        ; -- End function
	.set _ZN2at4cuda17kernelHistogram1DIhhlLi1ELi2ELin1ELNS0_23CUDAHistogramMemoryTypeE1EZNS0_21CUDA_tensor_histogramIhhLb0EEEbNS_6TensorES4_S4_lNS_14AccumulateTypeIT0_Lb1EE4typeES8_NS0_13TensorArgTypeES9_S9_EUllE_EEvNS0_6detail10TensorInfoIT_T1_EESF_NSC_IKS6_SE_EElS8_S8_SE_T6_.num_vgpr, 18
	.set _ZN2at4cuda17kernelHistogram1DIhhlLi1ELi2ELin1ELNS0_23CUDAHistogramMemoryTypeE1EZNS0_21CUDA_tensor_histogramIhhLb0EEEbNS_6TensorES4_S4_lNS_14AccumulateTypeIT0_Lb1EE4typeES8_NS0_13TensorArgTypeES9_S9_EUllE_EEvNS0_6detail10TensorInfoIT_T1_EESF_NSC_IKS6_SE_EElS8_S8_SE_T6_.num_agpr, 0
	.set _ZN2at4cuda17kernelHistogram1DIhhlLi1ELi2ELin1ELNS0_23CUDAHistogramMemoryTypeE1EZNS0_21CUDA_tensor_histogramIhhLb0EEEbNS_6TensorES4_S4_lNS_14AccumulateTypeIT0_Lb1EE4typeES8_NS0_13TensorArgTypeES9_S9_EUllE_EEvNS0_6detail10TensorInfoIT_T1_EESF_NSC_IKS6_SE_EElS8_S8_SE_T6_.numbered_sgpr, 53
	.set _ZN2at4cuda17kernelHistogram1DIhhlLi1ELi2ELin1ELNS0_23CUDAHistogramMemoryTypeE1EZNS0_21CUDA_tensor_histogramIhhLb0EEEbNS_6TensorES4_S4_lNS_14AccumulateTypeIT0_Lb1EE4typeES8_NS0_13TensorArgTypeES9_S9_EUllE_EEvNS0_6detail10TensorInfoIT_T1_EESF_NSC_IKS6_SE_EElS8_S8_SE_T6_.num_named_barrier, 0
	.set _ZN2at4cuda17kernelHistogram1DIhhlLi1ELi2ELin1ELNS0_23CUDAHistogramMemoryTypeE1EZNS0_21CUDA_tensor_histogramIhhLb0EEEbNS_6TensorES4_S4_lNS_14AccumulateTypeIT0_Lb1EE4typeES8_NS0_13TensorArgTypeES9_S9_EUllE_EEvNS0_6detail10TensorInfoIT_T1_EESF_NSC_IKS6_SE_EElS8_S8_SE_T6_.private_seg_size, 0
	.set _ZN2at4cuda17kernelHistogram1DIhhlLi1ELi2ELin1ELNS0_23CUDAHistogramMemoryTypeE1EZNS0_21CUDA_tensor_histogramIhhLb0EEEbNS_6TensorES4_S4_lNS_14AccumulateTypeIT0_Lb1EE4typeES8_NS0_13TensorArgTypeES9_S9_EUllE_EEvNS0_6detail10TensorInfoIT_T1_EESF_NSC_IKS6_SE_EElS8_S8_SE_T6_.uses_vcc, 1
	.set _ZN2at4cuda17kernelHistogram1DIhhlLi1ELi2ELin1ELNS0_23CUDAHistogramMemoryTypeE1EZNS0_21CUDA_tensor_histogramIhhLb0EEEbNS_6TensorES4_S4_lNS_14AccumulateTypeIT0_Lb1EE4typeES8_NS0_13TensorArgTypeES9_S9_EUllE_EEvNS0_6detail10TensorInfoIT_T1_EESF_NSC_IKS6_SE_EElS8_S8_SE_T6_.uses_flat_scratch, 0
	.set _ZN2at4cuda17kernelHistogram1DIhhlLi1ELi2ELin1ELNS0_23CUDAHistogramMemoryTypeE1EZNS0_21CUDA_tensor_histogramIhhLb0EEEbNS_6TensorES4_S4_lNS_14AccumulateTypeIT0_Lb1EE4typeES8_NS0_13TensorArgTypeES9_S9_EUllE_EEvNS0_6detail10TensorInfoIT_T1_EESF_NSC_IKS6_SE_EElS8_S8_SE_T6_.has_dyn_sized_stack, 0
	.set _ZN2at4cuda17kernelHistogram1DIhhlLi1ELi2ELin1ELNS0_23CUDAHistogramMemoryTypeE1EZNS0_21CUDA_tensor_histogramIhhLb0EEEbNS_6TensorES4_S4_lNS_14AccumulateTypeIT0_Lb1EE4typeES8_NS0_13TensorArgTypeES9_S9_EUllE_EEvNS0_6detail10TensorInfoIT_T1_EESF_NSC_IKS6_SE_EElS8_S8_SE_T6_.has_recursion, 0
	.set _ZN2at4cuda17kernelHistogram1DIhhlLi1ELi2ELin1ELNS0_23CUDAHistogramMemoryTypeE1EZNS0_21CUDA_tensor_histogramIhhLb0EEEbNS_6TensorES4_S4_lNS_14AccumulateTypeIT0_Lb1EE4typeES8_NS0_13TensorArgTypeES9_S9_EUllE_EEvNS0_6detail10TensorInfoIT_T1_EESF_NSC_IKS6_SE_EElS8_S8_SE_T6_.has_indirect_call, 0
	.section	.AMDGPU.csdata,"",@progbits
; Kernel info:
; codeLenInByte = 2228
; TotalNumSgprs: 57
; NumVgprs: 18
; ScratchSize: 0
; MemoryBound: 0
; FloatMode: 240
; IeeeMode: 1
; LDSByteSize: 0 bytes/workgroup (compile time only)
; SGPRBlocks: 7
; VGPRBlocks: 4
; NumSGPRsForWavesPerEU: 57
; NumVGPRsForWavesPerEU: 18
; Occupancy: 10
; WaveLimiterHint : 1
; COMPUTE_PGM_RSRC2:SCRATCH_EN: 0
; COMPUTE_PGM_RSRC2:USER_SGPR: 6
; COMPUTE_PGM_RSRC2:TRAP_HANDLER: 0
; COMPUTE_PGM_RSRC2:TGID_X_EN: 1
; COMPUTE_PGM_RSRC2:TGID_Y_EN: 0
; COMPUTE_PGM_RSRC2:TGID_Z_EN: 0
; COMPUTE_PGM_RSRC2:TIDIG_COMP_CNT: 0
	.section	.text._ZN2at4cuda17kernelHistogram1DIhhlLi1ELi2ELin1ELNS0_23CUDAHistogramMemoryTypeE0EZNS0_21CUDA_tensor_histogramIhhLb0EEEbNS_6TensorES4_S4_lNS_14AccumulateTypeIT0_Lb1EE4typeES8_NS0_13TensorArgTypeES9_S9_EUllE0_EEvNS0_6detail10TensorInfoIT_T1_EESF_NSC_IKS6_SE_EElS8_S8_SE_T6_,"axG",@progbits,_ZN2at4cuda17kernelHistogram1DIhhlLi1ELi2ELin1ELNS0_23CUDAHistogramMemoryTypeE0EZNS0_21CUDA_tensor_histogramIhhLb0EEEbNS_6TensorES4_S4_lNS_14AccumulateTypeIT0_Lb1EE4typeES8_NS0_13TensorArgTypeES9_S9_EUllE0_EEvNS0_6detail10TensorInfoIT_T1_EESF_NSC_IKS6_SE_EElS8_S8_SE_T6_,comdat
	.protected	_ZN2at4cuda17kernelHistogram1DIhhlLi1ELi2ELin1ELNS0_23CUDAHistogramMemoryTypeE0EZNS0_21CUDA_tensor_histogramIhhLb0EEEbNS_6TensorES4_S4_lNS_14AccumulateTypeIT0_Lb1EE4typeES8_NS0_13TensorArgTypeES9_S9_EUllE0_EEvNS0_6detail10TensorInfoIT_T1_EESF_NSC_IKS6_SE_EElS8_S8_SE_T6_ ; -- Begin function _ZN2at4cuda17kernelHistogram1DIhhlLi1ELi2ELin1ELNS0_23CUDAHistogramMemoryTypeE0EZNS0_21CUDA_tensor_histogramIhhLb0EEEbNS_6TensorES4_S4_lNS_14AccumulateTypeIT0_Lb1EE4typeES8_NS0_13TensorArgTypeES9_S9_EUllE0_EEvNS0_6detail10TensorInfoIT_T1_EESF_NSC_IKS6_SE_EElS8_S8_SE_T6_
	.globl	_ZN2at4cuda17kernelHistogram1DIhhlLi1ELi2ELin1ELNS0_23CUDAHistogramMemoryTypeE0EZNS0_21CUDA_tensor_histogramIhhLb0EEEbNS_6TensorES4_S4_lNS_14AccumulateTypeIT0_Lb1EE4typeES8_NS0_13TensorArgTypeES9_S9_EUllE0_EEvNS0_6detail10TensorInfoIT_T1_EESF_NSC_IKS6_SE_EElS8_S8_SE_T6_
	.p2align	8
	.type	_ZN2at4cuda17kernelHistogram1DIhhlLi1ELi2ELin1ELNS0_23CUDAHistogramMemoryTypeE0EZNS0_21CUDA_tensor_histogramIhhLb0EEEbNS_6TensorES4_S4_lNS_14AccumulateTypeIT0_Lb1EE4typeES8_NS0_13TensorArgTypeES9_S9_EUllE0_EEvNS0_6detail10TensorInfoIT_T1_EESF_NSC_IKS6_SE_EElS8_S8_SE_T6_,@function
_ZN2at4cuda17kernelHistogram1DIhhlLi1ELi2ELin1ELNS0_23CUDAHistogramMemoryTypeE0EZNS0_21CUDA_tensor_histogramIhhLb0EEEbNS_6TensorES4_S4_lNS_14AccumulateTypeIT0_Lb1EE4typeES8_NS0_13TensorArgTypeES9_S9_EUllE0_EEvNS0_6detail10TensorInfoIT_T1_EESF_NSC_IKS6_SE_EElS8_S8_SE_T6_: ; @_ZN2at4cuda17kernelHistogram1DIhhlLi1ELi2ELin1ELNS0_23CUDAHistogramMemoryTypeE0EZNS0_21CUDA_tensor_histogramIhhLb0EEEbNS_6TensorES4_S4_lNS_14AccumulateTypeIT0_Lb1EE4typeES8_NS0_13TensorArgTypeES9_S9_EUllE0_EEvNS0_6detail10TensorInfoIT_T1_EESF_NSC_IKS6_SE_EElS8_S8_SE_T6_
; %bb.0:
	s_load_dwordx4 s[16:19], s[4:5], 0x0
	v_mov_b32_e32 v1, 0
	s_add_u32 s24, s4, 0x508
	s_addc_u32 s25, s5, 0
                                        ; implicit-def: $sgpr7
	s_waitcnt lgkmcnt(0)
	v_cmp_gt_i64_e64 s[0:1], s[18:19], v[0:1]
	v_cmp_le_i64_e32 vcc, s[18:19], v[0:1]
	s_and_saveexec_b64 s[2:3], vcc
	s_xor_b64 s[2:3], exec, s[2:3]
; %bb.1:
	s_load_dword s7, s[24:25], 0xc
; %bb.2:
	s_or_saveexec_b64 s[8:9], s[2:3]
	s_waitcnt lgkmcnt(0)
	v_mov_b32_e32 v2, s7
	s_xor_b64 exec, exec, s[8:9]
	s_cbranch_execz .LBB62_12
; %bb.3:
	v_add_u32_e32 v2, 1, v0
	v_mov_b32_e32 v3, 0
	s_load_dword s7, s[24:25], 0xc
	v_cmp_gt_i64_e32 vcc, s[18:19], v[2:3]
	v_mov_b32_e32 v4, s19
	v_cndmask_b32_e32 v5, 0, v4, vcc
	v_mov_b32_e32 v4, s18
	v_cndmask_b32_e32 v2, v2, v4, vcc
	v_sub_co_u32_e32 v4, vcc, v2, v0
	s_waitcnt lgkmcnt(0)
	s_and_b32 s14, s7, 0xffff
	v_subbrev_co_u32_e32 v5, vcc, 0, v5, vcc
	v_cmp_lt_u64_e32 vcc, 3, v[4:5]
	s_cmp_eq_u32 s14, 1
	s_cselect_b64 s[2:3], -1, 0
	v_mov_b32_e32 v7, v1
	s_and_b64 s[2:3], vcc, s[2:3]
	s_mov_b64 s[12:13], -1
	v_mov_b32_e32 v6, v0
	s_and_saveexec_b64 s[10:11], s[2:3]
	s_cbranch_execz .LBB62_7
; %bb.4:
	v_mov_b32_e32 v7, v5
	v_and_b32_e32 v6, -4, v4
	v_mov_b32_e32 v9, v7
	v_add_u32_e32 v2, 0, v0
	s_mov_b64 s[2:3], 0
	v_mov_b32_e32 v8, v6
.LBB62_5:                               ; =>This Inner Loop Header: Depth=1
	v_add_co_u32_e32 v8, vcc, -4, v8
	v_addc_co_u32_e32 v9, vcc, -1, v9, vcc
	v_cmp_eq_u64_e32 vcc, 0, v[8:9]
	ds_write_b32 v2, v3
	s_or_b64 s[2:3], vcc, s[2:3]
	v_add_u32_e32 v2, 4, v2
	s_andn2_b64 exec, exec, s[2:3]
	s_cbranch_execnz .LBB62_5
; %bb.6:
	s_or_b64 exec, exec, s[2:3]
	v_cmp_ne_u64_e32 vcc, v[4:5], v[6:7]
	v_add_co_u32_e64 v6, s[2:3], v6, v0
	v_addc_co_u32_e64 v7, s[2:3], 0, v7, s[2:3]
	s_orn2_b64 s[12:13], vcc, exec
.LBB62_7:
	s_or_b64 exec, exec, s[10:11]
	v_mov_b32_e32 v2, 1
	s_and_saveexec_b64 s[2:3], s[12:13]
	s_cbranch_execz .LBB62_11
; %bb.8:
	v_add_u32_e32 v2, 0, v6
	s_mov_b64 s[10:11], 0
	v_mov_b32_e32 v3, 0
.LBB62_9:                               ; =>This Inner Loop Header: Depth=1
	v_add_co_u32_e32 v6, vcc, s14, v6
	v_addc_co_u32_e32 v7, vcc, 0, v7, vcc
	v_cmp_le_i64_e32 vcc, s[18:19], v[6:7]
	ds_write_b8 v2, v3
	s_or_b64 s[10:11], vcc, s[10:11]
	v_add_u32_e32 v2, s14, v2
	s_andn2_b64 exec, exec, s[10:11]
	s_cbranch_execnz .LBB62_9
; %bb.10:
	s_or_b64 exec, exec, s[10:11]
	v_mov_b32_e32 v2, s7
.LBB62_11:
	s_or_b64 exec, exec, s[2:3]
.LBB62_12:
	s_or_b64 exec, exec, s[8:9]
	s_load_dwordx2 s[20:21], s[4:5], 0xd0
	s_load_dwordx8 s[8:15], s[4:5], 0x4e0
	v_and_b32_e32 v12, 0xffff, v2
	v_mad_u64_u32 v[2:3], s[2:3], s6, v12, v[0:1]
	v_mov_b32_e32 v4, 0
	v_mov_b32_e32 v3, v4
	s_waitcnt lgkmcnt(0)
	v_cmp_gt_i64_e32 vcc, s[14:15], v[2:3]
	s_barrier
	s_and_saveexec_b64 s[6:7], vcc
	s_cbranch_execz .LBB62_29
; %bb.13:
	s_load_dword s26, s[4:5], 0x4d8
	s_add_u32 s28, s4, 0x340
	s_load_dword s27, s[24:25], 0x0
	s_load_dwordx2 s[22:23], s[4:5], 0x410
	s_addc_u32 s29, s5, 0
	s_load_dwordx2 s[24:25], s[4:5], 0x340
	s_waitcnt lgkmcnt(0)
	s_cmp_gt_i32 s26, 1
	s_cselect_b64 s[2:3], -1, 0
	s_sub_u32 s33, s12, s10
	s_subb_u32 s44, s13, s11
	v_mul_lo_u32 v13, s27, v12
	s_mov_b32 s27, 0
	s_add_i32 s45, s26, 1
	s_add_i32 s26, s26, -1
	s_lshl_b64 s[4:5], s[26:27], 3
	s_add_u32 s4, s28, s4
	s_addc_u32 s5, s29, s5
	s_add_u32 s28, s4, 8
	v_cndmask_b32_e64 v5, 0, 1, s[2:3]
	s_addc_u32 s29, s5, 0
	s_mov_b64 s[30:31], 0
	s_movk_i32 s26, 0xff
	v_cmp_ne_u32_e64 s[2:3], 1, v5
	s_branch .LBB62_15
.LBB62_14:                              ;   in Loop: Header=BB62_15 Depth=1
	s_or_b64 exec, exec, s[34:35]
	v_add_co_u32_e32 v2, vcc, v2, v13
	v_addc_co_u32_e32 v3, vcc, 0, v3, vcc
	v_cmp_le_i64_e32 vcc, s[14:15], v[2:3]
	s_or_b64 s[30:31], vcc, s[30:31]
	s_andn2_b64 exec, exec, s[30:31]
	s_cbranch_execz .LBB62_29
.LBB62_15:                              ; =>This Loop Header: Depth=1
                                        ;     Child Loop BB62_16 Depth 2
                                        ;     Child Loop BB62_28 Depth 2
	v_mov_b32_e32 v6, 0
	v_mov_b32_e32 v9, v3
	;; [unrolled: 1-line block ×4, first 2 shown]
	s_and_b64 vcc, exec, s[2:3]
	s_mov_b64 s[34:35], s[28:29]
	s_mov_b32 s46, s45
	v_mov_b32_e32 v8, v2
	v_mov_b32_e32 v10, v2
	s_cbranch_vccnz .LBB62_22
.LBB62_16:                              ;   Parent Loop BB62_15 Depth=1
                                        ; =>  This Inner Loop Header: Depth=2
	s_load_dwordx2 s[36:37], s[34:35], 0x0
                                        ; implicit-def: $vgpr10_vgpr11
	s_waitcnt lgkmcnt(0)
	v_or_b32_e32 v5, s37, v9
	v_cmp_ne_u64_e32 vcc, 0, v[4:5]
	s_and_saveexec_b64 s[4:5], vcc
	s_xor_b64 s[38:39], exec, s[4:5]
	s_cbranch_execz .LBB62_18
; %bb.17:                               ;   in Loop: Header=BB62_16 Depth=2
	s_ashr_i32 s40, s37, 31
	s_add_u32 s4, s36, s40
	s_mov_b32 s41, s40
	s_addc_u32 s5, s37, s40
	s_xor_b64 s[42:43], s[4:5], s[40:41]
	v_cvt_f32_u32_e32 v5, s42
	v_cvt_f32_u32_e32 v10, s43
	s_sub_u32 s41, 0, s42
	s_subb_u32 s47, 0, s43
	v_mac_f32_e32 v5, 0x4f800000, v10
	v_rcp_f32_e32 v5, v5
	v_mul_f32_e32 v5, 0x5f7ffffc, v5
	v_mul_f32_e32 v10, 0x2f800000, v5
	v_trunc_f32_e32 v10, v10
	v_mac_f32_e32 v5, 0xcf800000, v10
	v_cvt_u32_f32_e32 v10, v10
	v_cvt_u32_f32_e32 v5, v5
	v_readfirstlane_b32 s48, v10
	v_readfirstlane_b32 s4, v5
	s_mul_i32 s5, s41, s48
	s_mul_hi_u32 s50, s41, s4
	s_mul_i32 s49, s47, s4
	s_add_i32 s5, s50, s5
	s_add_i32 s5, s5, s49
	s_mul_i32 s51, s41, s4
	s_mul_i32 s50, s4, s5
	s_mul_hi_u32 s52, s4, s51
	s_mul_hi_u32 s49, s4, s5
	s_add_u32 s50, s52, s50
	s_addc_u32 s49, 0, s49
	s_mul_hi_u32 s53, s48, s51
	s_mul_i32 s51, s48, s51
	s_add_u32 s50, s50, s51
	s_mul_hi_u32 s52, s48, s5
	s_addc_u32 s49, s49, s53
	s_addc_u32 s50, s52, 0
	s_mul_i32 s5, s48, s5
	s_add_u32 s5, s49, s5
	s_addc_u32 s49, 0, s50
	s_add_u32 s50, s4, s5
	s_cselect_b64 s[4:5], -1, 0
	s_cmp_lg_u64 s[4:5], 0
	s_addc_u32 s48, s48, s49
	s_mul_i32 s4, s41, s48
	s_mul_hi_u32 s5, s41, s50
	s_add_i32 s4, s5, s4
	s_mul_i32 s47, s47, s50
	s_add_i32 s4, s4, s47
	s_mul_i32 s41, s41, s50
	s_mul_hi_u32 s47, s48, s41
	s_mul_i32 s49, s48, s41
	s_mul_i32 s52, s50, s4
	s_mul_hi_u32 s41, s50, s41
	s_mul_hi_u32 s51, s50, s4
	s_add_u32 s41, s41, s52
	s_addc_u32 s51, 0, s51
	s_add_u32 s41, s41, s49
	s_mul_hi_u32 s5, s48, s4
	s_addc_u32 s41, s51, s47
	s_addc_u32 s5, s5, 0
	s_mul_i32 s4, s48, s4
	s_add_u32 s4, s41, s4
	s_addc_u32 s41, 0, s5
	s_add_u32 s47, s50, s4
	s_cselect_b64 s[4:5], -1, 0
	v_ashrrev_i32_e32 v5, 31, v9
	s_cmp_lg_u64 s[4:5], 0
	v_add_co_u32_e32 v10, vcc, v8, v5
	s_addc_u32 s41, s48, s41
	v_xor_b32_e32 v16, v10, v5
	v_mad_u64_u32 v[10:11], s[4:5], v16, s41, 0
	v_mul_hi_u32 v15, v16, s47
	v_addc_co_u32_e32 v14, vcc, v9, v5, vcc
	v_xor_b32_e32 v17, v14, v5
	v_add_co_u32_e32 v18, vcc, v15, v10
	v_addc_co_u32_e32 v19, vcc, 0, v11, vcc
	v_mad_u64_u32 v[10:11], s[4:5], v17, s47, 0
	v_mad_u64_u32 v[14:15], s[4:5], v17, s41, 0
	v_add_co_u32_e32 v10, vcc, v18, v10
	v_addc_co_u32_e32 v10, vcc, v19, v11, vcc
	v_addc_co_u32_e32 v11, vcc, 0, v15, vcc
	v_add_co_u32_e32 v14, vcc, v10, v14
	v_addc_co_u32_e32 v15, vcc, 0, v11, vcc
	v_mul_lo_u32 v18, s43, v14
	v_mul_lo_u32 v19, s42, v15
	v_mad_u64_u32 v[10:11], s[4:5], s42, v14, 0
	v_xor_b32_e32 v5, s40, v5
	v_add3_u32 v11, v11, v19, v18
	v_sub_u32_e32 v18, v17, v11
	v_mov_b32_e32 v19, s43
	v_sub_co_u32_e32 v10, vcc, v16, v10
	v_subb_co_u32_e64 v16, s[4:5], v18, v19, vcc
	v_subrev_co_u32_e64 v18, s[4:5], s42, v10
	v_subbrev_co_u32_e64 v16, s[4:5], 0, v16, s[4:5]
	v_cmp_le_u32_e64 s[4:5], s43, v16
	v_cndmask_b32_e64 v19, 0, -1, s[4:5]
	v_cmp_le_u32_e64 s[4:5], s42, v18
	v_cndmask_b32_e64 v18, 0, -1, s[4:5]
	v_cmp_eq_u32_e64 s[4:5], s43, v16
	v_cndmask_b32_e64 v16, v19, v18, s[4:5]
	v_add_co_u32_e64 v18, s[4:5], 2, v14
	v_subb_co_u32_e32 v11, vcc, v17, v11, vcc
	v_addc_co_u32_e64 v19, s[4:5], 0, v15, s[4:5]
	v_cmp_le_u32_e32 vcc, s43, v11
	v_add_co_u32_e64 v20, s[4:5], 1, v14
	v_cndmask_b32_e64 v17, 0, -1, vcc
	v_cmp_le_u32_e32 vcc, s42, v10
	v_addc_co_u32_e64 v21, s[4:5], 0, v15, s[4:5]
	v_cndmask_b32_e64 v10, 0, -1, vcc
	v_cmp_eq_u32_e32 vcc, s43, v11
	v_cmp_ne_u32_e64 s[4:5], 0, v16
	v_cndmask_b32_e32 v10, v17, v10, vcc
	v_cndmask_b32_e64 v16, v21, v19, s[4:5]
	v_cmp_ne_u32_e32 vcc, 0, v10
	v_cndmask_b32_e64 v11, v20, v18, s[4:5]
	v_cndmask_b32_e32 v10, v15, v16, vcc
	v_cndmask_b32_e32 v11, v14, v11, vcc
	v_xor_b32_e32 v14, v10, v5
	v_xor_b32_e32 v10, v11, v5
	v_sub_co_u32_e32 v10, vcc, v10, v5
	v_subb_co_u32_e32 v11, vcc, v14, v5, vcc
.LBB62_18:                              ;   in Loop: Header=BB62_16 Depth=2
	s_andn2_saveexec_b64 s[4:5], s[38:39]
	s_cbranch_execz .LBB62_20
; %bb.19:                               ;   in Loop: Header=BB62_16 Depth=2
	v_cvt_f32_u32_e32 v5, s36
	s_sub_i32 s38, 0, s36
	v_rcp_iflag_f32_e32 v5, v5
	v_mul_f32_e32 v5, 0x4f7ffffe, v5
	v_cvt_u32_f32_e32 v5, v5
	v_mul_lo_u32 v10, s38, v5
	v_mul_hi_u32 v10, v5, v10
	v_add_u32_e32 v5, v5, v10
	v_mul_hi_u32 v5, v8, v5
	v_mul_lo_u32 v10, v5, s36
	v_add_u32_e32 v11, 1, v5
	v_sub_u32_e32 v10, v8, v10
	v_subrev_u32_e32 v14, s36, v10
	v_cmp_le_u32_e32 vcc, s36, v10
	v_cndmask_b32_e32 v10, v10, v14, vcc
	v_cndmask_b32_e32 v5, v5, v11, vcc
	v_add_u32_e32 v11, 1, v5
	v_cmp_le_u32_e32 vcc, s36, v10
	v_cndmask_b32_e32 v10, v5, v11, vcc
	v_mov_b32_e32 v11, v4
.LBB62_20:                              ;   in Loop: Header=BB62_16 Depth=2
	s_or_b64 exec, exec, s[4:5]
	v_mul_lo_u32 v5, v11, s36
	v_mul_lo_u32 v16, v10, s37
	v_mad_u64_u32 v[14:15], s[4:5], v10, s36, 0
	s_load_dwordx2 s[4:5], s[34:35], 0xc8
	s_add_i32 s46, s46, -1
	v_add3_u32 v5, v15, v16, v5
	v_sub_co_u32_e32 v8, vcc, v8, v14
	v_subb_co_u32_e32 v5, vcc, v9, v5, vcc
	s_waitcnt lgkmcnt(0)
	v_mul_lo_u32 v5, s4, v5
	v_mul_lo_u32 v9, s5, v8
	v_mad_u64_u32 v[6:7], s[4:5], s4, v8, v[6:7]
	s_add_u32 s34, s34, -8
	s_addc_u32 s35, s35, -1
	s_cmp_gt_u32 s46, 2
	v_add3_u32 v7, v9, v7, v5
	s_cbranch_scc0 .LBB62_22
; %bb.21:                               ;   in Loop: Header=BB62_16 Depth=2
	v_mov_b32_e32 v8, v10
	v_mov_b32_e32 v9, v11
	s_branch .LBB62_16
.LBB62_22:                              ;   in Loop: Header=BB62_15 Depth=1
	v_mov_b32_e32 v8, s24
	v_mov_b32_e32 v9, s25
	v_mul_lo_u32 v5, s22, v11
	v_mul_lo_u32 v11, s23, v10
	v_mad_u64_u32 v[8:9], s[4:5], s22, v10, v[8:9]
	v_add3_u32 v9, v11, v9, v5
	v_add_co_u32_e32 v5, vcc, v8, v6
	v_addc_co_u32_e32 v6, vcc, v9, v7, vcc
	global_load_ubyte v5, v[5:6], off
	v_mov_b32_e32 v6, s27
	s_waitcnt vmcnt(0)
	v_and_b32_e32 v5, 0xffff, v5
	v_cmp_le_i64_e32 vcc, s[10:11], v[5:6]
	v_cmp_ge_i64_e64 s[4:5], s[12:13], v[5:6]
	s_and_b64 s[4:5], vcc, s[4:5]
	s_and_saveexec_b64 s[34:35], s[4:5]
	s_cbranch_execz .LBB62_14
; %bb.23:                               ;   in Loop: Header=BB62_15 Depth=1
	v_mov_b32_e32 v6, s11
	v_subrev_co_u32_e32 v5, vcc, s10, v5
	v_subb_co_u32_e32 v6, vcc, 0, v6, vcc
	v_mul_lo_u32 v8, v6, s8
	v_mul_lo_u32 v9, v5, s9
	v_mad_u64_u32 v[6:7], s[4:5], v5, s8, 0
	v_add3_u32 v7, v7, v9, v8
	v_or_b32_e32 v5, s44, v7
	v_cmp_ne_u64_e32 vcc, 0, v[4:5]
                                        ; implicit-def: $vgpr8_vgpr9
	s_and_saveexec_b64 s[4:5], vcc
	s_xor_b64 s[36:37], exec, s[4:5]
	s_cbranch_execz .LBB62_25
; %bb.24:                               ;   in Loop: Header=BB62_15 Depth=1
	s_ashr_i32 s38, s44, 31
	s_add_u32 s4, s33, s38
	s_mov_b32 s39, s38
	s_addc_u32 s5, s44, s38
	s_xor_b64 s[40:41], s[4:5], s[38:39]
	v_cvt_f32_u32_e32 v5, s40
	v_cvt_f32_u32_e32 v8, s41
	s_sub_u32 s39, 0, s40
	s_subb_u32 s42, 0, s41
	v_ashrrev_i32_e32 v9, 31, v7
	v_mac_f32_e32 v5, 0x4f800000, v8
	v_rcp_f32_e32 v5, v5
	v_mul_f32_e32 v5, 0x5f7ffffc, v5
	v_mul_f32_e32 v8, 0x2f800000, v5
	v_trunc_f32_e32 v8, v8
	v_mac_f32_e32 v5, 0xcf800000, v8
	v_cvt_u32_f32_e32 v8, v8
	v_cvt_u32_f32_e32 v5, v5
	v_readfirstlane_b32 s43, v8
	v_readfirstlane_b32 s4, v5
	s_mul_i32 s5, s39, s43
	s_mul_hi_u32 s47, s39, s4
	s_mul_i32 s46, s42, s4
	s_add_i32 s5, s47, s5
	s_add_i32 s5, s5, s46
	s_mul_i32 s48, s39, s4
	s_mul_i32 s47, s4, s5
	s_mul_hi_u32 s49, s4, s48
	s_mul_hi_u32 s46, s4, s5
	s_add_u32 s47, s49, s47
	s_addc_u32 s46, 0, s46
	s_mul_hi_u32 s50, s43, s48
	s_mul_i32 s48, s43, s48
	s_add_u32 s47, s47, s48
	s_mul_hi_u32 s49, s43, s5
	s_addc_u32 s46, s46, s50
	s_addc_u32 s47, s49, 0
	s_mul_i32 s5, s43, s5
	s_add_u32 s5, s46, s5
	s_addc_u32 s46, 0, s47
	s_add_u32 s47, s4, s5
	s_cselect_b64 s[4:5], -1, 0
	s_cmp_lg_u64 s[4:5], 0
	s_addc_u32 s43, s43, s46
	s_mul_i32 s4, s39, s43
	s_mul_hi_u32 s5, s39, s47
	s_add_i32 s4, s5, s4
	s_mul_i32 s42, s42, s47
	s_add_i32 s4, s4, s42
	s_mul_i32 s39, s39, s47
	s_mul_hi_u32 s42, s43, s39
	s_mul_i32 s46, s43, s39
	s_mul_i32 s49, s47, s4
	s_mul_hi_u32 s39, s47, s39
	s_mul_hi_u32 s48, s47, s4
	s_add_u32 s39, s39, s49
	s_addc_u32 s48, 0, s48
	s_add_u32 s39, s39, s46
	s_mul_hi_u32 s5, s43, s4
	s_addc_u32 s39, s48, s42
	s_addc_u32 s5, s5, 0
	s_mul_i32 s4, s43, s4
	s_add_u32 s4, s39, s4
	s_addc_u32 s39, 0, s5
	s_add_u32 s42, s47, s4
	s_cselect_b64 s[4:5], -1, 0
	s_cmp_lg_u64 s[4:5], 0
	v_add_co_u32_e32 v5, vcc, v6, v9
	s_addc_u32 s39, s43, s39
	v_xor_b32_e32 v10, v5, v9
	v_mad_u64_u32 v[5:6], s[4:5], v10, s39, 0
	v_mul_hi_u32 v8, v10, s42
	v_addc_co_u32_e32 v7, vcc, v7, v9, vcc
	v_xor_b32_e32 v11, v7, v9
	v_add_co_u32_e32 v14, vcc, v8, v5
	v_addc_co_u32_e32 v15, vcc, 0, v6, vcc
	v_mad_u64_u32 v[5:6], s[4:5], v11, s42, 0
	v_mad_u64_u32 v[7:8], s[4:5], v11, s39, 0
	v_add_co_u32_e32 v5, vcc, v14, v5
	v_addc_co_u32_e32 v5, vcc, v15, v6, vcc
	v_addc_co_u32_e32 v6, vcc, 0, v8, vcc
	v_add_co_u32_e32 v7, vcc, v5, v7
	v_addc_co_u32_e32 v5, vcc, 0, v6, vcc
	v_mul_lo_u32 v8, s41, v7
	v_mul_lo_u32 v14, s40, v5
	v_mad_u64_u32 v[5:6], s[4:5], s40, v7, 0
	v_add3_u32 v6, v6, v14, v8
	v_sub_u32_e32 v8, v11, v6
	v_mov_b32_e32 v14, s41
	v_sub_co_u32_e32 v5, vcc, v10, v5
	v_subb_co_u32_e64 v8, s[4:5], v8, v14, vcc
	v_subrev_co_u32_e64 v10, s[4:5], s40, v5
	v_subbrev_co_u32_e64 v8, s[4:5], 0, v8, s[4:5]
	v_cmp_le_u32_e64 s[4:5], s41, v8
	v_subb_co_u32_e32 v6, vcc, v11, v6, vcc
	v_cndmask_b32_e64 v14, 0, -1, s[4:5]
	v_cmp_le_u32_e64 s[4:5], s40, v10
	v_cmp_le_u32_e32 vcc, s41, v6
	v_cndmask_b32_e64 v10, 0, -1, s[4:5]
	v_cmp_eq_u32_e64 s[4:5], s41, v8
	v_cndmask_b32_e64 v11, 0, -1, vcc
	v_cmp_le_u32_e32 vcc, s40, v5
	v_cndmask_b32_e64 v8, v14, v10, s[4:5]
	v_cndmask_b32_e64 v5, 0, -1, vcc
	v_cmp_eq_u32_e32 vcc, s41, v6
	v_add_co_u32_e64 v10, s[4:5], 2, v7
	v_add_co_u32_e64 v14, s[4:5], 1, v7
	v_cndmask_b32_e32 v5, v11, v5, vcc
	v_cmp_ne_u32_e32 vcc, 0, v8
	v_cndmask_b32_e32 v6, v14, v10, vcc
	v_cmp_ne_u32_e32 vcc, 0, v5
	v_cndmask_b32_e32 v5, v7, v6, vcc
	v_xor_b32_e32 v6, s38, v9
	v_xor_b32_e32 v5, v5, v6
	v_sub_co_u32_e32 v8, vcc, v5, v6
                                        ; implicit-def: $vgpr6_vgpr7
.LBB62_25:                              ;   in Loop: Header=BB62_15 Depth=1
	s_andn2_saveexec_b64 s[4:5], s[36:37]
	s_cbranch_execz .LBB62_27
; %bb.26:                               ;   in Loop: Header=BB62_15 Depth=1
	v_cvt_f32_u32_e32 v5, s33
	s_sub_i32 s36, 0, s33
	v_rcp_iflag_f32_e32 v5, v5
	v_mul_f32_e32 v5, 0x4f7ffffe, v5
	v_cvt_u32_f32_e32 v5, v5
	v_mul_lo_u32 v7, s36, v5
	v_mul_hi_u32 v7, v5, v7
	v_add_u32_e32 v5, v5, v7
	v_mul_hi_u32 v5, v6, v5
	v_mul_lo_u32 v7, v5, s33
	v_add_u32_e32 v8, 1, v5
	v_sub_u32_e32 v6, v6, v7
	v_subrev_u32_e32 v7, s33, v6
	v_cmp_le_u32_e32 vcc, s33, v6
	v_cndmask_b32_e32 v6, v6, v7, vcc
	v_cndmask_b32_e32 v5, v5, v8, vcc
	v_add_u32_e32 v7, 1, v5
	v_cmp_le_u32_e32 vcc, s33, v6
	v_cndmask_b32_e32 v8, v5, v7, vcc
.LBB62_27:                              ;   in Loop: Header=BB62_15 Depth=1
	s_or_b64 exec, exec, s[4:5]
	v_ashrrev_i32_e32 v9, 31, v8
	v_cmp_eq_u64_e32 vcc, s[8:9], v[8:9]
	s_mov_b64 s[4:5], 0
	v_subbrev_co_u32_e32 v5, vcc, 0, v8, vcc
	v_add_u32_e32 v8, 0, v5
	v_and_b32_e32 v6, -4, v8
	ds_read_b32 v7, v6
	v_and_b32_e32 v5, 3, v8
	v_sub_u32_e32 v9, 0, v5
	v_lshlrev_b32_e32 v5, 3, v5
	v_lshlrev_b32_e64 v6, v5, s26
	v_not_b32_e32 v6, v6
	v_add_u32_e32 v8, v8, v9
.LBB62_28:                              ;   Parent Loop BB62_15 Depth=1
                                        ; =>  This Inner Loop Header: Depth=2
	s_waitcnt lgkmcnt(0)
	v_lshrrev_b32_e32 v9, v5, v7
	v_add_u32_e32 v9, 1, v9
	v_and_b32_e32 v10, v7, v6
	v_and_b32_e32 v9, 0xff, v9
	v_lshl_or_b32 v9, v9, v5, v10
	ds_cmpst_rtn_b32 v9, v8, v7, v9
	s_waitcnt lgkmcnt(0)
	v_cmp_eq_u32_e32 vcc, v7, v9
	s_or_b64 s[4:5], vcc, s[4:5]
	v_mov_b32_e32 v7, v9
	s_andn2_b64 exec, exec, s[4:5]
	s_cbranch_execnz .LBB62_28
	s_branch .LBB62_14
.LBB62_29:
	s_or_b64 exec, exec, s[6:7]
; %bb.30:
	s_barrier
	s_and_saveexec_b64 s[2:3], s[0:1]
	s_cbranch_execz .LBB62_35
; %bb.31:
	v_mov_b32_e32 v2, s16
	s_mov_b64 s[0:1], 0
	v_mov_b32_e32 v3, s17
	s_movk_i32 s4, 0xff
.LBB62_32:                              ; =>This Loop Header: Depth=1
                                        ;     Child Loop BB62_33 Depth 2
	v_mad_u64_u32 v[4:5], s[2:3], v0, s20, v[2:3]
	v_mul_lo_u32 v6, v0, s21
	v_mul_lo_u32 v7, v1, s20
	v_add3_u32 v5, v7, v5, v6
	v_and_b32_e32 v6, 3, v4
	v_sub_co_u32_e32 v7, vcc, 0, v6
	v_subb_co_u32_e64 v8, s[2:3], 0, 0, vcc
	v_add_co_u32_e32 v4, vcc, v4, v7
	v_addc_co_u32_e32 v5, vcc, v5, v8, vcc
	global_load_dword v7, v[4:5], off
	v_add_u32_e32 v8, 0, v0
	ds_read_u8 v8, v8
	v_lshlrev_b32_e32 v9, 3, v6
	v_lshlrev_b32_e64 v6, v9, s4
	v_not_b32_e32 v10, v6
	s_mov_b64 s[2:3], 0
.LBB62_33:                              ;   Parent Loop BB62_32 Depth=1
                                        ; =>  This Inner Loop Header: Depth=2
	s_waitcnt vmcnt(0)
	v_lshrrev_b32_e32 v6, v9, v7
	s_waitcnt lgkmcnt(0)
	v_add_u16_e32 v6, v8, v6
	v_and_b32_e32 v11, v7, v10
	v_and_b32_e32 v6, 0xff, v6
	v_lshl_or_b32 v6, v6, v9, v11
	global_atomic_cmpswap v6, v[4:5], v[6:7], off glc
	s_waitcnt vmcnt(0)
	v_cmp_eq_u32_e32 vcc, v7, v6
	s_or_b64 s[2:3], vcc, s[2:3]
	v_mov_b32_e32 v7, v6
	s_andn2_b64 exec, exec, s[2:3]
	s_cbranch_execnz .LBB62_33
; %bb.34:                               ;   in Loop: Header=BB62_32 Depth=1
	s_or_b64 exec, exec, s[2:3]
	v_add_co_u32_e32 v0, vcc, v0, v12
	v_addc_co_u32_e32 v1, vcc, 0, v1, vcc
	v_cmp_le_i64_e32 vcc, s[18:19], v[0:1]
	s_or_b64 s[0:1], vcc, s[0:1]
	s_andn2_b64 exec, exec, s[0:1]
	s_cbranch_execnz .LBB62_32
.LBB62_35:
	s_endpgm
	.section	.rodata,"a",@progbits
	.p2align	6, 0x0
	.amdhsa_kernel _ZN2at4cuda17kernelHistogram1DIhhlLi1ELi2ELin1ELNS0_23CUDAHistogramMemoryTypeE0EZNS0_21CUDA_tensor_histogramIhhLb0EEEbNS_6TensorES4_S4_lNS_14AccumulateTypeIT0_Lb1EE4typeES8_NS0_13TensorArgTypeES9_S9_EUllE0_EEvNS0_6detail10TensorInfoIT_T1_EESF_NSC_IKS6_SE_EElS8_S8_SE_T6_
		.amdhsa_group_segment_fixed_size 0
		.amdhsa_private_segment_fixed_size 0
		.amdhsa_kernarg_size 1544
		.amdhsa_user_sgpr_count 6
		.amdhsa_user_sgpr_private_segment_buffer 1
		.amdhsa_user_sgpr_dispatch_ptr 0
		.amdhsa_user_sgpr_queue_ptr 0
		.amdhsa_user_sgpr_kernarg_segment_ptr 1
		.amdhsa_user_sgpr_dispatch_id 0
		.amdhsa_user_sgpr_flat_scratch_init 0
		.amdhsa_user_sgpr_private_segment_size 0
		.amdhsa_uses_dynamic_stack 0
		.amdhsa_system_sgpr_private_segment_wavefront_offset 0
		.amdhsa_system_sgpr_workgroup_id_x 1
		.amdhsa_system_sgpr_workgroup_id_y 0
		.amdhsa_system_sgpr_workgroup_id_z 0
		.amdhsa_system_sgpr_workgroup_info 0
		.amdhsa_system_vgpr_workitem_id 0
		.amdhsa_next_free_vgpr 22
		.amdhsa_next_free_sgpr 54
		.amdhsa_reserve_vcc 1
		.amdhsa_reserve_flat_scratch 0
		.amdhsa_float_round_mode_32 0
		.amdhsa_float_round_mode_16_64 0
		.amdhsa_float_denorm_mode_32 3
		.amdhsa_float_denorm_mode_16_64 3
		.amdhsa_dx10_clamp 1
		.amdhsa_ieee_mode 1
		.amdhsa_fp16_overflow 0
		.amdhsa_exception_fp_ieee_invalid_op 0
		.amdhsa_exception_fp_denorm_src 0
		.amdhsa_exception_fp_ieee_div_zero 0
		.amdhsa_exception_fp_ieee_overflow 0
		.amdhsa_exception_fp_ieee_underflow 0
		.amdhsa_exception_fp_ieee_inexact 0
		.amdhsa_exception_int_div_zero 0
	.end_amdhsa_kernel
	.section	.text._ZN2at4cuda17kernelHistogram1DIhhlLi1ELi2ELin1ELNS0_23CUDAHistogramMemoryTypeE0EZNS0_21CUDA_tensor_histogramIhhLb0EEEbNS_6TensorES4_S4_lNS_14AccumulateTypeIT0_Lb1EE4typeES8_NS0_13TensorArgTypeES9_S9_EUllE0_EEvNS0_6detail10TensorInfoIT_T1_EESF_NSC_IKS6_SE_EElS8_S8_SE_T6_,"axG",@progbits,_ZN2at4cuda17kernelHistogram1DIhhlLi1ELi2ELin1ELNS0_23CUDAHistogramMemoryTypeE0EZNS0_21CUDA_tensor_histogramIhhLb0EEEbNS_6TensorES4_S4_lNS_14AccumulateTypeIT0_Lb1EE4typeES8_NS0_13TensorArgTypeES9_S9_EUllE0_EEvNS0_6detail10TensorInfoIT_T1_EESF_NSC_IKS6_SE_EElS8_S8_SE_T6_,comdat
.Lfunc_end62:
	.size	_ZN2at4cuda17kernelHistogram1DIhhlLi1ELi2ELin1ELNS0_23CUDAHistogramMemoryTypeE0EZNS0_21CUDA_tensor_histogramIhhLb0EEEbNS_6TensorES4_S4_lNS_14AccumulateTypeIT0_Lb1EE4typeES8_NS0_13TensorArgTypeES9_S9_EUllE0_EEvNS0_6detail10TensorInfoIT_T1_EESF_NSC_IKS6_SE_EElS8_S8_SE_T6_, .Lfunc_end62-_ZN2at4cuda17kernelHistogram1DIhhlLi1ELi2ELin1ELNS0_23CUDAHistogramMemoryTypeE0EZNS0_21CUDA_tensor_histogramIhhLb0EEEbNS_6TensorES4_S4_lNS_14AccumulateTypeIT0_Lb1EE4typeES8_NS0_13TensorArgTypeES9_S9_EUllE0_EEvNS0_6detail10TensorInfoIT_T1_EESF_NSC_IKS6_SE_EElS8_S8_SE_T6_
                                        ; -- End function
	.set _ZN2at4cuda17kernelHistogram1DIhhlLi1ELi2ELin1ELNS0_23CUDAHistogramMemoryTypeE0EZNS0_21CUDA_tensor_histogramIhhLb0EEEbNS_6TensorES4_S4_lNS_14AccumulateTypeIT0_Lb1EE4typeES8_NS0_13TensorArgTypeES9_S9_EUllE0_EEvNS0_6detail10TensorInfoIT_T1_EESF_NSC_IKS6_SE_EElS8_S8_SE_T6_.num_vgpr, 22
	.set _ZN2at4cuda17kernelHistogram1DIhhlLi1ELi2ELin1ELNS0_23CUDAHistogramMemoryTypeE0EZNS0_21CUDA_tensor_histogramIhhLb0EEEbNS_6TensorES4_S4_lNS_14AccumulateTypeIT0_Lb1EE4typeES8_NS0_13TensorArgTypeES9_S9_EUllE0_EEvNS0_6detail10TensorInfoIT_T1_EESF_NSC_IKS6_SE_EElS8_S8_SE_T6_.num_agpr, 0
	.set _ZN2at4cuda17kernelHistogram1DIhhlLi1ELi2ELin1ELNS0_23CUDAHistogramMemoryTypeE0EZNS0_21CUDA_tensor_histogramIhhLb0EEEbNS_6TensorES4_S4_lNS_14AccumulateTypeIT0_Lb1EE4typeES8_NS0_13TensorArgTypeES9_S9_EUllE0_EEvNS0_6detail10TensorInfoIT_T1_EESF_NSC_IKS6_SE_EElS8_S8_SE_T6_.numbered_sgpr, 54
	.set _ZN2at4cuda17kernelHistogram1DIhhlLi1ELi2ELin1ELNS0_23CUDAHistogramMemoryTypeE0EZNS0_21CUDA_tensor_histogramIhhLb0EEEbNS_6TensorES4_S4_lNS_14AccumulateTypeIT0_Lb1EE4typeES8_NS0_13TensorArgTypeES9_S9_EUllE0_EEvNS0_6detail10TensorInfoIT_T1_EESF_NSC_IKS6_SE_EElS8_S8_SE_T6_.num_named_barrier, 0
	.set _ZN2at4cuda17kernelHistogram1DIhhlLi1ELi2ELin1ELNS0_23CUDAHistogramMemoryTypeE0EZNS0_21CUDA_tensor_histogramIhhLb0EEEbNS_6TensorES4_S4_lNS_14AccumulateTypeIT0_Lb1EE4typeES8_NS0_13TensorArgTypeES9_S9_EUllE0_EEvNS0_6detail10TensorInfoIT_T1_EESF_NSC_IKS6_SE_EElS8_S8_SE_T6_.private_seg_size, 0
	.set _ZN2at4cuda17kernelHistogram1DIhhlLi1ELi2ELin1ELNS0_23CUDAHistogramMemoryTypeE0EZNS0_21CUDA_tensor_histogramIhhLb0EEEbNS_6TensorES4_S4_lNS_14AccumulateTypeIT0_Lb1EE4typeES8_NS0_13TensorArgTypeES9_S9_EUllE0_EEvNS0_6detail10TensorInfoIT_T1_EESF_NSC_IKS6_SE_EElS8_S8_SE_T6_.uses_vcc, 1
	.set _ZN2at4cuda17kernelHistogram1DIhhlLi1ELi2ELin1ELNS0_23CUDAHistogramMemoryTypeE0EZNS0_21CUDA_tensor_histogramIhhLb0EEEbNS_6TensorES4_S4_lNS_14AccumulateTypeIT0_Lb1EE4typeES8_NS0_13TensorArgTypeES9_S9_EUllE0_EEvNS0_6detail10TensorInfoIT_T1_EESF_NSC_IKS6_SE_EElS8_S8_SE_T6_.uses_flat_scratch, 0
	.set _ZN2at4cuda17kernelHistogram1DIhhlLi1ELi2ELin1ELNS0_23CUDAHistogramMemoryTypeE0EZNS0_21CUDA_tensor_histogramIhhLb0EEEbNS_6TensorES4_S4_lNS_14AccumulateTypeIT0_Lb1EE4typeES8_NS0_13TensorArgTypeES9_S9_EUllE0_EEvNS0_6detail10TensorInfoIT_T1_EESF_NSC_IKS6_SE_EElS8_S8_SE_T6_.has_dyn_sized_stack, 0
	.set _ZN2at4cuda17kernelHistogram1DIhhlLi1ELi2ELin1ELNS0_23CUDAHistogramMemoryTypeE0EZNS0_21CUDA_tensor_histogramIhhLb0EEEbNS_6TensorES4_S4_lNS_14AccumulateTypeIT0_Lb1EE4typeES8_NS0_13TensorArgTypeES9_S9_EUllE0_EEvNS0_6detail10TensorInfoIT_T1_EESF_NSC_IKS6_SE_EElS8_S8_SE_T6_.has_recursion, 0
	.set _ZN2at4cuda17kernelHistogram1DIhhlLi1ELi2ELin1ELNS0_23CUDAHistogramMemoryTypeE0EZNS0_21CUDA_tensor_histogramIhhLb0EEEbNS_6TensorES4_S4_lNS_14AccumulateTypeIT0_Lb1EE4typeES8_NS0_13TensorArgTypeES9_S9_EUllE0_EEvNS0_6detail10TensorInfoIT_T1_EESF_NSC_IKS6_SE_EElS8_S8_SE_T6_.has_indirect_call, 0
	.section	.AMDGPU.csdata,"",@progbits
; Kernel info:
; codeLenInByte = 2644
; TotalNumSgprs: 58
; NumVgprs: 22
; ScratchSize: 0
; MemoryBound: 0
; FloatMode: 240
; IeeeMode: 1
; LDSByteSize: 0 bytes/workgroup (compile time only)
; SGPRBlocks: 7
; VGPRBlocks: 5
; NumSGPRsForWavesPerEU: 58
; NumVGPRsForWavesPerEU: 22
; Occupancy: 10
; WaveLimiterHint : 1
; COMPUTE_PGM_RSRC2:SCRATCH_EN: 0
; COMPUTE_PGM_RSRC2:USER_SGPR: 6
; COMPUTE_PGM_RSRC2:TRAP_HANDLER: 0
; COMPUTE_PGM_RSRC2:TGID_X_EN: 1
; COMPUTE_PGM_RSRC2:TGID_Y_EN: 0
; COMPUTE_PGM_RSRC2:TGID_Z_EN: 0
; COMPUTE_PGM_RSRC2:TIDIG_COMP_CNT: 0
	.section	.text._ZN2at4cuda17kernelHistogram1DIhhlLi1ELi2ELin1ELNS0_23CUDAHistogramMemoryTypeE1EZNS0_21CUDA_tensor_histogramIhhLb0EEEbNS_6TensorES4_S4_lNS_14AccumulateTypeIT0_Lb1EE4typeES8_NS0_13TensorArgTypeES9_S9_EUllE0_EEvNS0_6detail10TensorInfoIT_T1_EESF_NSC_IKS6_SE_EElS8_S8_SE_T6_,"axG",@progbits,_ZN2at4cuda17kernelHistogram1DIhhlLi1ELi2ELin1ELNS0_23CUDAHistogramMemoryTypeE1EZNS0_21CUDA_tensor_histogramIhhLb0EEEbNS_6TensorES4_S4_lNS_14AccumulateTypeIT0_Lb1EE4typeES8_NS0_13TensorArgTypeES9_S9_EUllE0_EEvNS0_6detail10TensorInfoIT_T1_EESF_NSC_IKS6_SE_EElS8_S8_SE_T6_,comdat
	.protected	_ZN2at4cuda17kernelHistogram1DIhhlLi1ELi2ELin1ELNS0_23CUDAHistogramMemoryTypeE1EZNS0_21CUDA_tensor_histogramIhhLb0EEEbNS_6TensorES4_S4_lNS_14AccumulateTypeIT0_Lb1EE4typeES8_NS0_13TensorArgTypeES9_S9_EUllE0_EEvNS0_6detail10TensorInfoIT_T1_EESF_NSC_IKS6_SE_EElS8_S8_SE_T6_ ; -- Begin function _ZN2at4cuda17kernelHistogram1DIhhlLi1ELi2ELin1ELNS0_23CUDAHistogramMemoryTypeE1EZNS0_21CUDA_tensor_histogramIhhLb0EEEbNS_6TensorES4_S4_lNS_14AccumulateTypeIT0_Lb1EE4typeES8_NS0_13TensorArgTypeES9_S9_EUllE0_EEvNS0_6detail10TensorInfoIT_T1_EESF_NSC_IKS6_SE_EElS8_S8_SE_T6_
	.globl	_ZN2at4cuda17kernelHistogram1DIhhlLi1ELi2ELin1ELNS0_23CUDAHistogramMemoryTypeE1EZNS0_21CUDA_tensor_histogramIhhLb0EEEbNS_6TensorES4_S4_lNS_14AccumulateTypeIT0_Lb1EE4typeES8_NS0_13TensorArgTypeES9_S9_EUllE0_EEvNS0_6detail10TensorInfoIT_T1_EESF_NSC_IKS6_SE_EElS8_S8_SE_T6_
	.p2align	8
	.type	_ZN2at4cuda17kernelHistogram1DIhhlLi1ELi2ELin1ELNS0_23CUDAHistogramMemoryTypeE1EZNS0_21CUDA_tensor_histogramIhhLb0EEEbNS_6TensorES4_S4_lNS_14AccumulateTypeIT0_Lb1EE4typeES8_NS0_13TensorArgTypeES9_S9_EUllE0_EEvNS0_6detail10TensorInfoIT_T1_EESF_NSC_IKS6_SE_EElS8_S8_SE_T6_,@function
_ZN2at4cuda17kernelHistogram1DIhhlLi1ELi2ELin1ELNS0_23CUDAHistogramMemoryTypeE1EZNS0_21CUDA_tensor_histogramIhhLb0EEEbNS_6TensorES4_S4_lNS_14AccumulateTypeIT0_Lb1EE4typeES8_NS0_13TensorArgTypeES9_S9_EUllE0_EEvNS0_6detail10TensorInfoIT_T1_EESF_NSC_IKS6_SE_EElS8_S8_SE_T6_: ; @_ZN2at4cuda17kernelHistogram1DIhhlLi1ELi2ELin1ELNS0_23CUDAHistogramMemoryTypeE1EZNS0_21CUDA_tensor_histogramIhhLb0EEEbNS_6TensorES4_S4_lNS_14AccumulateTypeIT0_Lb1EE4typeES8_NS0_13TensorArgTypeES9_S9_EUllE0_EEvNS0_6detail10TensorInfoIT_T1_EESF_NSC_IKS6_SE_EElS8_S8_SE_T6_
; %bb.0:
	s_load_dword s2, s[4:5], 0x514
	s_load_dwordx8 s[8:15], s[4:5], 0x4e0
	s_add_u32 s0, s4, 0x508
	s_addc_u32 s1, s5, 0
	v_mov_b32_e32 v2, 0
	s_waitcnt lgkmcnt(0)
	s_and_b32 s2, s2, 0xffff
	s_mul_i32 s6, s6, s2
	v_add_u32_e32 v0, s6, v0
	v_mov_b32_e32 v1, v2
	v_cmp_gt_i64_e32 vcc, s[14:15], v[0:1]
	s_and_saveexec_b64 s[6:7], vcc
	s_cbranch_execz .LBB63_17
; %bb.1:
	s_load_dword s3, s[4:5], 0x4d8
	s_add_u32 s22, s4, 0x340
	s_load_dword s23, s[0:1], 0x0
	s_addc_u32 s24, s5, 0
	s_load_dwordx2 s[6:7], s[4:5], 0x0
	s_load_dwordx2 s[16:17], s[4:5], 0xd0
	s_load_dwordx2 s[18:19], s[4:5], 0x410
	s_load_dwordx2 s[20:21], s[4:5], 0x340
	s_waitcnt lgkmcnt(0)
	s_cmp_gt_i32 s3, 1
	s_cselect_b64 s[0:1], -1, 0
	s_sub_u32 s33, s12, s10
	s_subb_u32 s38, s13, s11
	s_mov_b32 s5, 0
	s_add_i32 s4, s3, -1
	s_mul_i32 s39, s23, s2
	s_add_i32 s40, s3, 1
	s_lshl_b64 s[2:3], s[4:5], 3
	s_add_u32 s2, s22, s2
	s_addc_u32 s3, s24, s3
	s_add_u32 s22, s2, 8
	v_cndmask_b32_e64 v3, 0, 1, s[0:1]
	s_addc_u32 s23, s3, 0
	s_mov_b64 s[24:25], 0
	s_movk_i32 s4, 0xff
	v_cmp_ne_u32_e64 s[0:1], 1, v3
	s_branch .LBB63_3
.LBB63_2:                               ;   in Loop: Header=BB63_3 Depth=1
	s_or_b64 exec, exec, s[26:27]
	v_add_co_u32_e32 v0, vcc, s39, v0
	v_addc_co_u32_e32 v1, vcc, 0, v1, vcc
	v_cmp_le_i64_e32 vcc, s[14:15], v[0:1]
	s_or_b64 s[24:25], vcc, s[24:25]
	s_andn2_b64 exec, exec, s[24:25]
	s_cbranch_execz .LBB63_17
.LBB63_3:                               ; =>This Loop Header: Depth=1
                                        ;     Child Loop BB63_4 Depth 2
                                        ;     Child Loop BB63_16 Depth 2
	v_mov_b32_e32 v4, 0
	v_mov_b32_e32 v7, v1
	;; [unrolled: 1-line block ×4, first 2 shown]
	s_and_b64 vcc, exec, s[0:1]
	s_mov_b64 s[26:27], s[22:23]
	s_mov_b32 s41, s40
	v_mov_b32_e32 v6, v0
	v_mov_b32_e32 v8, v0
	s_cbranch_vccnz .LBB63_10
.LBB63_4:                               ;   Parent Loop BB63_3 Depth=1
                                        ; =>  This Inner Loop Header: Depth=2
	s_load_dwordx2 s[28:29], s[26:27], 0x0
                                        ; implicit-def: $vgpr8_vgpr9
	s_waitcnt lgkmcnt(0)
	v_or_b32_e32 v3, s29, v7
	v_cmp_ne_u64_e32 vcc, 0, v[2:3]
	s_and_saveexec_b64 s[2:3], vcc
	s_xor_b64 s[30:31], exec, s[2:3]
	s_cbranch_execz .LBB63_6
; %bb.5:                                ;   in Loop: Header=BB63_4 Depth=2
	s_ashr_i32 s34, s29, 31
	s_add_u32 s2, s28, s34
	s_mov_b32 s35, s34
	s_addc_u32 s3, s29, s34
	s_xor_b64 s[36:37], s[2:3], s[34:35]
	v_cvt_f32_u32_e32 v3, s36
	v_cvt_f32_u32_e32 v8, s37
	s_sub_u32 s35, 0, s36
	s_subb_u32 s42, 0, s37
	v_mac_f32_e32 v3, 0x4f800000, v8
	v_rcp_f32_e32 v3, v3
	v_mul_f32_e32 v3, 0x5f7ffffc, v3
	v_mul_f32_e32 v8, 0x2f800000, v3
	v_trunc_f32_e32 v8, v8
	v_mac_f32_e32 v3, 0xcf800000, v8
	v_cvt_u32_f32_e32 v8, v8
	v_cvt_u32_f32_e32 v3, v3
	v_readfirstlane_b32 s43, v8
	v_readfirstlane_b32 s2, v3
	s_mul_i32 s3, s35, s43
	s_mul_hi_u32 s45, s35, s2
	s_mul_i32 s44, s42, s2
	s_add_i32 s3, s45, s3
	s_add_i32 s3, s3, s44
	s_mul_i32 s46, s35, s2
	s_mul_i32 s45, s2, s3
	s_mul_hi_u32 s47, s2, s46
	s_mul_hi_u32 s44, s2, s3
	s_add_u32 s45, s47, s45
	s_addc_u32 s44, 0, s44
	s_mul_hi_u32 s48, s43, s46
	s_mul_i32 s46, s43, s46
	s_add_u32 s45, s45, s46
	s_mul_hi_u32 s47, s43, s3
	s_addc_u32 s44, s44, s48
	s_addc_u32 s45, s47, 0
	s_mul_i32 s3, s43, s3
	s_add_u32 s3, s44, s3
	s_addc_u32 s44, 0, s45
	s_add_u32 s45, s2, s3
	s_cselect_b64 s[2:3], -1, 0
	s_cmp_lg_u64 s[2:3], 0
	s_addc_u32 s43, s43, s44
	s_mul_i32 s2, s35, s43
	s_mul_hi_u32 s3, s35, s45
	s_add_i32 s2, s3, s2
	s_mul_i32 s42, s42, s45
	s_add_i32 s2, s2, s42
	s_mul_i32 s35, s35, s45
	s_mul_hi_u32 s42, s43, s35
	s_mul_i32 s44, s43, s35
	s_mul_i32 s47, s45, s2
	s_mul_hi_u32 s35, s45, s35
	s_mul_hi_u32 s46, s45, s2
	s_add_u32 s35, s35, s47
	s_addc_u32 s46, 0, s46
	s_add_u32 s35, s35, s44
	s_mul_hi_u32 s3, s43, s2
	s_addc_u32 s35, s46, s42
	s_addc_u32 s3, s3, 0
	s_mul_i32 s2, s43, s2
	s_add_u32 s2, s35, s2
	s_addc_u32 s35, 0, s3
	s_add_u32 s42, s45, s2
	s_cselect_b64 s[2:3], -1, 0
	v_ashrrev_i32_e32 v3, 31, v7
	s_cmp_lg_u64 s[2:3], 0
	v_add_co_u32_e32 v8, vcc, v6, v3
	s_addc_u32 s35, s43, s35
	v_xor_b32_e32 v12, v8, v3
	v_mad_u64_u32 v[8:9], s[2:3], v12, s35, 0
	v_mul_hi_u32 v11, v12, s42
	v_addc_co_u32_e32 v10, vcc, v7, v3, vcc
	v_xor_b32_e32 v13, v10, v3
	v_add_co_u32_e32 v14, vcc, v11, v8
	v_addc_co_u32_e32 v15, vcc, 0, v9, vcc
	v_mad_u64_u32 v[8:9], s[2:3], v13, s42, 0
	v_mad_u64_u32 v[10:11], s[2:3], v13, s35, 0
	v_add_co_u32_e32 v8, vcc, v14, v8
	v_addc_co_u32_e32 v8, vcc, v15, v9, vcc
	v_addc_co_u32_e32 v9, vcc, 0, v11, vcc
	v_add_co_u32_e32 v10, vcc, v8, v10
	v_addc_co_u32_e32 v11, vcc, 0, v9, vcc
	v_mul_lo_u32 v14, s37, v10
	v_mul_lo_u32 v15, s36, v11
	v_mad_u64_u32 v[8:9], s[2:3], s36, v10, 0
	v_xor_b32_e32 v3, s34, v3
	v_add3_u32 v9, v9, v15, v14
	v_sub_u32_e32 v14, v13, v9
	v_mov_b32_e32 v15, s37
	v_sub_co_u32_e32 v8, vcc, v12, v8
	v_subb_co_u32_e64 v12, s[2:3], v14, v15, vcc
	v_subrev_co_u32_e64 v14, s[2:3], s36, v8
	v_subbrev_co_u32_e64 v12, s[2:3], 0, v12, s[2:3]
	v_cmp_le_u32_e64 s[2:3], s37, v12
	v_cndmask_b32_e64 v15, 0, -1, s[2:3]
	v_cmp_le_u32_e64 s[2:3], s36, v14
	v_cndmask_b32_e64 v14, 0, -1, s[2:3]
	v_cmp_eq_u32_e64 s[2:3], s37, v12
	v_cndmask_b32_e64 v12, v15, v14, s[2:3]
	v_add_co_u32_e64 v14, s[2:3], 2, v10
	v_subb_co_u32_e32 v9, vcc, v13, v9, vcc
	v_addc_co_u32_e64 v15, s[2:3], 0, v11, s[2:3]
	v_cmp_le_u32_e32 vcc, s37, v9
	v_add_co_u32_e64 v16, s[2:3], 1, v10
	v_cndmask_b32_e64 v13, 0, -1, vcc
	v_cmp_le_u32_e32 vcc, s36, v8
	v_addc_co_u32_e64 v17, s[2:3], 0, v11, s[2:3]
	v_cndmask_b32_e64 v8, 0, -1, vcc
	v_cmp_eq_u32_e32 vcc, s37, v9
	v_cmp_ne_u32_e64 s[2:3], 0, v12
	v_cndmask_b32_e32 v8, v13, v8, vcc
	v_cndmask_b32_e64 v12, v17, v15, s[2:3]
	v_cmp_ne_u32_e32 vcc, 0, v8
	v_cndmask_b32_e64 v9, v16, v14, s[2:3]
	v_cndmask_b32_e32 v8, v11, v12, vcc
	v_cndmask_b32_e32 v9, v10, v9, vcc
	v_xor_b32_e32 v10, v8, v3
	v_xor_b32_e32 v8, v9, v3
	v_sub_co_u32_e32 v8, vcc, v8, v3
	v_subb_co_u32_e32 v9, vcc, v10, v3, vcc
.LBB63_6:                               ;   in Loop: Header=BB63_4 Depth=2
	s_andn2_saveexec_b64 s[2:3], s[30:31]
	s_cbranch_execz .LBB63_8
; %bb.7:                                ;   in Loop: Header=BB63_4 Depth=2
	v_cvt_f32_u32_e32 v3, s28
	s_sub_i32 s30, 0, s28
	v_rcp_iflag_f32_e32 v3, v3
	v_mul_f32_e32 v3, 0x4f7ffffe, v3
	v_cvt_u32_f32_e32 v3, v3
	v_mul_lo_u32 v8, s30, v3
	v_mul_hi_u32 v8, v3, v8
	v_add_u32_e32 v3, v3, v8
	v_mul_hi_u32 v3, v6, v3
	v_mul_lo_u32 v8, v3, s28
	v_add_u32_e32 v9, 1, v3
	v_sub_u32_e32 v8, v6, v8
	v_subrev_u32_e32 v10, s28, v8
	v_cmp_le_u32_e32 vcc, s28, v8
	v_cndmask_b32_e32 v8, v8, v10, vcc
	v_cndmask_b32_e32 v3, v3, v9, vcc
	v_add_u32_e32 v9, 1, v3
	v_cmp_le_u32_e32 vcc, s28, v8
	v_cndmask_b32_e32 v8, v3, v9, vcc
	v_mov_b32_e32 v9, v2
.LBB63_8:                               ;   in Loop: Header=BB63_4 Depth=2
	s_or_b64 exec, exec, s[2:3]
	v_mul_lo_u32 v3, v9, s28
	v_mul_lo_u32 v12, v8, s29
	v_mad_u64_u32 v[10:11], s[2:3], v8, s28, 0
	s_load_dwordx2 s[2:3], s[26:27], 0xc8
	s_add_i32 s41, s41, -1
	v_add3_u32 v3, v11, v12, v3
	v_sub_co_u32_e32 v6, vcc, v6, v10
	v_subb_co_u32_e32 v3, vcc, v7, v3, vcc
	s_waitcnt lgkmcnt(0)
	v_mul_lo_u32 v3, s2, v3
	v_mul_lo_u32 v7, s3, v6
	v_mad_u64_u32 v[4:5], s[2:3], s2, v6, v[4:5]
	s_add_u32 s26, s26, -8
	s_addc_u32 s27, s27, -1
	s_cmp_gt_u32 s41, 2
	v_add3_u32 v5, v7, v5, v3
	s_cbranch_scc0 .LBB63_10
; %bb.9:                                ;   in Loop: Header=BB63_4 Depth=2
	v_mov_b32_e32 v6, v8
	v_mov_b32_e32 v7, v9
	s_branch .LBB63_4
.LBB63_10:                              ;   in Loop: Header=BB63_3 Depth=1
	v_mov_b32_e32 v6, s20
	v_mov_b32_e32 v7, s21
	v_mul_lo_u32 v3, s18, v9
	v_mul_lo_u32 v9, s19, v8
	v_mad_u64_u32 v[6:7], s[2:3], s18, v8, v[6:7]
	v_add3_u32 v7, v9, v7, v3
	v_add_co_u32_e32 v3, vcc, v6, v4
	v_addc_co_u32_e32 v4, vcc, v7, v5, vcc
	global_load_ubyte v3, v[3:4], off
	v_mov_b32_e32 v4, s5
	s_waitcnt vmcnt(0)
	v_and_b32_e32 v3, 0xffff, v3
	v_cmp_le_i64_e32 vcc, s[10:11], v[3:4]
	v_cmp_ge_i64_e64 s[2:3], s[12:13], v[3:4]
	s_and_b64 s[2:3], vcc, s[2:3]
	s_and_saveexec_b64 s[26:27], s[2:3]
	s_cbranch_execz .LBB63_2
; %bb.11:                               ;   in Loop: Header=BB63_3 Depth=1
	v_mov_b32_e32 v4, s11
	v_subrev_co_u32_e32 v3, vcc, s10, v3
	v_subb_co_u32_e32 v4, vcc, 0, v4, vcc
	v_mul_lo_u32 v6, v4, s8
	v_mul_lo_u32 v7, v3, s9
	v_mad_u64_u32 v[4:5], s[2:3], v3, s8, 0
	v_add3_u32 v5, v5, v7, v6
	v_or_b32_e32 v3, s38, v5
	v_cmp_ne_u64_e32 vcc, 0, v[2:3]
                                        ; implicit-def: $vgpr6_vgpr7
	s_and_saveexec_b64 s[2:3], vcc
	s_xor_b64 s[28:29], exec, s[2:3]
	s_cbranch_execz .LBB63_13
; %bb.12:                               ;   in Loop: Header=BB63_3 Depth=1
	s_ashr_i32 s30, s38, 31
	s_add_u32 s2, s33, s30
	s_mov_b32 s31, s30
	s_addc_u32 s3, s38, s30
	s_xor_b64 s[34:35], s[2:3], s[30:31]
	v_cvt_f32_u32_e32 v3, s34
	v_cvt_f32_u32_e32 v6, s35
	s_sub_u32 s31, 0, s34
	s_subb_u32 s36, 0, s35
	v_ashrrev_i32_e32 v7, 31, v5
	v_mac_f32_e32 v3, 0x4f800000, v6
	v_rcp_f32_e32 v3, v3
	v_mul_f32_e32 v3, 0x5f7ffffc, v3
	v_mul_f32_e32 v6, 0x2f800000, v3
	v_trunc_f32_e32 v6, v6
	v_mac_f32_e32 v3, 0xcf800000, v6
	v_cvt_u32_f32_e32 v6, v6
	v_cvt_u32_f32_e32 v3, v3
	v_readfirstlane_b32 s37, v6
	v_readfirstlane_b32 s2, v3
	s_mul_i32 s3, s31, s37
	s_mul_hi_u32 s42, s31, s2
	s_mul_i32 s41, s36, s2
	s_add_i32 s3, s42, s3
	s_add_i32 s3, s3, s41
	s_mul_i32 s43, s31, s2
	s_mul_i32 s42, s2, s3
	s_mul_hi_u32 s44, s2, s43
	s_mul_hi_u32 s41, s2, s3
	s_add_u32 s42, s44, s42
	s_addc_u32 s41, 0, s41
	s_mul_hi_u32 s45, s37, s43
	s_mul_i32 s43, s37, s43
	s_add_u32 s42, s42, s43
	s_mul_hi_u32 s44, s37, s3
	s_addc_u32 s41, s41, s45
	s_addc_u32 s42, s44, 0
	s_mul_i32 s3, s37, s3
	s_add_u32 s3, s41, s3
	s_addc_u32 s41, 0, s42
	s_add_u32 s42, s2, s3
	s_cselect_b64 s[2:3], -1, 0
	s_cmp_lg_u64 s[2:3], 0
	s_addc_u32 s37, s37, s41
	s_mul_i32 s2, s31, s37
	s_mul_hi_u32 s3, s31, s42
	s_add_i32 s2, s3, s2
	s_mul_i32 s36, s36, s42
	s_add_i32 s2, s2, s36
	s_mul_i32 s31, s31, s42
	s_mul_hi_u32 s36, s37, s31
	s_mul_i32 s41, s37, s31
	s_mul_i32 s44, s42, s2
	s_mul_hi_u32 s31, s42, s31
	s_mul_hi_u32 s43, s42, s2
	s_add_u32 s31, s31, s44
	s_addc_u32 s43, 0, s43
	s_add_u32 s31, s31, s41
	s_mul_hi_u32 s3, s37, s2
	s_addc_u32 s31, s43, s36
	s_addc_u32 s3, s3, 0
	s_mul_i32 s2, s37, s2
	s_add_u32 s2, s31, s2
	s_addc_u32 s31, 0, s3
	s_add_u32 s36, s42, s2
	s_cselect_b64 s[2:3], -1, 0
	s_cmp_lg_u64 s[2:3], 0
	v_add_co_u32_e32 v3, vcc, v4, v7
	s_addc_u32 s31, s37, s31
	v_xor_b32_e32 v8, v3, v7
	v_mad_u64_u32 v[3:4], s[2:3], v8, s31, 0
	v_mul_hi_u32 v6, v8, s36
	v_addc_co_u32_e32 v5, vcc, v5, v7, vcc
	v_xor_b32_e32 v9, v5, v7
	v_add_co_u32_e32 v10, vcc, v6, v3
	v_addc_co_u32_e32 v11, vcc, 0, v4, vcc
	v_mad_u64_u32 v[3:4], s[2:3], v9, s36, 0
	v_mad_u64_u32 v[5:6], s[2:3], v9, s31, 0
	v_add_co_u32_e32 v3, vcc, v10, v3
	v_addc_co_u32_e32 v3, vcc, v11, v4, vcc
	v_addc_co_u32_e32 v4, vcc, 0, v6, vcc
	v_add_co_u32_e32 v5, vcc, v3, v5
	v_addc_co_u32_e32 v3, vcc, 0, v4, vcc
	v_mul_lo_u32 v6, s35, v5
	v_mul_lo_u32 v10, s34, v3
	v_mad_u64_u32 v[3:4], s[2:3], s34, v5, 0
	v_add3_u32 v4, v4, v10, v6
	v_sub_u32_e32 v6, v9, v4
	v_mov_b32_e32 v10, s35
	v_sub_co_u32_e32 v3, vcc, v8, v3
	v_subb_co_u32_e64 v6, s[2:3], v6, v10, vcc
	v_subrev_co_u32_e64 v8, s[2:3], s34, v3
	v_subbrev_co_u32_e64 v6, s[2:3], 0, v6, s[2:3]
	v_cmp_le_u32_e64 s[2:3], s35, v6
	v_subb_co_u32_e32 v4, vcc, v9, v4, vcc
	v_cndmask_b32_e64 v10, 0, -1, s[2:3]
	v_cmp_le_u32_e64 s[2:3], s34, v8
	v_cmp_le_u32_e32 vcc, s35, v4
	v_cndmask_b32_e64 v8, 0, -1, s[2:3]
	v_cmp_eq_u32_e64 s[2:3], s35, v6
	v_cndmask_b32_e64 v9, 0, -1, vcc
	v_cmp_le_u32_e32 vcc, s34, v3
	v_cndmask_b32_e64 v6, v10, v8, s[2:3]
	v_cndmask_b32_e64 v3, 0, -1, vcc
	v_cmp_eq_u32_e32 vcc, s35, v4
	v_add_co_u32_e64 v8, s[2:3], 2, v5
	v_add_co_u32_e64 v10, s[2:3], 1, v5
	v_cndmask_b32_e32 v3, v9, v3, vcc
	v_cmp_ne_u32_e32 vcc, 0, v6
	v_cndmask_b32_e32 v4, v10, v8, vcc
	v_cmp_ne_u32_e32 vcc, 0, v3
	v_cndmask_b32_e32 v3, v5, v4, vcc
	v_xor_b32_e32 v4, s30, v7
	v_xor_b32_e32 v3, v3, v4
	v_sub_co_u32_e32 v6, vcc, v3, v4
                                        ; implicit-def: $vgpr4_vgpr5
.LBB63_13:                              ;   in Loop: Header=BB63_3 Depth=1
	s_andn2_saveexec_b64 s[2:3], s[28:29]
	s_cbranch_execz .LBB63_15
; %bb.14:                               ;   in Loop: Header=BB63_3 Depth=1
	v_cvt_f32_u32_e32 v3, s33
	s_sub_i32 s28, 0, s33
	v_rcp_iflag_f32_e32 v3, v3
	v_mul_f32_e32 v3, 0x4f7ffffe, v3
	v_cvt_u32_f32_e32 v3, v3
	v_mul_lo_u32 v5, s28, v3
	v_mul_hi_u32 v5, v3, v5
	v_add_u32_e32 v3, v3, v5
	v_mul_hi_u32 v3, v4, v3
	v_mul_lo_u32 v5, v3, s33
	v_add_u32_e32 v6, 1, v3
	v_sub_u32_e32 v4, v4, v5
	v_subrev_u32_e32 v5, s33, v4
	v_cmp_le_u32_e32 vcc, s33, v4
	v_cndmask_b32_e32 v4, v4, v5, vcc
	v_cndmask_b32_e32 v3, v3, v6, vcc
	v_add_u32_e32 v5, 1, v3
	v_cmp_le_u32_e32 vcc, s33, v4
	v_cndmask_b32_e32 v6, v3, v5, vcc
.LBB63_15:                              ;   in Loop: Header=BB63_3 Depth=1
	s_or_b64 exec, exec, s[2:3]
	v_ashrrev_i32_e32 v7, 31, v6
	v_cmp_eq_u64_e32 vcc, s[8:9], v[6:7]
	v_cndmask_b32_e64 v3, 0, 1, vcc
	v_sub_co_u32_e32 v5, vcc, v6, v3
	v_subbrev_co_u32_e32 v3, vcc, 0, v7, vcc
	v_mul_lo_u32 v7, v3, s16
	v_mov_b32_e32 v3, s6
	v_mov_b32_e32 v4, s7
	v_mad_u64_u32 v[3:4], s[2:3], v5, s16, v[3:4]
	v_mul_lo_u32 v6, v5, s17
	v_and_b32_e32 v5, 3, v3
	v_add3_u32 v4, v7, v4, v6
	v_sub_co_u32_e32 v6, vcc, 0, v5
	v_subb_co_u32_e64 v7, s[2:3], 0, 0, vcc
	v_add_co_u32_e32 v3, vcc, v3, v6
	v_addc_co_u32_e32 v4, vcc, v4, v7, vcc
	global_load_dword v6, v[3:4], off
	v_lshlrev_b32_e32 v7, 3, v5
	v_lshlrev_b32_e64 v5, v7, s4
	s_mov_b64 s[2:3], 0
	v_not_b32_e32 v8, v5
.LBB63_16:                              ;   Parent Loop BB63_3 Depth=1
                                        ; =>  This Inner Loop Header: Depth=2
	s_waitcnt vmcnt(0)
	v_lshrrev_b32_e32 v5, v7, v6
	v_add_u32_e32 v5, 1, v5
	v_and_b32_e32 v9, v6, v8
	v_and_b32_e32 v5, 0xff, v5
	v_lshl_or_b32 v5, v5, v7, v9
	global_atomic_cmpswap v5, v[3:4], v[5:6], off glc
	s_waitcnt vmcnt(0)
	v_cmp_eq_u32_e32 vcc, v6, v5
	s_or_b64 s[2:3], vcc, s[2:3]
	v_mov_b32_e32 v6, v5
	s_andn2_b64 exec, exec, s[2:3]
	s_cbranch_execnz .LBB63_16
	s_branch .LBB63_2
.LBB63_17:
	s_endpgm
	.section	.rodata,"a",@progbits
	.p2align	6, 0x0
	.amdhsa_kernel _ZN2at4cuda17kernelHistogram1DIhhlLi1ELi2ELin1ELNS0_23CUDAHistogramMemoryTypeE1EZNS0_21CUDA_tensor_histogramIhhLb0EEEbNS_6TensorES4_S4_lNS_14AccumulateTypeIT0_Lb1EE4typeES8_NS0_13TensorArgTypeES9_S9_EUllE0_EEvNS0_6detail10TensorInfoIT_T1_EESF_NSC_IKS6_SE_EElS8_S8_SE_T6_
		.amdhsa_group_segment_fixed_size 0
		.amdhsa_private_segment_fixed_size 0
		.amdhsa_kernarg_size 1544
		.amdhsa_user_sgpr_count 6
		.amdhsa_user_sgpr_private_segment_buffer 1
		.amdhsa_user_sgpr_dispatch_ptr 0
		.amdhsa_user_sgpr_queue_ptr 0
		.amdhsa_user_sgpr_kernarg_segment_ptr 1
		.amdhsa_user_sgpr_dispatch_id 0
		.amdhsa_user_sgpr_flat_scratch_init 0
		.amdhsa_user_sgpr_private_segment_size 0
		.amdhsa_uses_dynamic_stack 0
		.amdhsa_system_sgpr_private_segment_wavefront_offset 0
		.amdhsa_system_sgpr_workgroup_id_x 1
		.amdhsa_system_sgpr_workgroup_id_y 0
		.amdhsa_system_sgpr_workgroup_id_z 0
		.amdhsa_system_sgpr_workgroup_info 0
		.amdhsa_system_vgpr_workitem_id 0
		.amdhsa_next_free_vgpr 18
		.amdhsa_next_free_sgpr 49
		.amdhsa_reserve_vcc 1
		.amdhsa_reserve_flat_scratch 0
		.amdhsa_float_round_mode_32 0
		.amdhsa_float_round_mode_16_64 0
		.amdhsa_float_denorm_mode_32 3
		.amdhsa_float_denorm_mode_16_64 3
		.amdhsa_dx10_clamp 1
		.amdhsa_ieee_mode 1
		.amdhsa_fp16_overflow 0
		.amdhsa_exception_fp_ieee_invalid_op 0
		.amdhsa_exception_fp_denorm_src 0
		.amdhsa_exception_fp_ieee_div_zero 0
		.amdhsa_exception_fp_ieee_overflow 0
		.amdhsa_exception_fp_ieee_underflow 0
		.amdhsa_exception_fp_ieee_inexact 0
		.amdhsa_exception_int_div_zero 0
	.end_amdhsa_kernel
	.section	.text._ZN2at4cuda17kernelHistogram1DIhhlLi1ELi2ELin1ELNS0_23CUDAHistogramMemoryTypeE1EZNS0_21CUDA_tensor_histogramIhhLb0EEEbNS_6TensorES4_S4_lNS_14AccumulateTypeIT0_Lb1EE4typeES8_NS0_13TensorArgTypeES9_S9_EUllE0_EEvNS0_6detail10TensorInfoIT_T1_EESF_NSC_IKS6_SE_EElS8_S8_SE_T6_,"axG",@progbits,_ZN2at4cuda17kernelHistogram1DIhhlLi1ELi2ELin1ELNS0_23CUDAHistogramMemoryTypeE1EZNS0_21CUDA_tensor_histogramIhhLb0EEEbNS_6TensorES4_S4_lNS_14AccumulateTypeIT0_Lb1EE4typeES8_NS0_13TensorArgTypeES9_S9_EUllE0_EEvNS0_6detail10TensorInfoIT_T1_EESF_NSC_IKS6_SE_EElS8_S8_SE_T6_,comdat
.Lfunc_end63:
	.size	_ZN2at4cuda17kernelHistogram1DIhhlLi1ELi2ELin1ELNS0_23CUDAHistogramMemoryTypeE1EZNS0_21CUDA_tensor_histogramIhhLb0EEEbNS_6TensorES4_S4_lNS_14AccumulateTypeIT0_Lb1EE4typeES8_NS0_13TensorArgTypeES9_S9_EUllE0_EEvNS0_6detail10TensorInfoIT_T1_EESF_NSC_IKS6_SE_EElS8_S8_SE_T6_, .Lfunc_end63-_ZN2at4cuda17kernelHistogram1DIhhlLi1ELi2ELin1ELNS0_23CUDAHistogramMemoryTypeE1EZNS0_21CUDA_tensor_histogramIhhLb0EEEbNS_6TensorES4_S4_lNS_14AccumulateTypeIT0_Lb1EE4typeES8_NS0_13TensorArgTypeES9_S9_EUllE0_EEvNS0_6detail10TensorInfoIT_T1_EESF_NSC_IKS6_SE_EElS8_S8_SE_T6_
                                        ; -- End function
	.set _ZN2at4cuda17kernelHistogram1DIhhlLi1ELi2ELin1ELNS0_23CUDAHistogramMemoryTypeE1EZNS0_21CUDA_tensor_histogramIhhLb0EEEbNS_6TensorES4_S4_lNS_14AccumulateTypeIT0_Lb1EE4typeES8_NS0_13TensorArgTypeES9_S9_EUllE0_EEvNS0_6detail10TensorInfoIT_T1_EESF_NSC_IKS6_SE_EElS8_S8_SE_T6_.num_vgpr, 18
	.set _ZN2at4cuda17kernelHistogram1DIhhlLi1ELi2ELin1ELNS0_23CUDAHistogramMemoryTypeE1EZNS0_21CUDA_tensor_histogramIhhLb0EEEbNS_6TensorES4_S4_lNS_14AccumulateTypeIT0_Lb1EE4typeES8_NS0_13TensorArgTypeES9_S9_EUllE0_EEvNS0_6detail10TensorInfoIT_T1_EESF_NSC_IKS6_SE_EElS8_S8_SE_T6_.num_agpr, 0
	.set _ZN2at4cuda17kernelHistogram1DIhhlLi1ELi2ELin1ELNS0_23CUDAHistogramMemoryTypeE1EZNS0_21CUDA_tensor_histogramIhhLb0EEEbNS_6TensorES4_S4_lNS_14AccumulateTypeIT0_Lb1EE4typeES8_NS0_13TensorArgTypeES9_S9_EUllE0_EEvNS0_6detail10TensorInfoIT_T1_EESF_NSC_IKS6_SE_EElS8_S8_SE_T6_.numbered_sgpr, 49
	.set _ZN2at4cuda17kernelHistogram1DIhhlLi1ELi2ELin1ELNS0_23CUDAHistogramMemoryTypeE1EZNS0_21CUDA_tensor_histogramIhhLb0EEEbNS_6TensorES4_S4_lNS_14AccumulateTypeIT0_Lb1EE4typeES8_NS0_13TensorArgTypeES9_S9_EUllE0_EEvNS0_6detail10TensorInfoIT_T1_EESF_NSC_IKS6_SE_EElS8_S8_SE_T6_.num_named_barrier, 0
	.set _ZN2at4cuda17kernelHistogram1DIhhlLi1ELi2ELin1ELNS0_23CUDAHistogramMemoryTypeE1EZNS0_21CUDA_tensor_histogramIhhLb0EEEbNS_6TensorES4_S4_lNS_14AccumulateTypeIT0_Lb1EE4typeES8_NS0_13TensorArgTypeES9_S9_EUllE0_EEvNS0_6detail10TensorInfoIT_T1_EESF_NSC_IKS6_SE_EElS8_S8_SE_T6_.private_seg_size, 0
	.set _ZN2at4cuda17kernelHistogram1DIhhlLi1ELi2ELin1ELNS0_23CUDAHistogramMemoryTypeE1EZNS0_21CUDA_tensor_histogramIhhLb0EEEbNS_6TensorES4_S4_lNS_14AccumulateTypeIT0_Lb1EE4typeES8_NS0_13TensorArgTypeES9_S9_EUllE0_EEvNS0_6detail10TensorInfoIT_T1_EESF_NSC_IKS6_SE_EElS8_S8_SE_T6_.uses_vcc, 1
	.set _ZN2at4cuda17kernelHistogram1DIhhlLi1ELi2ELin1ELNS0_23CUDAHistogramMemoryTypeE1EZNS0_21CUDA_tensor_histogramIhhLb0EEEbNS_6TensorES4_S4_lNS_14AccumulateTypeIT0_Lb1EE4typeES8_NS0_13TensorArgTypeES9_S9_EUllE0_EEvNS0_6detail10TensorInfoIT_T1_EESF_NSC_IKS6_SE_EElS8_S8_SE_T6_.uses_flat_scratch, 0
	.set _ZN2at4cuda17kernelHistogram1DIhhlLi1ELi2ELin1ELNS0_23CUDAHistogramMemoryTypeE1EZNS0_21CUDA_tensor_histogramIhhLb0EEEbNS_6TensorES4_S4_lNS_14AccumulateTypeIT0_Lb1EE4typeES8_NS0_13TensorArgTypeES9_S9_EUllE0_EEvNS0_6detail10TensorInfoIT_T1_EESF_NSC_IKS6_SE_EElS8_S8_SE_T6_.has_dyn_sized_stack, 0
	.set _ZN2at4cuda17kernelHistogram1DIhhlLi1ELi2ELin1ELNS0_23CUDAHistogramMemoryTypeE1EZNS0_21CUDA_tensor_histogramIhhLb0EEEbNS_6TensorES4_S4_lNS_14AccumulateTypeIT0_Lb1EE4typeES8_NS0_13TensorArgTypeES9_S9_EUllE0_EEvNS0_6detail10TensorInfoIT_T1_EESF_NSC_IKS6_SE_EElS8_S8_SE_T6_.has_recursion, 0
	.set _ZN2at4cuda17kernelHistogram1DIhhlLi1ELi2ELin1ELNS0_23CUDAHistogramMemoryTypeE1EZNS0_21CUDA_tensor_histogramIhhLb0EEEbNS_6TensorES4_S4_lNS_14AccumulateTypeIT0_Lb1EE4typeES8_NS0_13TensorArgTypeES9_S9_EUllE0_EEvNS0_6detail10TensorInfoIT_T1_EESF_NSC_IKS6_SE_EElS8_S8_SE_T6_.has_indirect_call, 0
	.section	.AMDGPU.csdata,"",@progbits
; Kernel info:
; codeLenInByte = 2160
; TotalNumSgprs: 53
; NumVgprs: 18
; ScratchSize: 0
; MemoryBound: 0
; FloatMode: 240
; IeeeMode: 1
; LDSByteSize: 0 bytes/workgroup (compile time only)
; SGPRBlocks: 6
; VGPRBlocks: 4
; NumSGPRsForWavesPerEU: 53
; NumVGPRsForWavesPerEU: 18
; Occupancy: 10
; WaveLimiterHint : 1
; COMPUTE_PGM_RSRC2:SCRATCH_EN: 0
; COMPUTE_PGM_RSRC2:USER_SGPR: 6
; COMPUTE_PGM_RSRC2:TRAP_HANDLER: 0
; COMPUTE_PGM_RSRC2:TGID_X_EN: 1
; COMPUTE_PGM_RSRC2:TGID_Y_EN: 0
; COMPUTE_PGM_RSRC2:TGID_Z_EN: 0
; COMPUTE_PGM_RSRC2:TIDIG_COMP_CNT: 0
	.section	.text._ZN2at4cuda17kernelHistogram1DIaalLi1ELi2ELin1ELNS0_23CUDAHistogramMemoryTypeE0EZNS0_21CUDA_tensor_histogramIaaLb0EEEbNS_6TensorES4_S4_lNS_14AccumulateTypeIT0_Lb1EE4typeES8_NS0_13TensorArgTypeES9_S9_EUllE_EEvNS0_6detail10TensorInfoIT_T1_EESF_NSC_IKS6_SE_EElS8_S8_SE_T6_,"axG",@progbits,_ZN2at4cuda17kernelHistogram1DIaalLi1ELi2ELin1ELNS0_23CUDAHistogramMemoryTypeE0EZNS0_21CUDA_tensor_histogramIaaLb0EEEbNS_6TensorES4_S4_lNS_14AccumulateTypeIT0_Lb1EE4typeES8_NS0_13TensorArgTypeES9_S9_EUllE_EEvNS0_6detail10TensorInfoIT_T1_EESF_NSC_IKS6_SE_EElS8_S8_SE_T6_,comdat
	.protected	_ZN2at4cuda17kernelHistogram1DIaalLi1ELi2ELin1ELNS0_23CUDAHistogramMemoryTypeE0EZNS0_21CUDA_tensor_histogramIaaLb0EEEbNS_6TensorES4_S4_lNS_14AccumulateTypeIT0_Lb1EE4typeES8_NS0_13TensorArgTypeES9_S9_EUllE_EEvNS0_6detail10TensorInfoIT_T1_EESF_NSC_IKS6_SE_EElS8_S8_SE_T6_ ; -- Begin function _ZN2at4cuda17kernelHistogram1DIaalLi1ELi2ELin1ELNS0_23CUDAHistogramMemoryTypeE0EZNS0_21CUDA_tensor_histogramIaaLb0EEEbNS_6TensorES4_S4_lNS_14AccumulateTypeIT0_Lb1EE4typeES8_NS0_13TensorArgTypeES9_S9_EUllE_EEvNS0_6detail10TensorInfoIT_T1_EESF_NSC_IKS6_SE_EElS8_S8_SE_T6_
	.globl	_ZN2at4cuda17kernelHistogram1DIaalLi1ELi2ELin1ELNS0_23CUDAHistogramMemoryTypeE0EZNS0_21CUDA_tensor_histogramIaaLb0EEEbNS_6TensorES4_S4_lNS_14AccumulateTypeIT0_Lb1EE4typeES8_NS0_13TensorArgTypeES9_S9_EUllE_EEvNS0_6detail10TensorInfoIT_T1_EESF_NSC_IKS6_SE_EElS8_S8_SE_T6_
	.p2align	8
	.type	_ZN2at4cuda17kernelHistogram1DIaalLi1ELi2ELin1ELNS0_23CUDAHistogramMemoryTypeE0EZNS0_21CUDA_tensor_histogramIaaLb0EEEbNS_6TensorES4_S4_lNS_14AccumulateTypeIT0_Lb1EE4typeES8_NS0_13TensorArgTypeES9_S9_EUllE_EEvNS0_6detail10TensorInfoIT_T1_EESF_NSC_IKS6_SE_EElS8_S8_SE_T6_,@function
_ZN2at4cuda17kernelHistogram1DIaalLi1ELi2ELin1ELNS0_23CUDAHistogramMemoryTypeE0EZNS0_21CUDA_tensor_histogramIaaLb0EEEbNS_6TensorES4_S4_lNS_14AccumulateTypeIT0_Lb1EE4typeES8_NS0_13TensorArgTypeES9_S9_EUllE_EEvNS0_6detail10TensorInfoIT_T1_EESF_NSC_IKS6_SE_EElS8_S8_SE_T6_: ; @_ZN2at4cuda17kernelHistogram1DIaalLi1ELi2ELin1ELNS0_23CUDAHistogramMemoryTypeE0EZNS0_21CUDA_tensor_histogramIaaLb0EEEbNS_6TensorES4_S4_lNS_14AccumulateTypeIT0_Lb1EE4typeES8_NS0_13TensorArgTypeES9_S9_EUllE_EEvNS0_6detail10TensorInfoIT_T1_EESF_NSC_IKS6_SE_EElS8_S8_SE_T6_
; %bb.0:
	s_load_dwordx4 s[16:19], s[4:5], 0x0
	s_load_dwordx2 s[20:21], s[4:5], 0x500
	s_load_dwordx8 s[8:15], s[4:5], 0x4e0
	v_mov_b32_e32 v1, 0
	s_add_u32 s26, s4, 0x6a0
	s_waitcnt lgkmcnt(0)
	v_cmp_gt_i64_e64 s[0:1], s[18:19], v[0:1]
	v_cmp_le_i64_e32 vcc, s[18:19], v[0:1]
	s_addc_u32 s27, s5, 0
                                        ; implicit-def: $sgpr7
	s_and_saveexec_b64 s[2:3], vcc
	s_xor_b64 s[2:3], exec, s[2:3]
; %bb.1:
	s_load_dword s7, s[26:27], 0xc
; %bb.2:
	s_or_saveexec_b64 s[22:23], s[2:3]
	s_waitcnt lgkmcnt(0)
	v_mov_b32_e32 v2, s7
	s_xor_b64 exec, exec, s[22:23]
	s_cbranch_execz .LBB64_12
; %bb.3:
	v_add_u32_e32 v2, 1, v0
	v_mov_b32_e32 v3, 0
	s_load_dword s7, s[26:27], 0xc
	v_cmp_gt_i64_e32 vcc, s[18:19], v[2:3]
	v_mov_b32_e32 v4, s19
	v_cndmask_b32_e32 v5, 0, v4, vcc
	v_mov_b32_e32 v4, s18
	v_cndmask_b32_e32 v2, v2, v4, vcc
	v_sub_co_u32_e32 v4, vcc, v2, v0
	s_waitcnt lgkmcnt(0)
	s_and_b32 s30, s7, 0xffff
	v_subbrev_co_u32_e32 v5, vcc, 0, v5, vcc
	v_cmp_lt_u64_e32 vcc, 3, v[4:5]
	s_cmp_eq_u32 s30, 1
	s_cselect_b64 s[2:3], -1, 0
	v_mov_b32_e32 v7, v1
	s_and_b64 s[2:3], vcc, s[2:3]
	s_mov_b64 s[28:29], -1
	v_mov_b32_e32 v6, v0
	s_and_saveexec_b64 s[24:25], s[2:3]
	s_cbranch_execz .LBB64_7
; %bb.4:
	v_mov_b32_e32 v7, v5
	v_and_b32_e32 v6, -4, v4
	v_mov_b32_e32 v9, v7
	v_add_u32_e32 v2, 0, v0
	s_mov_b64 s[2:3], 0
	v_mov_b32_e32 v8, v6
.LBB64_5:                               ; =>This Inner Loop Header: Depth=1
	v_add_co_u32_e32 v8, vcc, -4, v8
	v_addc_co_u32_e32 v9, vcc, -1, v9, vcc
	v_cmp_eq_u64_e32 vcc, 0, v[8:9]
	ds_write_b32 v2, v3
	s_or_b64 s[2:3], vcc, s[2:3]
	v_add_u32_e32 v2, 4, v2
	s_andn2_b64 exec, exec, s[2:3]
	s_cbranch_execnz .LBB64_5
; %bb.6:
	s_or_b64 exec, exec, s[2:3]
	v_cmp_ne_u64_e32 vcc, v[4:5], v[6:7]
	v_add_co_u32_e64 v6, s[2:3], v6, v0
	v_addc_co_u32_e64 v7, s[2:3], 0, v7, s[2:3]
	s_orn2_b64 s[28:29], vcc, exec
.LBB64_7:
	s_or_b64 exec, exec, s[24:25]
	v_mov_b32_e32 v2, 1
	s_and_saveexec_b64 s[2:3], s[28:29]
	s_cbranch_execz .LBB64_11
; %bb.8:
	v_add_u32_e32 v2, 0, v6
	s_mov_b64 s[24:25], 0
	v_mov_b32_e32 v3, 0
.LBB64_9:                               ; =>This Inner Loop Header: Depth=1
	v_add_co_u32_e32 v6, vcc, s30, v6
	v_addc_co_u32_e32 v7, vcc, 0, v7, vcc
	v_cmp_le_i64_e32 vcc, s[18:19], v[6:7]
	ds_write_b8 v2, v3
	s_or_b64 s[24:25], vcc, s[24:25]
	v_add_u32_e32 v2, s30, v2
	s_andn2_b64 exec, exec, s[24:25]
	s_cbranch_execnz .LBB64_9
; %bb.10:
	s_or_b64 exec, exec, s[24:25]
	v_mov_b32_e32 v2, s7
.LBB64_11:
	s_or_b64 exec, exec, s[2:3]
.LBB64_12:
	s_or_b64 exec, exec, s[22:23]
	v_and_b32_e32 v12, 0xffff, v2
	v_mad_u64_u32 v[2:3], s[2:3], s6, v12, v[0:1]
	s_load_dwordx2 s[22:23], s[4:5], 0xd0
	v_mov_b32_e32 v4, 0
	v_mov_b32_e32 v3, v4
	v_cmp_gt_i64_e32 vcc, s[14:15], v[2:3]
	s_waitcnt lgkmcnt(0)
	s_barrier
	s_and_saveexec_b64 s[6:7], vcc
	s_cbranch_execz .LBB64_29
; %bb.13:
	s_load_dword s30, s[4:5], 0x4d8
	s_add_u32 s31, s4, 0x340
	s_addc_u32 s35, s5, 0
	s_load_dword s34, s[26:27], 0x0
	s_load_dwordx2 s[24:25], s[4:5], 0x410
	s_nop 0
	s_load_dwordx2 s[26:27], s[4:5], 0x5d0
	s_load_dwordx2 s[28:29], s[4:5], 0x340
	s_waitcnt lgkmcnt(0)
	s_cmp_gt_i32 s30, 1
	s_cselect_b64 s[2:3], -1, 0
	s_sub_u32 s33, s12, s10
	s_subb_u32 s46, s13, s11
	s_mov_b32 s5, 0
	s_add_i32 s4, s30, -1
	s_add_i32 s47, s30, 1
	s_lshl_b64 s[4:5], s[4:5], 3
	v_mul_lo_u32 v13, s34, v12
	s_add_u32 s4, s31, s4
	s_addc_u32 s5, s35, s5
	s_add_u32 s30, s4, 8
	v_cndmask_b32_e64 v5, 0, 1, s[2:3]
	s_addc_u32 s31, s5, 0
	s_mov_b64 s[34:35], 0
	s_movk_i32 s48, 0xff
	v_cmp_ne_u32_e64 s[2:3], 1, v5
	s_branch .LBB64_15
.LBB64_14:                              ;   in Loop: Header=BB64_15 Depth=1
	s_or_b64 exec, exec, s[36:37]
	v_add_co_u32_e32 v2, vcc, v2, v13
	v_addc_co_u32_e32 v3, vcc, 0, v3, vcc
	v_cmp_le_i64_e32 vcc, s[14:15], v[2:3]
	s_or_b64 s[34:35], vcc, s[34:35]
	s_andn2_b64 exec, exec, s[34:35]
	s_cbranch_execz .LBB64_29
.LBB64_15:                              ; =>This Loop Header: Depth=1
                                        ;     Child Loop BB64_16 Depth 2
                                        ;     Child Loop BB64_28 Depth 2
	v_mov_b32_e32 v6, 0
	v_mov_b32_e32 v9, v3
	;; [unrolled: 1-line block ×4, first 2 shown]
	s_and_b64 vcc, exec, s[2:3]
	s_mov_b64 s[36:37], s[30:31]
	s_mov_b32 s49, s47
	v_mov_b32_e32 v8, v2
	v_mov_b32_e32 v10, v2
	s_cbranch_vccnz .LBB64_22
.LBB64_16:                              ;   Parent Loop BB64_15 Depth=1
                                        ; =>  This Inner Loop Header: Depth=2
	s_load_dwordx2 s[38:39], s[36:37], 0x0
                                        ; implicit-def: $vgpr10_vgpr11
	s_waitcnt lgkmcnt(0)
	v_or_b32_e32 v5, s39, v9
	v_cmp_ne_u64_e32 vcc, 0, v[4:5]
	s_and_saveexec_b64 s[4:5], vcc
	s_xor_b64 s[40:41], exec, s[4:5]
	s_cbranch_execz .LBB64_18
; %bb.17:                               ;   in Loop: Header=BB64_16 Depth=2
	s_ashr_i32 s42, s39, 31
	s_add_u32 s4, s38, s42
	s_mov_b32 s43, s42
	s_addc_u32 s5, s39, s42
	s_xor_b64 s[44:45], s[4:5], s[42:43]
	v_cvt_f32_u32_e32 v5, s44
	v_cvt_f32_u32_e32 v10, s45
	s_sub_u32 s43, 0, s44
	s_subb_u32 s50, 0, s45
	v_mac_f32_e32 v5, 0x4f800000, v10
	v_rcp_f32_e32 v5, v5
	v_mul_f32_e32 v5, 0x5f7ffffc, v5
	v_mul_f32_e32 v10, 0x2f800000, v5
	v_trunc_f32_e32 v10, v10
	v_mac_f32_e32 v5, 0xcf800000, v10
	v_cvt_u32_f32_e32 v10, v10
	v_cvt_u32_f32_e32 v5, v5
	v_readfirstlane_b32 s51, v10
	v_readfirstlane_b32 s4, v5
	s_mul_i32 s5, s43, s51
	s_mul_hi_u32 s53, s43, s4
	s_mul_i32 s52, s50, s4
	s_add_i32 s5, s53, s5
	s_add_i32 s5, s5, s52
	s_mul_i32 s54, s43, s4
	s_mul_i32 s53, s4, s5
	s_mul_hi_u32 s55, s4, s54
	s_mul_hi_u32 s52, s4, s5
	s_add_u32 s53, s55, s53
	s_addc_u32 s52, 0, s52
	s_mul_hi_u32 s56, s51, s54
	s_mul_i32 s54, s51, s54
	s_add_u32 s53, s53, s54
	s_mul_hi_u32 s55, s51, s5
	s_addc_u32 s52, s52, s56
	s_addc_u32 s53, s55, 0
	s_mul_i32 s5, s51, s5
	s_add_u32 s5, s52, s5
	s_addc_u32 s52, 0, s53
	s_add_u32 s53, s4, s5
	s_cselect_b64 s[4:5], -1, 0
	s_cmp_lg_u64 s[4:5], 0
	s_addc_u32 s51, s51, s52
	s_mul_i32 s4, s43, s51
	s_mul_hi_u32 s5, s43, s53
	s_add_i32 s4, s5, s4
	s_mul_i32 s50, s50, s53
	s_add_i32 s4, s4, s50
	s_mul_i32 s43, s43, s53
	s_mul_hi_u32 s50, s51, s43
	s_mul_i32 s52, s51, s43
	s_mul_i32 s55, s53, s4
	s_mul_hi_u32 s43, s53, s43
	s_mul_hi_u32 s54, s53, s4
	s_add_u32 s43, s43, s55
	s_addc_u32 s54, 0, s54
	s_add_u32 s43, s43, s52
	s_mul_hi_u32 s5, s51, s4
	s_addc_u32 s43, s54, s50
	s_addc_u32 s5, s5, 0
	s_mul_i32 s4, s51, s4
	s_add_u32 s4, s43, s4
	s_addc_u32 s43, 0, s5
	s_add_u32 s50, s53, s4
	s_cselect_b64 s[4:5], -1, 0
	v_ashrrev_i32_e32 v5, 31, v9
	s_cmp_lg_u64 s[4:5], 0
	v_add_co_u32_e32 v10, vcc, v8, v5
	s_addc_u32 s43, s51, s43
	v_xor_b32_e32 v16, v10, v5
	v_mad_u64_u32 v[10:11], s[4:5], v16, s43, 0
	v_mul_hi_u32 v15, v16, s50
	v_addc_co_u32_e32 v14, vcc, v9, v5, vcc
	v_xor_b32_e32 v17, v14, v5
	v_add_co_u32_e32 v18, vcc, v15, v10
	v_addc_co_u32_e32 v19, vcc, 0, v11, vcc
	v_mad_u64_u32 v[10:11], s[4:5], v17, s50, 0
	v_mad_u64_u32 v[14:15], s[4:5], v17, s43, 0
	v_add_co_u32_e32 v10, vcc, v18, v10
	v_addc_co_u32_e32 v10, vcc, v19, v11, vcc
	v_addc_co_u32_e32 v11, vcc, 0, v15, vcc
	v_add_co_u32_e32 v14, vcc, v10, v14
	v_addc_co_u32_e32 v15, vcc, 0, v11, vcc
	v_mul_lo_u32 v18, s45, v14
	v_mul_lo_u32 v19, s44, v15
	v_mad_u64_u32 v[10:11], s[4:5], s44, v14, 0
	v_xor_b32_e32 v5, s42, v5
	v_add3_u32 v11, v11, v19, v18
	v_sub_u32_e32 v18, v17, v11
	v_mov_b32_e32 v19, s45
	v_sub_co_u32_e32 v10, vcc, v16, v10
	v_subb_co_u32_e64 v16, s[4:5], v18, v19, vcc
	v_subrev_co_u32_e64 v18, s[4:5], s44, v10
	v_subbrev_co_u32_e64 v16, s[4:5], 0, v16, s[4:5]
	v_cmp_le_u32_e64 s[4:5], s45, v16
	v_cndmask_b32_e64 v19, 0, -1, s[4:5]
	v_cmp_le_u32_e64 s[4:5], s44, v18
	v_cndmask_b32_e64 v18, 0, -1, s[4:5]
	v_cmp_eq_u32_e64 s[4:5], s45, v16
	v_cndmask_b32_e64 v16, v19, v18, s[4:5]
	v_add_co_u32_e64 v18, s[4:5], 2, v14
	v_subb_co_u32_e32 v11, vcc, v17, v11, vcc
	v_addc_co_u32_e64 v19, s[4:5], 0, v15, s[4:5]
	v_cmp_le_u32_e32 vcc, s45, v11
	v_add_co_u32_e64 v20, s[4:5], 1, v14
	v_cndmask_b32_e64 v17, 0, -1, vcc
	v_cmp_le_u32_e32 vcc, s44, v10
	v_addc_co_u32_e64 v21, s[4:5], 0, v15, s[4:5]
	v_cndmask_b32_e64 v10, 0, -1, vcc
	v_cmp_eq_u32_e32 vcc, s45, v11
	v_cmp_ne_u32_e64 s[4:5], 0, v16
	v_cndmask_b32_e32 v10, v17, v10, vcc
	v_cndmask_b32_e64 v16, v21, v19, s[4:5]
	v_cmp_ne_u32_e32 vcc, 0, v10
	v_cndmask_b32_e64 v11, v20, v18, s[4:5]
	v_cndmask_b32_e32 v10, v15, v16, vcc
	v_cndmask_b32_e32 v11, v14, v11, vcc
	v_xor_b32_e32 v14, v10, v5
	v_xor_b32_e32 v10, v11, v5
	v_sub_co_u32_e32 v10, vcc, v10, v5
	v_subb_co_u32_e32 v11, vcc, v14, v5, vcc
.LBB64_18:                              ;   in Loop: Header=BB64_16 Depth=2
	s_andn2_saveexec_b64 s[4:5], s[40:41]
	s_cbranch_execz .LBB64_20
; %bb.19:                               ;   in Loop: Header=BB64_16 Depth=2
	v_cvt_f32_u32_e32 v5, s38
	s_sub_i32 s40, 0, s38
	v_rcp_iflag_f32_e32 v5, v5
	v_mul_f32_e32 v5, 0x4f7ffffe, v5
	v_cvt_u32_f32_e32 v5, v5
	v_mul_lo_u32 v10, s40, v5
	v_mul_hi_u32 v10, v5, v10
	v_add_u32_e32 v5, v5, v10
	v_mul_hi_u32 v5, v8, v5
	v_mul_lo_u32 v10, v5, s38
	v_add_u32_e32 v11, 1, v5
	v_sub_u32_e32 v10, v8, v10
	v_subrev_u32_e32 v14, s38, v10
	v_cmp_le_u32_e32 vcc, s38, v10
	v_cndmask_b32_e32 v10, v10, v14, vcc
	v_cndmask_b32_e32 v5, v5, v11, vcc
	v_add_u32_e32 v11, 1, v5
	v_cmp_le_u32_e32 vcc, s38, v10
	v_cndmask_b32_e32 v10, v5, v11, vcc
	v_mov_b32_e32 v11, v4
.LBB64_20:                              ;   in Loop: Header=BB64_16 Depth=2
	s_or_b64 exec, exec, s[4:5]
	v_mul_lo_u32 v5, v11, s38
	v_mul_lo_u32 v16, v10, s39
	v_mad_u64_u32 v[14:15], s[4:5], v10, s38, 0
	s_load_dwordx2 s[4:5], s[36:37], 0xc8
	s_add_i32 s49, s49, -1
	v_add3_u32 v5, v15, v16, v5
	v_sub_co_u32_e32 v8, vcc, v8, v14
	v_subb_co_u32_e32 v5, vcc, v9, v5, vcc
	s_waitcnt lgkmcnt(0)
	v_mul_lo_u32 v5, s4, v5
	v_mul_lo_u32 v9, s5, v8
	v_mad_u64_u32 v[6:7], s[4:5], s4, v8, v[6:7]
	s_add_u32 s36, s36, -8
	s_addc_u32 s37, s37, -1
	s_cmp_gt_u32 s49, 2
	v_add3_u32 v7, v9, v7, v5
	s_cbranch_scc0 .LBB64_22
; %bb.21:                               ;   in Loop: Header=BB64_16 Depth=2
	v_mov_b32_e32 v8, v10
	v_mov_b32_e32 v9, v11
	s_branch .LBB64_16
.LBB64_22:                              ;   in Loop: Header=BB64_15 Depth=1
	v_mov_b32_e32 v8, s28
	v_mov_b32_e32 v9, s29
	v_mul_lo_u32 v5, s24, v11
	v_mul_lo_u32 v11, s25, v10
	v_mad_u64_u32 v[8:9], s[4:5], s24, v10, v[8:9]
	v_add3_u32 v9, v11, v9, v5
	v_add_co_u32_e32 v5, vcc, v8, v6
	v_addc_co_u32_e32 v6, vcc, v9, v7, vcc
	global_load_sbyte v5, v[5:6], off
	s_waitcnt vmcnt(0)
	v_bfe_i32 v5, v5, 0, 16
	v_ashrrev_i32_e32 v6, 31, v5
	v_cmp_le_i64_e32 vcc, s[10:11], v[5:6]
	v_cmp_ge_i64_e64 s[4:5], s[12:13], v[5:6]
	s_and_b64 s[4:5], vcc, s[4:5]
	s_and_saveexec_b64 s[36:37], s[4:5]
	s_cbranch_execz .LBB64_14
; %bb.23:                               ;   in Loop: Header=BB64_15 Depth=1
	v_mov_b32_e32 v7, s11
	v_subrev_co_u32_e32 v5, vcc, s10, v5
	v_subb_co_u32_e32 v6, vcc, v6, v7, vcc
	v_mul_lo_u32 v8, v6, s8
	v_mul_lo_u32 v9, v5, s9
	v_mad_u64_u32 v[6:7], s[4:5], v5, s8, 0
	v_add3_u32 v7, v7, v9, v8
	v_or_b32_e32 v5, s46, v7
	v_cmp_ne_u64_e32 vcc, 0, v[4:5]
                                        ; implicit-def: $vgpr8_vgpr9
	s_and_saveexec_b64 s[4:5], vcc
	s_xor_b64 s[38:39], exec, s[4:5]
	s_cbranch_execz .LBB64_25
; %bb.24:                               ;   in Loop: Header=BB64_15 Depth=1
	s_ashr_i32 s40, s46, 31
	s_add_u32 s4, s33, s40
	s_mov_b32 s41, s40
	s_addc_u32 s5, s46, s40
	s_xor_b64 s[42:43], s[4:5], s[40:41]
	v_cvt_f32_u32_e32 v5, s42
	v_cvt_f32_u32_e32 v8, s43
	s_sub_u32 s41, 0, s42
	s_subb_u32 s44, 0, s43
	v_ashrrev_i32_e32 v9, 31, v7
	v_mac_f32_e32 v5, 0x4f800000, v8
	v_rcp_f32_e32 v5, v5
	v_mul_f32_e32 v5, 0x5f7ffffc, v5
	v_mul_f32_e32 v8, 0x2f800000, v5
	v_trunc_f32_e32 v8, v8
	v_mac_f32_e32 v5, 0xcf800000, v8
	v_cvt_u32_f32_e32 v8, v8
	v_cvt_u32_f32_e32 v5, v5
	v_readfirstlane_b32 s45, v8
	v_readfirstlane_b32 s4, v5
	s_mul_i32 s5, s41, s45
	s_mul_hi_u32 s50, s41, s4
	s_mul_i32 s49, s44, s4
	s_add_i32 s5, s50, s5
	s_add_i32 s5, s5, s49
	s_mul_i32 s51, s41, s4
	s_mul_i32 s50, s4, s5
	s_mul_hi_u32 s52, s4, s51
	s_mul_hi_u32 s49, s4, s5
	s_add_u32 s50, s52, s50
	s_addc_u32 s49, 0, s49
	s_mul_hi_u32 s53, s45, s51
	s_mul_i32 s51, s45, s51
	s_add_u32 s50, s50, s51
	s_mul_hi_u32 s52, s45, s5
	s_addc_u32 s49, s49, s53
	s_addc_u32 s50, s52, 0
	s_mul_i32 s5, s45, s5
	s_add_u32 s5, s49, s5
	s_addc_u32 s49, 0, s50
	s_add_u32 s50, s4, s5
	s_cselect_b64 s[4:5], -1, 0
	s_cmp_lg_u64 s[4:5], 0
	s_addc_u32 s45, s45, s49
	s_mul_i32 s4, s41, s45
	s_mul_hi_u32 s5, s41, s50
	s_add_i32 s4, s5, s4
	s_mul_i32 s44, s44, s50
	s_add_i32 s4, s4, s44
	s_mul_i32 s41, s41, s50
	s_mul_hi_u32 s44, s45, s41
	s_mul_i32 s49, s45, s41
	s_mul_i32 s52, s50, s4
	s_mul_hi_u32 s41, s50, s41
	s_mul_hi_u32 s51, s50, s4
	s_add_u32 s41, s41, s52
	s_addc_u32 s51, 0, s51
	s_add_u32 s41, s41, s49
	s_mul_hi_u32 s5, s45, s4
	s_addc_u32 s41, s51, s44
	s_addc_u32 s5, s5, 0
	s_mul_i32 s4, s45, s4
	s_add_u32 s4, s41, s4
	s_addc_u32 s41, 0, s5
	s_add_u32 s44, s50, s4
	s_cselect_b64 s[4:5], -1, 0
	s_cmp_lg_u64 s[4:5], 0
	v_add_co_u32_e32 v5, vcc, v6, v9
	s_addc_u32 s41, s45, s41
	v_xor_b32_e32 v10, v5, v9
	v_mad_u64_u32 v[5:6], s[4:5], v10, s41, 0
	v_mul_hi_u32 v8, v10, s44
	v_addc_co_u32_e32 v7, vcc, v7, v9, vcc
	v_xor_b32_e32 v11, v7, v9
	v_add_co_u32_e32 v14, vcc, v8, v5
	v_addc_co_u32_e32 v15, vcc, 0, v6, vcc
	v_mad_u64_u32 v[5:6], s[4:5], v11, s44, 0
	v_mad_u64_u32 v[7:8], s[4:5], v11, s41, 0
	v_add_co_u32_e32 v5, vcc, v14, v5
	v_addc_co_u32_e32 v5, vcc, v15, v6, vcc
	v_addc_co_u32_e32 v6, vcc, 0, v8, vcc
	v_add_co_u32_e32 v7, vcc, v5, v7
	v_addc_co_u32_e32 v5, vcc, 0, v6, vcc
	v_mul_lo_u32 v8, s43, v7
	v_mul_lo_u32 v14, s42, v5
	v_mad_u64_u32 v[5:6], s[4:5], s42, v7, 0
	v_add3_u32 v6, v6, v14, v8
	v_sub_u32_e32 v8, v11, v6
	v_mov_b32_e32 v14, s43
	v_sub_co_u32_e32 v5, vcc, v10, v5
	v_subb_co_u32_e64 v8, s[4:5], v8, v14, vcc
	v_subrev_co_u32_e64 v10, s[4:5], s42, v5
	v_subbrev_co_u32_e64 v8, s[4:5], 0, v8, s[4:5]
	v_cmp_le_u32_e64 s[4:5], s43, v8
	v_subb_co_u32_e32 v6, vcc, v11, v6, vcc
	v_cndmask_b32_e64 v14, 0, -1, s[4:5]
	v_cmp_le_u32_e64 s[4:5], s42, v10
	v_cmp_le_u32_e32 vcc, s43, v6
	v_cndmask_b32_e64 v10, 0, -1, s[4:5]
	v_cmp_eq_u32_e64 s[4:5], s43, v8
	v_cndmask_b32_e64 v11, 0, -1, vcc
	v_cmp_le_u32_e32 vcc, s42, v5
	v_cndmask_b32_e64 v8, v14, v10, s[4:5]
	v_cndmask_b32_e64 v5, 0, -1, vcc
	v_cmp_eq_u32_e32 vcc, s43, v6
	v_add_co_u32_e64 v10, s[4:5], 2, v7
	v_add_co_u32_e64 v14, s[4:5], 1, v7
	v_cndmask_b32_e32 v5, v11, v5, vcc
	v_cmp_ne_u32_e32 vcc, 0, v8
	v_cndmask_b32_e32 v6, v14, v10, vcc
	v_cmp_ne_u32_e32 vcc, 0, v5
	v_cndmask_b32_e32 v5, v7, v6, vcc
	v_xor_b32_e32 v6, s40, v9
	v_xor_b32_e32 v5, v5, v6
	v_sub_co_u32_e32 v8, vcc, v5, v6
                                        ; implicit-def: $vgpr6_vgpr7
.LBB64_25:                              ;   in Loop: Header=BB64_15 Depth=1
	s_andn2_saveexec_b64 s[4:5], s[38:39]
	s_cbranch_execz .LBB64_27
; %bb.26:                               ;   in Loop: Header=BB64_15 Depth=1
	v_cvt_f32_u32_e32 v5, s33
	s_sub_i32 s38, 0, s33
	v_rcp_iflag_f32_e32 v5, v5
	v_mul_f32_e32 v5, 0x4f7ffffe, v5
	v_cvt_u32_f32_e32 v5, v5
	v_mul_lo_u32 v7, s38, v5
	v_mul_hi_u32 v7, v5, v7
	v_add_u32_e32 v5, v5, v7
	v_mul_hi_u32 v5, v6, v5
	v_mul_lo_u32 v7, v5, s33
	v_add_u32_e32 v8, 1, v5
	v_sub_u32_e32 v6, v6, v7
	v_subrev_u32_e32 v7, s33, v6
	v_cmp_le_u32_e32 vcc, s33, v6
	v_cndmask_b32_e32 v6, v6, v7, vcc
	v_cndmask_b32_e32 v5, v5, v8, vcc
	v_add_u32_e32 v7, 1, v5
	v_cmp_le_u32_e32 vcc, s33, v6
	v_cndmask_b32_e32 v8, v5, v7, vcc
.LBB64_27:                              ;   in Loop: Header=BB64_15 Depth=1
	s_or_b64 exec, exec, s[4:5]
	v_mov_b32_e32 v5, s20
	v_mov_b32_e32 v6, s21
	v_mad_u64_u32 v[5:6], s[4:5], v2, s26, v[5:6]
	v_mul_lo_u32 v7, v2, s27
	v_mul_lo_u32 v9, v3, s26
	s_mov_b64 s[4:5], 0
	v_add3_u32 v6, v9, v6, v7
	global_load_ubyte v5, v[5:6], off
	v_ashrrev_i32_e32 v9, 31, v8
	v_cmp_eq_u64_e32 vcc, s[8:9], v[8:9]
	v_subbrev_co_u32_e32 v6, vcc, 0, v8, vcc
	v_add_u32_e32 v9, 0, v6
	v_and_b32_e32 v7, -4, v9
	ds_read_b32 v8, v7
	v_and_b32_e32 v6, 3, v9
	v_sub_u32_e32 v10, 0, v6
	v_lshlrev_b32_e32 v6, 3, v6
	v_lshlrev_b32_e64 v7, v6, s48
	v_not_b32_e32 v7, v7
	v_add_u32_e32 v9, v9, v10
.LBB64_28:                              ;   Parent Loop BB64_15 Depth=1
                                        ; =>  This Inner Loop Header: Depth=2
	s_waitcnt lgkmcnt(0)
	v_lshrrev_b32_e32 v10, v6, v8
	s_waitcnt vmcnt(0)
	v_add_u16_e32 v10, v5, v10
	v_and_b32_e32 v11, v8, v7
	v_and_b32_e32 v10, 0xff, v10
	v_lshl_or_b32 v10, v10, v6, v11
	ds_cmpst_rtn_b32 v10, v9, v8, v10
	s_waitcnt lgkmcnt(0)
	v_cmp_eq_u32_e32 vcc, v8, v10
	s_or_b64 s[4:5], vcc, s[4:5]
	v_mov_b32_e32 v8, v10
	s_andn2_b64 exec, exec, s[4:5]
	s_cbranch_execnz .LBB64_28
	s_branch .LBB64_14
.LBB64_29:
	s_or_b64 exec, exec, s[6:7]
; %bb.30:
	s_barrier
	s_and_saveexec_b64 s[2:3], s[0:1]
	s_cbranch_execz .LBB64_35
; %bb.31:
	v_mov_b32_e32 v2, s16
	s_mov_b64 s[0:1], 0
	v_mov_b32_e32 v3, s17
	s_movk_i32 s4, 0xff
.LBB64_32:                              ; =>This Loop Header: Depth=1
                                        ;     Child Loop BB64_33 Depth 2
	v_mad_u64_u32 v[4:5], s[2:3], v0, s22, v[2:3]
	v_mul_lo_u32 v6, v0, s23
	v_mul_lo_u32 v7, v1, s22
	v_add3_u32 v5, v7, v5, v6
	v_and_b32_e32 v6, 3, v4
	v_sub_co_u32_e32 v7, vcc, 0, v6
	v_subb_co_u32_e64 v8, s[2:3], 0, 0, vcc
	v_add_co_u32_e32 v4, vcc, v4, v7
	v_addc_co_u32_e32 v5, vcc, v5, v8, vcc
	global_load_dword v7, v[4:5], off
	v_add_u32_e32 v8, 0, v0
	ds_read_u8 v8, v8
	v_lshlrev_b32_e32 v9, 3, v6
	v_lshlrev_b32_e64 v6, v9, s4
	v_not_b32_e32 v10, v6
	s_mov_b64 s[2:3], 0
.LBB64_33:                              ;   Parent Loop BB64_32 Depth=1
                                        ; =>  This Inner Loop Header: Depth=2
	s_waitcnt vmcnt(0)
	v_lshrrev_b32_e32 v6, v9, v7
	s_waitcnt lgkmcnt(0)
	v_add_u16_e32 v6, v8, v6
	v_and_b32_e32 v11, v7, v10
	v_and_b32_e32 v6, 0xff, v6
	v_lshl_or_b32 v6, v6, v9, v11
	global_atomic_cmpswap v6, v[4:5], v[6:7], off glc
	s_waitcnt vmcnt(0)
	v_cmp_eq_u32_e32 vcc, v7, v6
	s_or_b64 s[2:3], vcc, s[2:3]
	v_mov_b32_e32 v7, v6
	s_andn2_b64 exec, exec, s[2:3]
	s_cbranch_execnz .LBB64_33
; %bb.34:                               ;   in Loop: Header=BB64_32 Depth=1
	s_or_b64 exec, exec, s[2:3]
	v_add_co_u32_e32 v0, vcc, v0, v12
	v_addc_co_u32_e32 v1, vcc, 0, v1, vcc
	v_cmp_le_i64_e32 vcc, s[18:19], v[0:1]
	s_or_b64 s[0:1], vcc, s[0:1]
	s_andn2_b64 exec, exec, s[0:1]
	s_cbranch_execnz .LBB64_32
.LBB64_35:
	s_endpgm
	.section	.rodata,"a",@progbits
	.p2align	6, 0x0
	.amdhsa_kernel _ZN2at4cuda17kernelHistogram1DIaalLi1ELi2ELin1ELNS0_23CUDAHistogramMemoryTypeE0EZNS0_21CUDA_tensor_histogramIaaLb0EEEbNS_6TensorES4_S4_lNS_14AccumulateTypeIT0_Lb1EE4typeES8_NS0_13TensorArgTypeES9_S9_EUllE_EEvNS0_6detail10TensorInfoIT_T1_EESF_NSC_IKS6_SE_EElS8_S8_SE_T6_
		.amdhsa_group_segment_fixed_size 0
		.amdhsa_private_segment_fixed_size 0
		.amdhsa_kernarg_size 1952
		.amdhsa_user_sgpr_count 6
		.amdhsa_user_sgpr_private_segment_buffer 1
		.amdhsa_user_sgpr_dispatch_ptr 0
		.amdhsa_user_sgpr_queue_ptr 0
		.amdhsa_user_sgpr_kernarg_segment_ptr 1
		.amdhsa_user_sgpr_dispatch_id 0
		.amdhsa_user_sgpr_flat_scratch_init 0
		.amdhsa_user_sgpr_private_segment_size 0
		.amdhsa_uses_dynamic_stack 0
		.amdhsa_system_sgpr_private_segment_wavefront_offset 0
		.amdhsa_system_sgpr_workgroup_id_x 1
		.amdhsa_system_sgpr_workgroup_id_y 0
		.amdhsa_system_sgpr_workgroup_id_z 0
		.amdhsa_system_sgpr_workgroup_info 0
		.amdhsa_system_vgpr_workitem_id 0
		.amdhsa_next_free_vgpr 22
		.amdhsa_next_free_sgpr 57
		.amdhsa_reserve_vcc 1
		.amdhsa_reserve_flat_scratch 0
		.amdhsa_float_round_mode_32 0
		.amdhsa_float_round_mode_16_64 0
		.amdhsa_float_denorm_mode_32 3
		.amdhsa_float_denorm_mode_16_64 3
		.amdhsa_dx10_clamp 1
		.amdhsa_ieee_mode 1
		.amdhsa_fp16_overflow 0
		.amdhsa_exception_fp_ieee_invalid_op 0
		.amdhsa_exception_fp_denorm_src 0
		.amdhsa_exception_fp_ieee_div_zero 0
		.amdhsa_exception_fp_ieee_overflow 0
		.amdhsa_exception_fp_ieee_underflow 0
		.amdhsa_exception_fp_ieee_inexact 0
		.amdhsa_exception_int_div_zero 0
	.end_amdhsa_kernel
	.section	.text._ZN2at4cuda17kernelHistogram1DIaalLi1ELi2ELin1ELNS0_23CUDAHistogramMemoryTypeE0EZNS0_21CUDA_tensor_histogramIaaLb0EEEbNS_6TensorES4_S4_lNS_14AccumulateTypeIT0_Lb1EE4typeES8_NS0_13TensorArgTypeES9_S9_EUllE_EEvNS0_6detail10TensorInfoIT_T1_EESF_NSC_IKS6_SE_EElS8_S8_SE_T6_,"axG",@progbits,_ZN2at4cuda17kernelHistogram1DIaalLi1ELi2ELin1ELNS0_23CUDAHistogramMemoryTypeE0EZNS0_21CUDA_tensor_histogramIaaLb0EEEbNS_6TensorES4_S4_lNS_14AccumulateTypeIT0_Lb1EE4typeES8_NS0_13TensorArgTypeES9_S9_EUllE_EEvNS0_6detail10TensorInfoIT_T1_EESF_NSC_IKS6_SE_EElS8_S8_SE_T6_,comdat
.Lfunc_end64:
	.size	_ZN2at4cuda17kernelHistogram1DIaalLi1ELi2ELin1ELNS0_23CUDAHistogramMemoryTypeE0EZNS0_21CUDA_tensor_histogramIaaLb0EEEbNS_6TensorES4_S4_lNS_14AccumulateTypeIT0_Lb1EE4typeES8_NS0_13TensorArgTypeES9_S9_EUllE_EEvNS0_6detail10TensorInfoIT_T1_EESF_NSC_IKS6_SE_EElS8_S8_SE_T6_, .Lfunc_end64-_ZN2at4cuda17kernelHistogram1DIaalLi1ELi2ELin1ELNS0_23CUDAHistogramMemoryTypeE0EZNS0_21CUDA_tensor_histogramIaaLb0EEEbNS_6TensorES4_S4_lNS_14AccumulateTypeIT0_Lb1EE4typeES8_NS0_13TensorArgTypeES9_S9_EUllE_EEvNS0_6detail10TensorInfoIT_T1_EESF_NSC_IKS6_SE_EElS8_S8_SE_T6_
                                        ; -- End function
	.set _ZN2at4cuda17kernelHistogram1DIaalLi1ELi2ELin1ELNS0_23CUDAHistogramMemoryTypeE0EZNS0_21CUDA_tensor_histogramIaaLb0EEEbNS_6TensorES4_S4_lNS_14AccumulateTypeIT0_Lb1EE4typeES8_NS0_13TensorArgTypeES9_S9_EUllE_EEvNS0_6detail10TensorInfoIT_T1_EESF_NSC_IKS6_SE_EElS8_S8_SE_T6_.num_vgpr, 22
	.set _ZN2at4cuda17kernelHistogram1DIaalLi1ELi2ELin1ELNS0_23CUDAHistogramMemoryTypeE0EZNS0_21CUDA_tensor_histogramIaaLb0EEEbNS_6TensorES4_S4_lNS_14AccumulateTypeIT0_Lb1EE4typeES8_NS0_13TensorArgTypeES9_S9_EUllE_EEvNS0_6detail10TensorInfoIT_T1_EESF_NSC_IKS6_SE_EElS8_S8_SE_T6_.num_agpr, 0
	.set _ZN2at4cuda17kernelHistogram1DIaalLi1ELi2ELin1ELNS0_23CUDAHistogramMemoryTypeE0EZNS0_21CUDA_tensor_histogramIaaLb0EEEbNS_6TensorES4_S4_lNS_14AccumulateTypeIT0_Lb1EE4typeES8_NS0_13TensorArgTypeES9_S9_EUllE_EEvNS0_6detail10TensorInfoIT_T1_EESF_NSC_IKS6_SE_EElS8_S8_SE_T6_.numbered_sgpr, 57
	.set _ZN2at4cuda17kernelHistogram1DIaalLi1ELi2ELin1ELNS0_23CUDAHistogramMemoryTypeE0EZNS0_21CUDA_tensor_histogramIaaLb0EEEbNS_6TensorES4_S4_lNS_14AccumulateTypeIT0_Lb1EE4typeES8_NS0_13TensorArgTypeES9_S9_EUllE_EEvNS0_6detail10TensorInfoIT_T1_EESF_NSC_IKS6_SE_EElS8_S8_SE_T6_.num_named_barrier, 0
	.set _ZN2at4cuda17kernelHistogram1DIaalLi1ELi2ELin1ELNS0_23CUDAHistogramMemoryTypeE0EZNS0_21CUDA_tensor_histogramIaaLb0EEEbNS_6TensorES4_S4_lNS_14AccumulateTypeIT0_Lb1EE4typeES8_NS0_13TensorArgTypeES9_S9_EUllE_EEvNS0_6detail10TensorInfoIT_T1_EESF_NSC_IKS6_SE_EElS8_S8_SE_T6_.private_seg_size, 0
	.set _ZN2at4cuda17kernelHistogram1DIaalLi1ELi2ELin1ELNS0_23CUDAHistogramMemoryTypeE0EZNS0_21CUDA_tensor_histogramIaaLb0EEEbNS_6TensorES4_S4_lNS_14AccumulateTypeIT0_Lb1EE4typeES8_NS0_13TensorArgTypeES9_S9_EUllE_EEvNS0_6detail10TensorInfoIT_T1_EESF_NSC_IKS6_SE_EElS8_S8_SE_T6_.uses_vcc, 1
	.set _ZN2at4cuda17kernelHistogram1DIaalLi1ELi2ELin1ELNS0_23CUDAHistogramMemoryTypeE0EZNS0_21CUDA_tensor_histogramIaaLb0EEEbNS_6TensorES4_S4_lNS_14AccumulateTypeIT0_Lb1EE4typeES8_NS0_13TensorArgTypeES9_S9_EUllE_EEvNS0_6detail10TensorInfoIT_T1_EESF_NSC_IKS6_SE_EElS8_S8_SE_T6_.uses_flat_scratch, 0
	.set _ZN2at4cuda17kernelHistogram1DIaalLi1ELi2ELin1ELNS0_23CUDAHistogramMemoryTypeE0EZNS0_21CUDA_tensor_histogramIaaLb0EEEbNS_6TensorES4_S4_lNS_14AccumulateTypeIT0_Lb1EE4typeES8_NS0_13TensorArgTypeES9_S9_EUllE_EEvNS0_6detail10TensorInfoIT_T1_EESF_NSC_IKS6_SE_EElS8_S8_SE_T6_.has_dyn_sized_stack, 0
	.set _ZN2at4cuda17kernelHistogram1DIaalLi1ELi2ELin1ELNS0_23CUDAHistogramMemoryTypeE0EZNS0_21CUDA_tensor_histogramIaaLb0EEEbNS_6TensorES4_S4_lNS_14AccumulateTypeIT0_Lb1EE4typeES8_NS0_13TensorArgTypeES9_S9_EUllE_EEvNS0_6detail10TensorInfoIT_T1_EESF_NSC_IKS6_SE_EElS8_S8_SE_T6_.has_recursion, 0
	.set _ZN2at4cuda17kernelHistogram1DIaalLi1ELi2ELin1ELNS0_23CUDAHistogramMemoryTypeE0EZNS0_21CUDA_tensor_histogramIaaLb0EEEbNS_6TensorES4_S4_lNS_14AccumulateTypeIT0_Lb1EE4typeES8_NS0_13TensorArgTypeES9_S9_EUllE_EEvNS0_6detail10TensorInfoIT_T1_EESF_NSC_IKS6_SE_EElS8_S8_SE_T6_.has_indirect_call, 0
	.section	.AMDGPU.csdata,"",@progbits
; Kernel info:
; codeLenInByte = 2716
; TotalNumSgprs: 61
; NumVgprs: 22
; ScratchSize: 0
; MemoryBound: 0
; FloatMode: 240
; IeeeMode: 1
; LDSByteSize: 0 bytes/workgroup (compile time only)
; SGPRBlocks: 7
; VGPRBlocks: 5
; NumSGPRsForWavesPerEU: 61
; NumVGPRsForWavesPerEU: 22
; Occupancy: 10
; WaveLimiterHint : 1
; COMPUTE_PGM_RSRC2:SCRATCH_EN: 0
; COMPUTE_PGM_RSRC2:USER_SGPR: 6
; COMPUTE_PGM_RSRC2:TRAP_HANDLER: 0
; COMPUTE_PGM_RSRC2:TGID_X_EN: 1
; COMPUTE_PGM_RSRC2:TGID_Y_EN: 0
; COMPUTE_PGM_RSRC2:TGID_Z_EN: 0
; COMPUTE_PGM_RSRC2:TIDIG_COMP_CNT: 0
	.section	.text._ZN2at4cuda17kernelHistogram1DIaalLi1ELi2ELin1ELNS0_23CUDAHistogramMemoryTypeE1EZNS0_21CUDA_tensor_histogramIaaLb0EEEbNS_6TensorES4_S4_lNS_14AccumulateTypeIT0_Lb1EE4typeES8_NS0_13TensorArgTypeES9_S9_EUllE_EEvNS0_6detail10TensorInfoIT_T1_EESF_NSC_IKS6_SE_EElS8_S8_SE_T6_,"axG",@progbits,_ZN2at4cuda17kernelHistogram1DIaalLi1ELi2ELin1ELNS0_23CUDAHistogramMemoryTypeE1EZNS0_21CUDA_tensor_histogramIaaLb0EEEbNS_6TensorES4_S4_lNS_14AccumulateTypeIT0_Lb1EE4typeES8_NS0_13TensorArgTypeES9_S9_EUllE_EEvNS0_6detail10TensorInfoIT_T1_EESF_NSC_IKS6_SE_EElS8_S8_SE_T6_,comdat
	.protected	_ZN2at4cuda17kernelHistogram1DIaalLi1ELi2ELin1ELNS0_23CUDAHistogramMemoryTypeE1EZNS0_21CUDA_tensor_histogramIaaLb0EEEbNS_6TensorES4_S4_lNS_14AccumulateTypeIT0_Lb1EE4typeES8_NS0_13TensorArgTypeES9_S9_EUllE_EEvNS0_6detail10TensorInfoIT_T1_EESF_NSC_IKS6_SE_EElS8_S8_SE_T6_ ; -- Begin function _ZN2at4cuda17kernelHistogram1DIaalLi1ELi2ELin1ELNS0_23CUDAHistogramMemoryTypeE1EZNS0_21CUDA_tensor_histogramIaaLb0EEEbNS_6TensorES4_S4_lNS_14AccumulateTypeIT0_Lb1EE4typeES8_NS0_13TensorArgTypeES9_S9_EUllE_EEvNS0_6detail10TensorInfoIT_T1_EESF_NSC_IKS6_SE_EElS8_S8_SE_T6_
	.globl	_ZN2at4cuda17kernelHistogram1DIaalLi1ELi2ELin1ELNS0_23CUDAHistogramMemoryTypeE1EZNS0_21CUDA_tensor_histogramIaaLb0EEEbNS_6TensorES4_S4_lNS_14AccumulateTypeIT0_Lb1EE4typeES8_NS0_13TensorArgTypeES9_S9_EUllE_EEvNS0_6detail10TensorInfoIT_T1_EESF_NSC_IKS6_SE_EElS8_S8_SE_T6_
	.p2align	8
	.type	_ZN2at4cuda17kernelHistogram1DIaalLi1ELi2ELin1ELNS0_23CUDAHistogramMemoryTypeE1EZNS0_21CUDA_tensor_histogramIaaLb0EEEbNS_6TensorES4_S4_lNS_14AccumulateTypeIT0_Lb1EE4typeES8_NS0_13TensorArgTypeES9_S9_EUllE_EEvNS0_6detail10TensorInfoIT_T1_EESF_NSC_IKS6_SE_EElS8_S8_SE_T6_,@function
_ZN2at4cuda17kernelHistogram1DIaalLi1ELi2ELin1ELNS0_23CUDAHistogramMemoryTypeE1EZNS0_21CUDA_tensor_histogramIaaLb0EEEbNS_6TensorES4_S4_lNS_14AccumulateTypeIT0_Lb1EE4typeES8_NS0_13TensorArgTypeES9_S9_EUllE_EEvNS0_6detail10TensorInfoIT_T1_EESF_NSC_IKS6_SE_EElS8_S8_SE_T6_: ; @_ZN2at4cuda17kernelHistogram1DIaalLi1ELi2ELin1ELNS0_23CUDAHistogramMemoryTypeE1EZNS0_21CUDA_tensor_histogramIaaLb0EEEbNS_6TensorES4_S4_lNS_14AccumulateTypeIT0_Lb1EE4typeES8_NS0_13TensorArgTypeES9_S9_EUllE_EEvNS0_6detail10TensorInfoIT_T1_EESF_NSC_IKS6_SE_EElS8_S8_SE_T6_
; %bb.0:
	s_load_dword s2, s[4:5], 0x6ac
	s_load_dwordx8 s[8:15], s[4:5], 0x4e0
	s_add_u32 s0, s4, 0x6a0
	s_addc_u32 s1, s5, 0
	v_mov_b32_e32 v2, 0
	s_waitcnt lgkmcnt(0)
	s_and_b32 s2, s2, 0xffff
	s_mul_i32 s6, s6, s2
	v_add_u32_e32 v0, s6, v0
	v_mov_b32_e32 v1, v2
	v_cmp_gt_i64_e32 vcc, s[14:15], v[0:1]
	s_and_saveexec_b64 s[6:7], vcc
	s_cbranch_execz .LBB65_17
; %bb.1:
	s_load_dwordx2 s[6:7], s[4:5], 0x5d0
	s_load_dword s26, s[4:5], 0x4d8
	s_load_dwordx2 s[16:17], s[4:5], 0x500
	s_load_dword s3, s[0:1], 0x0
	s_add_u32 s27, s4, 0x340
	s_addc_u32 s28, s5, 0
	s_waitcnt lgkmcnt(0)
	s_cmp_gt_i32 s26, 1
	s_cselect_b64 s[0:1], -1, 0
	s_load_dwordx2 s[18:19], s[4:5], 0x0
	s_load_dwordx2 s[20:21], s[4:5], 0xd0
	;; [unrolled: 1-line block ×4, first 2 shown]
	s_sub_u32 s33, s12, s10
	s_subb_u32 s40, s13, s11
	s_mul_i32 s41, s3, s2
	s_mov_b32 s3, 0
	s_add_i32 s2, s26, -1
	s_add_i32 s42, s26, 1
	s_lshl_b64 s[2:3], s[2:3], 3
	s_add_u32 s2, s27, s2
	s_addc_u32 s3, s28, s3
	s_add_u32 s4, s2, 8
	v_cndmask_b32_e64 v3, 0, 1, s[0:1]
	s_addc_u32 s5, s3, 0
	s_mov_b64 s[26:27], 0
	s_movk_i32 s43, 0xff
	v_cmp_ne_u32_e64 s[0:1], 1, v3
	s_branch .LBB65_3
.LBB65_2:                               ;   in Loop: Header=BB65_3 Depth=1
	s_or_b64 exec, exec, s[28:29]
	v_add_co_u32_e32 v0, vcc, s41, v0
	v_addc_co_u32_e32 v1, vcc, 0, v1, vcc
	v_cmp_le_i64_e32 vcc, s[14:15], v[0:1]
	s_or_b64 s[26:27], vcc, s[26:27]
	s_andn2_b64 exec, exec, s[26:27]
	s_cbranch_execz .LBB65_17
.LBB65_3:                               ; =>This Loop Header: Depth=1
                                        ;     Child Loop BB65_4 Depth 2
                                        ;     Child Loop BB65_16 Depth 2
	v_mov_b32_e32 v4, 0
	v_mov_b32_e32 v7, v1
	;; [unrolled: 1-line block ×4, first 2 shown]
	s_and_b64 vcc, exec, s[0:1]
	s_mov_b64 s[28:29], s[4:5]
	s_mov_b32 s44, s42
	v_mov_b32_e32 v6, v0
	v_mov_b32_e32 v8, v0
	s_cbranch_vccnz .LBB65_10
.LBB65_4:                               ;   Parent Loop BB65_3 Depth=1
                                        ; =>  This Inner Loop Header: Depth=2
	s_load_dwordx2 s[30:31], s[28:29], 0x0
                                        ; implicit-def: $vgpr8_vgpr9
	s_waitcnt lgkmcnt(0)
	v_or_b32_e32 v3, s31, v7
	v_cmp_ne_u64_e32 vcc, 0, v[2:3]
	s_and_saveexec_b64 s[2:3], vcc
	s_xor_b64 s[34:35], exec, s[2:3]
	s_cbranch_execz .LBB65_6
; %bb.5:                                ;   in Loop: Header=BB65_4 Depth=2
	s_ashr_i32 s36, s31, 31
	s_add_u32 s2, s30, s36
	s_mov_b32 s37, s36
	s_addc_u32 s3, s31, s36
	s_xor_b64 s[38:39], s[2:3], s[36:37]
	v_cvt_f32_u32_e32 v3, s38
	v_cvt_f32_u32_e32 v8, s39
	s_sub_u32 s37, 0, s38
	s_subb_u32 s45, 0, s39
	v_mac_f32_e32 v3, 0x4f800000, v8
	v_rcp_f32_e32 v3, v3
	v_mul_f32_e32 v3, 0x5f7ffffc, v3
	v_mul_f32_e32 v8, 0x2f800000, v3
	v_trunc_f32_e32 v8, v8
	v_mac_f32_e32 v3, 0xcf800000, v8
	v_cvt_u32_f32_e32 v8, v8
	v_cvt_u32_f32_e32 v3, v3
	v_readfirstlane_b32 s46, v8
	v_readfirstlane_b32 s2, v3
	s_mul_i32 s3, s37, s46
	s_mul_hi_u32 s48, s37, s2
	s_mul_i32 s47, s45, s2
	s_add_i32 s3, s48, s3
	s_add_i32 s3, s3, s47
	s_mul_i32 s49, s37, s2
	s_mul_i32 s48, s2, s3
	s_mul_hi_u32 s50, s2, s49
	s_mul_hi_u32 s47, s2, s3
	s_add_u32 s48, s50, s48
	s_addc_u32 s47, 0, s47
	s_mul_hi_u32 s51, s46, s49
	s_mul_i32 s49, s46, s49
	s_add_u32 s48, s48, s49
	s_mul_hi_u32 s50, s46, s3
	s_addc_u32 s47, s47, s51
	s_addc_u32 s48, s50, 0
	s_mul_i32 s3, s46, s3
	s_add_u32 s3, s47, s3
	s_addc_u32 s47, 0, s48
	s_add_u32 s48, s2, s3
	s_cselect_b64 s[2:3], -1, 0
	s_cmp_lg_u64 s[2:3], 0
	s_addc_u32 s46, s46, s47
	s_mul_i32 s2, s37, s46
	s_mul_hi_u32 s3, s37, s48
	s_add_i32 s2, s3, s2
	s_mul_i32 s45, s45, s48
	s_add_i32 s2, s2, s45
	s_mul_i32 s37, s37, s48
	s_mul_hi_u32 s45, s46, s37
	s_mul_i32 s47, s46, s37
	s_mul_i32 s50, s48, s2
	s_mul_hi_u32 s37, s48, s37
	s_mul_hi_u32 s49, s48, s2
	s_add_u32 s37, s37, s50
	s_addc_u32 s49, 0, s49
	s_add_u32 s37, s37, s47
	s_mul_hi_u32 s3, s46, s2
	s_addc_u32 s37, s49, s45
	s_addc_u32 s3, s3, 0
	s_mul_i32 s2, s46, s2
	s_add_u32 s2, s37, s2
	s_addc_u32 s37, 0, s3
	s_add_u32 s45, s48, s2
	s_cselect_b64 s[2:3], -1, 0
	v_ashrrev_i32_e32 v3, 31, v7
	s_cmp_lg_u64 s[2:3], 0
	v_add_co_u32_e32 v8, vcc, v6, v3
	s_addc_u32 s37, s46, s37
	v_xor_b32_e32 v12, v8, v3
	v_mad_u64_u32 v[8:9], s[2:3], v12, s37, 0
	v_mul_hi_u32 v11, v12, s45
	v_addc_co_u32_e32 v10, vcc, v7, v3, vcc
	v_xor_b32_e32 v13, v10, v3
	v_add_co_u32_e32 v14, vcc, v11, v8
	v_addc_co_u32_e32 v15, vcc, 0, v9, vcc
	v_mad_u64_u32 v[8:9], s[2:3], v13, s45, 0
	v_mad_u64_u32 v[10:11], s[2:3], v13, s37, 0
	v_add_co_u32_e32 v8, vcc, v14, v8
	v_addc_co_u32_e32 v8, vcc, v15, v9, vcc
	v_addc_co_u32_e32 v9, vcc, 0, v11, vcc
	v_add_co_u32_e32 v10, vcc, v8, v10
	v_addc_co_u32_e32 v11, vcc, 0, v9, vcc
	v_mul_lo_u32 v14, s39, v10
	v_mul_lo_u32 v15, s38, v11
	v_mad_u64_u32 v[8:9], s[2:3], s38, v10, 0
	v_xor_b32_e32 v3, s36, v3
	v_add3_u32 v9, v9, v15, v14
	v_sub_u32_e32 v14, v13, v9
	v_mov_b32_e32 v15, s39
	v_sub_co_u32_e32 v8, vcc, v12, v8
	v_subb_co_u32_e64 v12, s[2:3], v14, v15, vcc
	v_subrev_co_u32_e64 v14, s[2:3], s38, v8
	v_subbrev_co_u32_e64 v12, s[2:3], 0, v12, s[2:3]
	v_cmp_le_u32_e64 s[2:3], s39, v12
	v_cndmask_b32_e64 v15, 0, -1, s[2:3]
	v_cmp_le_u32_e64 s[2:3], s38, v14
	v_cndmask_b32_e64 v14, 0, -1, s[2:3]
	v_cmp_eq_u32_e64 s[2:3], s39, v12
	v_cndmask_b32_e64 v12, v15, v14, s[2:3]
	v_add_co_u32_e64 v14, s[2:3], 2, v10
	v_subb_co_u32_e32 v9, vcc, v13, v9, vcc
	v_addc_co_u32_e64 v15, s[2:3], 0, v11, s[2:3]
	v_cmp_le_u32_e32 vcc, s39, v9
	v_add_co_u32_e64 v16, s[2:3], 1, v10
	v_cndmask_b32_e64 v13, 0, -1, vcc
	v_cmp_le_u32_e32 vcc, s38, v8
	v_addc_co_u32_e64 v17, s[2:3], 0, v11, s[2:3]
	v_cndmask_b32_e64 v8, 0, -1, vcc
	v_cmp_eq_u32_e32 vcc, s39, v9
	v_cmp_ne_u32_e64 s[2:3], 0, v12
	v_cndmask_b32_e32 v8, v13, v8, vcc
	v_cndmask_b32_e64 v12, v17, v15, s[2:3]
	v_cmp_ne_u32_e32 vcc, 0, v8
	v_cndmask_b32_e64 v9, v16, v14, s[2:3]
	v_cndmask_b32_e32 v8, v11, v12, vcc
	v_cndmask_b32_e32 v9, v10, v9, vcc
	v_xor_b32_e32 v10, v8, v3
	v_xor_b32_e32 v8, v9, v3
	v_sub_co_u32_e32 v8, vcc, v8, v3
	v_subb_co_u32_e32 v9, vcc, v10, v3, vcc
.LBB65_6:                               ;   in Loop: Header=BB65_4 Depth=2
	s_andn2_saveexec_b64 s[2:3], s[34:35]
	s_cbranch_execz .LBB65_8
; %bb.7:                                ;   in Loop: Header=BB65_4 Depth=2
	v_cvt_f32_u32_e32 v3, s30
	s_sub_i32 s34, 0, s30
	v_rcp_iflag_f32_e32 v3, v3
	v_mul_f32_e32 v3, 0x4f7ffffe, v3
	v_cvt_u32_f32_e32 v3, v3
	v_mul_lo_u32 v8, s34, v3
	v_mul_hi_u32 v8, v3, v8
	v_add_u32_e32 v3, v3, v8
	v_mul_hi_u32 v3, v6, v3
	v_mul_lo_u32 v8, v3, s30
	v_add_u32_e32 v9, 1, v3
	v_sub_u32_e32 v8, v6, v8
	v_subrev_u32_e32 v10, s30, v8
	v_cmp_le_u32_e32 vcc, s30, v8
	v_cndmask_b32_e32 v8, v8, v10, vcc
	v_cndmask_b32_e32 v3, v3, v9, vcc
	v_add_u32_e32 v9, 1, v3
	v_cmp_le_u32_e32 vcc, s30, v8
	v_cndmask_b32_e32 v8, v3, v9, vcc
	v_mov_b32_e32 v9, v2
.LBB65_8:                               ;   in Loop: Header=BB65_4 Depth=2
	s_or_b64 exec, exec, s[2:3]
	v_mul_lo_u32 v3, v9, s30
	v_mul_lo_u32 v12, v8, s31
	v_mad_u64_u32 v[10:11], s[2:3], v8, s30, 0
	s_load_dwordx2 s[2:3], s[28:29], 0xc8
	s_add_i32 s44, s44, -1
	v_add3_u32 v3, v11, v12, v3
	v_sub_co_u32_e32 v6, vcc, v6, v10
	v_subb_co_u32_e32 v3, vcc, v7, v3, vcc
	s_waitcnt lgkmcnt(0)
	v_mul_lo_u32 v3, s2, v3
	v_mul_lo_u32 v7, s3, v6
	v_mad_u64_u32 v[4:5], s[2:3], s2, v6, v[4:5]
	s_add_u32 s28, s28, -8
	s_addc_u32 s29, s29, -1
	s_cmp_gt_u32 s44, 2
	v_add3_u32 v5, v7, v5, v3
	s_cbranch_scc0 .LBB65_10
; %bb.9:                                ;   in Loop: Header=BB65_4 Depth=2
	v_mov_b32_e32 v6, v8
	v_mov_b32_e32 v7, v9
	s_branch .LBB65_4
.LBB65_10:                              ;   in Loop: Header=BB65_3 Depth=1
	s_waitcnt lgkmcnt(0)
	v_mov_b32_e32 v6, s24
	v_mov_b32_e32 v7, s25
	v_mul_lo_u32 v3, s22, v9
	v_mul_lo_u32 v9, s23, v8
	v_mad_u64_u32 v[6:7], s[2:3], s22, v8, v[6:7]
	v_add3_u32 v7, v9, v7, v3
	v_add_co_u32_e32 v3, vcc, v6, v4
	v_addc_co_u32_e32 v4, vcc, v7, v5, vcc
	global_load_sbyte v3, v[3:4], off
	s_waitcnt vmcnt(0)
	v_bfe_i32 v3, v3, 0, 16
	v_ashrrev_i32_e32 v4, 31, v3
	v_cmp_le_i64_e32 vcc, s[10:11], v[3:4]
	v_cmp_ge_i64_e64 s[2:3], s[12:13], v[3:4]
	s_and_b64 s[2:3], vcc, s[2:3]
	s_and_saveexec_b64 s[28:29], s[2:3]
	s_cbranch_execz .LBB65_2
; %bb.11:                               ;   in Loop: Header=BB65_3 Depth=1
	v_mov_b32_e32 v5, s11
	v_subrev_co_u32_e32 v3, vcc, s10, v3
	v_subb_co_u32_e32 v4, vcc, v4, v5, vcc
	v_mul_lo_u32 v6, v4, s8
	v_mul_lo_u32 v7, v3, s9
	v_mad_u64_u32 v[4:5], s[2:3], v3, s8, 0
	v_add3_u32 v5, v5, v7, v6
	v_or_b32_e32 v3, s40, v5
	v_cmp_ne_u64_e32 vcc, 0, v[2:3]
                                        ; implicit-def: $vgpr6_vgpr7
	s_and_saveexec_b64 s[2:3], vcc
	s_xor_b64 s[30:31], exec, s[2:3]
	s_cbranch_execz .LBB65_13
; %bb.12:                               ;   in Loop: Header=BB65_3 Depth=1
	s_ashr_i32 s34, s40, 31
	s_add_u32 s2, s33, s34
	s_mov_b32 s35, s34
	s_addc_u32 s3, s40, s34
	s_xor_b64 s[36:37], s[2:3], s[34:35]
	v_cvt_f32_u32_e32 v3, s36
	v_cvt_f32_u32_e32 v6, s37
	s_sub_u32 s35, 0, s36
	s_subb_u32 s38, 0, s37
	v_ashrrev_i32_e32 v7, 31, v5
	v_mac_f32_e32 v3, 0x4f800000, v6
	v_rcp_f32_e32 v3, v3
	v_mul_f32_e32 v3, 0x5f7ffffc, v3
	v_mul_f32_e32 v6, 0x2f800000, v3
	v_trunc_f32_e32 v6, v6
	v_mac_f32_e32 v3, 0xcf800000, v6
	v_cvt_u32_f32_e32 v6, v6
	v_cvt_u32_f32_e32 v3, v3
	v_readfirstlane_b32 s39, v6
	v_readfirstlane_b32 s2, v3
	s_mul_i32 s3, s35, s39
	s_mul_hi_u32 s45, s35, s2
	s_mul_i32 s44, s38, s2
	s_add_i32 s3, s45, s3
	s_add_i32 s3, s3, s44
	s_mul_i32 s46, s35, s2
	s_mul_i32 s45, s2, s3
	s_mul_hi_u32 s47, s2, s46
	s_mul_hi_u32 s44, s2, s3
	s_add_u32 s45, s47, s45
	s_addc_u32 s44, 0, s44
	s_mul_hi_u32 s48, s39, s46
	s_mul_i32 s46, s39, s46
	s_add_u32 s45, s45, s46
	s_mul_hi_u32 s47, s39, s3
	s_addc_u32 s44, s44, s48
	s_addc_u32 s45, s47, 0
	s_mul_i32 s3, s39, s3
	s_add_u32 s3, s44, s3
	s_addc_u32 s44, 0, s45
	s_add_u32 s45, s2, s3
	s_cselect_b64 s[2:3], -1, 0
	s_cmp_lg_u64 s[2:3], 0
	s_addc_u32 s39, s39, s44
	s_mul_i32 s2, s35, s39
	s_mul_hi_u32 s3, s35, s45
	s_add_i32 s2, s3, s2
	s_mul_i32 s38, s38, s45
	s_add_i32 s2, s2, s38
	s_mul_i32 s35, s35, s45
	s_mul_hi_u32 s38, s39, s35
	s_mul_i32 s44, s39, s35
	s_mul_i32 s47, s45, s2
	s_mul_hi_u32 s35, s45, s35
	s_mul_hi_u32 s46, s45, s2
	s_add_u32 s35, s35, s47
	s_addc_u32 s46, 0, s46
	s_add_u32 s35, s35, s44
	s_mul_hi_u32 s3, s39, s2
	s_addc_u32 s35, s46, s38
	s_addc_u32 s3, s3, 0
	s_mul_i32 s2, s39, s2
	s_add_u32 s2, s35, s2
	s_addc_u32 s35, 0, s3
	s_add_u32 s38, s45, s2
	s_cselect_b64 s[2:3], -1, 0
	s_cmp_lg_u64 s[2:3], 0
	v_add_co_u32_e32 v3, vcc, v4, v7
	s_addc_u32 s35, s39, s35
	v_xor_b32_e32 v8, v3, v7
	v_mad_u64_u32 v[3:4], s[2:3], v8, s35, 0
	v_mul_hi_u32 v6, v8, s38
	v_addc_co_u32_e32 v5, vcc, v5, v7, vcc
	v_xor_b32_e32 v9, v5, v7
	v_add_co_u32_e32 v10, vcc, v6, v3
	v_addc_co_u32_e32 v11, vcc, 0, v4, vcc
	v_mad_u64_u32 v[3:4], s[2:3], v9, s38, 0
	v_mad_u64_u32 v[5:6], s[2:3], v9, s35, 0
	v_add_co_u32_e32 v3, vcc, v10, v3
	v_addc_co_u32_e32 v3, vcc, v11, v4, vcc
	v_addc_co_u32_e32 v4, vcc, 0, v6, vcc
	v_add_co_u32_e32 v5, vcc, v3, v5
	v_addc_co_u32_e32 v3, vcc, 0, v4, vcc
	v_mul_lo_u32 v6, s37, v5
	v_mul_lo_u32 v10, s36, v3
	v_mad_u64_u32 v[3:4], s[2:3], s36, v5, 0
	v_add3_u32 v4, v4, v10, v6
	v_sub_u32_e32 v6, v9, v4
	v_mov_b32_e32 v10, s37
	v_sub_co_u32_e32 v3, vcc, v8, v3
	v_subb_co_u32_e64 v6, s[2:3], v6, v10, vcc
	v_subrev_co_u32_e64 v8, s[2:3], s36, v3
	v_subbrev_co_u32_e64 v6, s[2:3], 0, v6, s[2:3]
	v_cmp_le_u32_e64 s[2:3], s37, v6
	v_subb_co_u32_e32 v4, vcc, v9, v4, vcc
	v_cndmask_b32_e64 v10, 0, -1, s[2:3]
	v_cmp_le_u32_e64 s[2:3], s36, v8
	v_cmp_le_u32_e32 vcc, s37, v4
	v_cndmask_b32_e64 v8, 0, -1, s[2:3]
	v_cmp_eq_u32_e64 s[2:3], s37, v6
	v_cndmask_b32_e64 v9, 0, -1, vcc
	v_cmp_le_u32_e32 vcc, s36, v3
	v_cndmask_b32_e64 v6, v10, v8, s[2:3]
	v_cndmask_b32_e64 v3, 0, -1, vcc
	v_cmp_eq_u32_e32 vcc, s37, v4
	v_add_co_u32_e64 v8, s[2:3], 2, v5
	v_add_co_u32_e64 v10, s[2:3], 1, v5
	v_cndmask_b32_e32 v3, v9, v3, vcc
	v_cmp_ne_u32_e32 vcc, 0, v6
	v_cndmask_b32_e32 v4, v10, v8, vcc
	v_cmp_ne_u32_e32 vcc, 0, v3
	v_cndmask_b32_e32 v3, v5, v4, vcc
	v_xor_b32_e32 v4, s34, v7
	v_xor_b32_e32 v3, v3, v4
	v_sub_co_u32_e32 v6, vcc, v3, v4
                                        ; implicit-def: $vgpr4_vgpr5
.LBB65_13:                              ;   in Loop: Header=BB65_3 Depth=1
	s_andn2_saveexec_b64 s[2:3], s[30:31]
	s_cbranch_execz .LBB65_15
; %bb.14:                               ;   in Loop: Header=BB65_3 Depth=1
	v_cvt_f32_u32_e32 v3, s33
	s_sub_i32 s30, 0, s33
	v_rcp_iflag_f32_e32 v3, v3
	v_mul_f32_e32 v3, 0x4f7ffffe, v3
	v_cvt_u32_f32_e32 v3, v3
	v_mul_lo_u32 v5, s30, v3
	v_mul_hi_u32 v5, v3, v5
	v_add_u32_e32 v3, v3, v5
	v_mul_hi_u32 v3, v4, v3
	v_mul_lo_u32 v5, v3, s33
	v_add_u32_e32 v6, 1, v3
	v_sub_u32_e32 v4, v4, v5
	v_subrev_u32_e32 v5, s33, v4
	v_cmp_le_u32_e32 vcc, s33, v4
	v_cndmask_b32_e32 v4, v4, v5, vcc
	v_cndmask_b32_e32 v3, v3, v6, vcc
	v_add_u32_e32 v5, 1, v3
	v_cmp_le_u32_e32 vcc, s33, v4
	v_cndmask_b32_e32 v6, v3, v5, vcc
.LBB65_15:                              ;   in Loop: Header=BB65_3 Depth=1
	s_or_b64 exec, exec, s[2:3]
	v_ashrrev_i32_e32 v7, 31, v6
	v_cmp_eq_u64_e32 vcc, s[8:9], v[6:7]
	v_mul_lo_u32 v9, v0, s7
	v_cndmask_b32_e64 v3, 0, 1, vcc
	v_sub_co_u32_e32 v5, vcc, v6, v3
	v_subbrev_co_u32_e32 v3, vcc, 0, v7, vcc
	v_mul_lo_u32 v8, v3, s20
	v_mov_b32_e32 v3, s18
	v_mov_b32_e32 v4, s19
	v_mul_lo_u32 v7, v5, s21
	v_mad_u64_u32 v[3:4], s[2:3], v5, s20, v[3:4]
	v_mov_b32_e32 v5, s16
	v_mov_b32_e32 v6, s17
	v_mad_u64_u32 v[5:6], s[2:3], v0, s6, v[5:6]
	v_mul_lo_u32 v10, v1, s6
	v_add3_u32 v4, v8, v4, v7
	v_add3_u32 v6, v10, v6, v9
	global_load_ubyte v7, v[5:6], off
	v_and_b32_e32 v5, 3, v3
	v_sub_co_u32_e32 v6, vcc, 0, v5
	v_subb_co_u32_e64 v8, s[2:3], 0, 0, vcc
	v_add_co_u32_e32 v3, vcc, v3, v6
	v_addc_co_u32_e32 v4, vcc, v4, v8, vcc
	global_load_dword v6, v[3:4], off
	v_lshlrev_b32_e32 v8, 3, v5
	v_lshlrev_b32_e64 v5, v8, s43
	s_mov_b64 s[2:3], 0
	v_not_b32_e32 v9, v5
.LBB65_16:                              ;   Parent Loop BB65_3 Depth=1
                                        ; =>  This Inner Loop Header: Depth=2
	s_waitcnt vmcnt(0)
	v_lshrrev_b32_e32 v5, v8, v6
	v_add_u16_e32 v5, v7, v5
	v_and_b32_e32 v10, v6, v9
	v_and_b32_e32 v5, 0xff, v5
	v_lshl_or_b32 v5, v5, v8, v10
	global_atomic_cmpswap v5, v[3:4], v[5:6], off glc
	s_waitcnt vmcnt(0)
	v_cmp_eq_u32_e32 vcc, v6, v5
	s_or_b64 s[2:3], vcc, s[2:3]
	v_mov_b32_e32 v6, v5
	s_andn2_b64 exec, exec, s[2:3]
	s_cbranch_execnz .LBB65_16
	s_branch .LBB65_2
.LBB65_17:
	s_endpgm
	.section	.rodata,"a",@progbits
	.p2align	6, 0x0
	.amdhsa_kernel _ZN2at4cuda17kernelHistogram1DIaalLi1ELi2ELin1ELNS0_23CUDAHistogramMemoryTypeE1EZNS0_21CUDA_tensor_histogramIaaLb0EEEbNS_6TensorES4_S4_lNS_14AccumulateTypeIT0_Lb1EE4typeES8_NS0_13TensorArgTypeES9_S9_EUllE_EEvNS0_6detail10TensorInfoIT_T1_EESF_NSC_IKS6_SE_EElS8_S8_SE_T6_
		.amdhsa_group_segment_fixed_size 0
		.amdhsa_private_segment_fixed_size 0
		.amdhsa_kernarg_size 1952
		.amdhsa_user_sgpr_count 6
		.amdhsa_user_sgpr_private_segment_buffer 1
		.amdhsa_user_sgpr_dispatch_ptr 0
		.amdhsa_user_sgpr_queue_ptr 0
		.amdhsa_user_sgpr_kernarg_segment_ptr 1
		.amdhsa_user_sgpr_dispatch_id 0
		.amdhsa_user_sgpr_flat_scratch_init 0
		.amdhsa_user_sgpr_private_segment_size 0
		.amdhsa_uses_dynamic_stack 0
		.amdhsa_system_sgpr_private_segment_wavefront_offset 0
		.amdhsa_system_sgpr_workgroup_id_x 1
		.amdhsa_system_sgpr_workgroup_id_y 0
		.amdhsa_system_sgpr_workgroup_id_z 0
		.amdhsa_system_sgpr_workgroup_info 0
		.amdhsa_system_vgpr_workitem_id 0
		.amdhsa_next_free_vgpr 18
		.amdhsa_next_free_sgpr 52
		.amdhsa_reserve_vcc 1
		.amdhsa_reserve_flat_scratch 0
		.amdhsa_float_round_mode_32 0
		.amdhsa_float_round_mode_16_64 0
		.amdhsa_float_denorm_mode_32 3
		.amdhsa_float_denorm_mode_16_64 3
		.amdhsa_dx10_clamp 1
		.amdhsa_ieee_mode 1
		.amdhsa_fp16_overflow 0
		.amdhsa_exception_fp_ieee_invalid_op 0
		.amdhsa_exception_fp_denorm_src 0
		.amdhsa_exception_fp_ieee_div_zero 0
		.amdhsa_exception_fp_ieee_overflow 0
		.amdhsa_exception_fp_ieee_underflow 0
		.amdhsa_exception_fp_ieee_inexact 0
		.amdhsa_exception_int_div_zero 0
	.end_amdhsa_kernel
	.section	.text._ZN2at4cuda17kernelHistogram1DIaalLi1ELi2ELin1ELNS0_23CUDAHistogramMemoryTypeE1EZNS0_21CUDA_tensor_histogramIaaLb0EEEbNS_6TensorES4_S4_lNS_14AccumulateTypeIT0_Lb1EE4typeES8_NS0_13TensorArgTypeES9_S9_EUllE_EEvNS0_6detail10TensorInfoIT_T1_EESF_NSC_IKS6_SE_EElS8_S8_SE_T6_,"axG",@progbits,_ZN2at4cuda17kernelHistogram1DIaalLi1ELi2ELin1ELNS0_23CUDAHistogramMemoryTypeE1EZNS0_21CUDA_tensor_histogramIaaLb0EEEbNS_6TensorES4_S4_lNS_14AccumulateTypeIT0_Lb1EE4typeES8_NS0_13TensorArgTypeES9_S9_EUllE_EEvNS0_6detail10TensorInfoIT_T1_EESF_NSC_IKS6_SE_EElS8_S8_SE_T6_,comdat
.Lfunc_end65:
	.size	_ZN2at4cuda17kernelHistogram1DIaalLi1ELi2ELin1ELNS0_23CUDAHistogramMemoryTypeE1EZNS0_21CUDA_tensor_histogramIaaLb0EEEbNS_6TensorES4_S4_lNS_14AccumulateTypeIT0_Lb1EE4typeES8_NS0_13TensorArgTypeES9_S9_EUllE_EEvNS0_6detail10TensorInfoIT_T1_EESF_NSC_IKS6_SE_EElS8_S8_SE_T6_, .Lfunc_end65-_ZN2at4cuda17kernelHistogram1DIaalLi1ELi2ELin1ELNS0_23CUDAHistogramMemoryTypeE1EZNS0_21CUDA_tensor_histogramIaaLb0EEEbNS_6TensorES4_S4_lNS_14AccumulateTypeIT0_Lb1EE4typeES8_NS0_13TensorArgTypeES9_S9_EUllE_EEvNS0_6detail10TensorInfoIT_T1_EESF_NSC_IKS6_SE_EElS8_S8_SE_T6_
                                        ; -- End function
	.set _ZN2at4cuda17kernelHistogram1DIaalLi1ELi2ELin1ELNS0_23CUDAHistogramMemoryTypeE1EZNS0_21CUDA_tensor_histogramIaaLb0EEEbNS_6TensorES4_S4_lNS_14AccumulateTypeIT0_Lb1EE4typeES8_NS0_13TensorArgTypeES9_S9_EUllE_EEvNS0_6detail10TensorInfoIT_T1_EESF_NSC_IKS6_SE_EElS8_S8_SE_T6_.num_vgpr, 18
	.set _ZN2at4cuda17kernelHistogram1DIaalLi1ELi2ELin1ELNS0_23CUDAHistogramMemoryTypeE1EZNS0_21CUDA_tensor_histogramIaaLb0EEEbNS_6TensorES4_S4_lNS_14AccumulateTypeIT0_Lb1EE4typeES8_NS0_13TensorArgTypeES9_S9_EUllE_EEvNS0_6detail10TensorInfoIT_T1_EESF_NSC_IKS6_SE_EElS8_S8_SE_T6_.num_agpr, 0
	.set _ZN2at4cuda17kernelHistogram1DIaalLi1ELi2ELin1ELNS0_23CUDAHistogramMemoryTypeE1EZNS0_21CUDA_tensor_histogramIaaLb0EEEbNS_6TensorES4_S4_lNS_14AccumulateTypeIT0_Lb1EE4typeES8_NS0_13TensorArgTypeES9_S9_EUllE_EEvNS0_6detail10TensorInfoIT_T1_EESF_NSC_IKS6_SE_EElS8_S8_SE_T6_.numbered_sgpr, 52
	.set _ZN2at4cuda17kernelHistogram1DIaalLi1ELi2ELin1ELNS0_23CUDAHistogramMemoryTypeE1EZNS0_21CUDA_tensor_histogramIaaLb0EEEbNS_6TensorES4_S4_lNS_14AccumulateTypeIT0_Lb1EE4typeES8_NS0_13TensorArgTypeES9_S9_EUllE_EEvNS0_6detail10TensorInfoIT_T1_EESF_NSC_IKS6_SE_EElS8_S8_SE_T6_.num_named_barrier, 0
	.set _ZN2at4cuda17kernelHistogram1DIaalLi1ELi2ELin1ELNS0_23CUDAHistogramMemoryTypeE1EZNS0_21CUDA_tensor_histogramIaaLb0EEEbNS_6TensorES4_S4_lNS_14AccumulateTypeIT0_Lb1EE4typeES8_NS0_13TensorArgTypeES9_S9_EUllE_EEvNS0_6detail10TensorInfoIT_T1_EESF_NSC_IKS6_SE_EElS8_S8_SE_T6_.private_seg_size, 0
	.set _ZN2at4cuda17kernelHistogram1DIaalLi1ELi2ELin1ELNS0_23CUDAHistogramMemoryTypeE1EZNS0_21CUDA_tensor_histogramIaaLb0EEEbNS_6TensorES4_S4_lNS_14AccumulateTypeIT0_Lb1EE4typeES8_NS0_13TensorArgTypeES9_S9_EUllE_EEvNS0_6detail10TensorInfoIT_T1_EESF_NSC_IKS6_SE_EElS8_S8_SE_T6_.uses_vcc, 1
	.set _ZN2at4cuda17kernelHistogram1DIaalLi1ELi2ELin1ELNS0_23CUDAHistogramMemoryTypeE1EZNS0_21CUDA_tensor_histogramIaaLb0EEEbNS_6TensorES4_S4_lNS_14AccumulateTypeIT0_Lb1EE4typeES8_NS0_13TensorArgTypeES9_S9_EUllE_EEvNS0_6detail10TensorInfoIT_T1_EESF_NSC_IKS6_SE_EElS8_S8_SE_T6_.uses_flat_scratch, 0
	.set _ZN2at4cuda17kernelHistogram1DIaalLi1ELi2ELin1ELNS0_23CUDAHistogramMemoryTypeE1EZNS0_21CUDA_tensor_histogramIaaLb0EEEbNS_6TensorES4_S4_lNS_14AccumulateTypeIT0_Lb1EE4typeES8_NS0_13TensorArgTypeES9_S9_EUllE_EEvNS0_6detail10TensorInfoIT_T1_EESF_NSC_IKS6_SE_EElS8_S8_SE_T6_.has_dyn_sized_stack, 0
	.set _ZN2at4cuda17kernelHistogram1DIaalLi1ELi2ELin1ELNS0_23CUDAHistogramMemoryTypeE1EZNS0_21CUDA_tensor_histogramIaaLb0EEEbNS_6TensorES4_S4_lNS_14AccumulateTypeIT0_Lb1EE4typeES8_NS0_13TensorArgTypeES9_S9_EUllE_EEvNS0_6detail10TensorInfoIT_T1_EESF_NSC_IKS6_SE_EElS8_S8_SE_T6_.has_recursion, 0
	.set _ZN2at4cuda17kernelHistogram1DIaalLi1ELi2ELin1ELNS0_23CUDAHistogramMemoryTypeE1EZNS0_21CUDA_tensor_histogramIaaLb0EEEbNS_6TensorES4_S4_lNS_14AccumulateTypeIT0_Lb1EE4typeES8_NS0_13TensorArgTypeES9_S9_EUllE_EEvNS0_6detail10TensorInfoIT_T1_EESF_NSC_IKS6_SE_EElS8_S8_SE_T6_.has_indirect_call, 0
	.section	.AMDGPU.csdata,"",@progbits
; Kernel info:
; codeLenInByte = 2228
; TotalNumSgprs: 56
; NumVgprs: 18
; ScratchSize: 0
; MemoryBound: 0
; FloatMode: 240
; IeeeMode: 1
; LDSByteSize: 0 bytes/workgroup (compile time only)
; SGPRBlocks: 6
; VGPRBlocks: 4
; NumSGPRsForWavesPerEU: 56
; NumVGPRsForWavesPerEU: 18
; Occupancy: 10
; WaveLimiterHint : 1
; COMPUTE_PGM_RSRC2:SCRATCH_EN: 0
; COMPUTE_PGM_RSRC2:USER_SGPR: 6
; COMPUTE_PGM_RSRC2:TRAP_HANDLER: 0
; COMPUTE_PGM_RSRC2:TGID_X_EN: 1
; COMPUTE_PGM_RSRC2:TGID_Y_EN: 0
; COMPUTE_PGM_RSRC2:TGID_Z_EN: 0
; COMPUTE_PGM_RSRC2:TIDIG_COMP_CNT: 0
	.section	.text._ZN2at4cuda17kernelHistogram1DIaalLi1ELi2ELin1ELNS0_23CUDAHistogramMemoryTypeE0EZNS0_21CUDA_tensor_histogramIaaLb0EEEbNS_6TensorES4_S4_lNS_14AccumulateTypeIT0_Lb1EE4typeES8_NS0_13TensorArgTypeES9_S9_EUllE0_EEvNS0_6detail10TensorInfoIT_T1_EESF_NSC_IKS6_SE_EElS8_S8_SE_T6_,"axG",@progbits,_ZN2at4cuda17kernelHistogram1DIaalLi1ELi2ELin1ELNS0_23CUDAHistogramMemoryTypeE0EZNS0_21CUDA_tensor_histogramIaaLb0EEEbNS_6TensorES4_S4_lNS_14AccumulateTypeIT0_Lb1EE4typeES8_NS0_13TensorArgTypeES9_S9_EUllE0_EEvNS0_6detail10TensorInfoIT_T1_EESF_NSC_IKS6_SE_EElS8_S8_SE_T6_,comdat
	.protected	_ZN2at4cuda17kernelHistogram1DIaalLi1ELi2ELin1ELNS0_23CUDAHistogramMemoryTypeE0EZNS0_21CUDA_tensor_histogramIaaLb0EEEbNS_6TensorES4_S4_lNS_14AccumulateTypeIT0_Lb1EE4typeES8_NS0_13TensorArgTypeES9_S9_EUllE0_EEvNS0_6detail10TensorInfoIT_T1_EESF_NSC_IKS6_SE_EElS8_S8_SE_T6_ ; -- Begin function _ZN2at4cuda17kernelHistogram1DIaalLi1ELi2ELin1ELNS0_23CUDAHistogramMemoryTypeE0EZNS0_21CUDA_tensor_histogramIaaLb0EEEbNS_6TensorES4_S4_lNS_14AccumulateTypeIT0_Lb1EE4typeES8_NS0_13TensorArgTypeES9_S9_EUllE0_EEvNS0_6detail10TensorInfoIT_T1_EESF_NSC_IKS6_SE_EElS8_S8_SE_T6_
	.globl	_ZN2at4cuda17kernelHistogram1DIaalLi1ELi2ELin1ELNS0_23CUDAHistogramMemoryTypeE0EZNS0_21CUDA_tensor_histogramIaaLb0EEEbNS_6TensorES4_S4_lNS_14AccumulateTypeIT0_Lb1EE4typeES8_NS0_13TensorArgTypeES9_S9_EUllE0_EEvNS0_6detail10TensorInfoIT_T1_EESF_NSC_IKS6_SE_EElS8_S8_SE_T6_
	.p2align	8
	.type	_ZN2at4cuda17kernelHistogram1DIaalLi1ELi2ELin1ELNS0_23CUDAHistogramMemoryTypeE0EZNS0_21CUDA_tensor_histogramIaaLb0EEEbNS_6TensorES4_S4_lNS_14AccumulateTypeIT0_Lb1EE4typeES8_NS0_13TensorArgTypeES9_S9_EUllE0_EEvNS0_6detail10TensorInfoIT_T1_EESF_NSC_IKS6_SE_EElS8_S8_SE_T6_,@function
_ZN2at4cuda17kernelHistogram1DIaalLi1ELi2ELin1ELNS0_23CUDAHistogramMemoryTypeE0EZNS0_21CUDA_tensor_histogramIaaLb0EEEbNS_6TensorES4_S4_lNS_14AccumulateTypeIT0_Lb1EE4typeES8_NS0_13TensorArgTypeES9_S9_EUllE0_EEvNS0_6detail10TensorInfoIT_T1_EESF_NSC_IKS6_SE_EElS8_S8_SE_T6_: ; @_ZN2at4cuda17kernelHistogram1DIaalLi1ELi2ELin1ELNS0_23CUDAHistogramMemoryTypeE0EZNS0_21CUDA_tensor_histogramIaaLb0EEEbNS_6TensorES4_S4_lNS_14AccumulateTypeIT0_Lb1EE4typeES8_NS0_13TensorArgTypeES9_S9_EUllE0_EEvNS0_6detail10TensorInfoIT_T1_EESF_NSC_IKS6_SE_EElS8_S8_SE_T6_
; %bb.0:
	s_load_dwordx4 s[16:19], s[4:5], 0x0
	v_mov_b32_e32 v1, 0
	s_add_u32 s24, s4, 0x508
	s_addc_u32 s25, s5, 0
                                        ; implicit-def: $sgpr7
	s_waitcnt lgkmcnt(0)
	v_cmp_gt_i64_e64 s[0:1], s[18:19], v[0:1]
	v_cmp_le_i64_e32 vcc, s[18:19], v[0:1]
	s_and_saveexec_b64 s[2:3], vcc
	s_xor_b64 s[2:3], exec, s[2:3]
; %bb.1:
	s_load_dword s7, s[24:25], 0xc
; %bb.2:
	s_or_saveexec_b64 s[8:9], s[2:3]
	s_waitcnt lgkmcnt(0)
	v_mov_b32_e32 v2, s7
	s_xor_b64 exec, exec, s[8:9]
	s_cbranch_execz .LBB66_12
; %bb.3:
	v_add_u32_e32 v2, 1, v0
	v_mov_b32_e32 v3, 0
	s_load_dword s7, s[24:25], 0xc
	v_cmp_gt_i64_e32 vcc, s[18:19], v[2:3]
	v_mov_b32_e32 v4, s19
	v_cndmask_b32_e32 v5, 0, v4, vcc
	v_mov_b32_e32 v4, s18
	v_cndmask_b32_e32 v2, v2, v4, vcc
	v_sub_co_u32_e32 v4, vcc, v2, v0
	s_waitcnt lgkmcnt(0)
	s_and_b32 s14, s7, 0xffff
	v_subbrev_co_u32_e32 v5, vcc, 0, v5, vcc
	v_cmp_lt_u64_e32 vcc, 3, v[4:5]
	s_cmp_eq_u32 s14, 1
	s_cselect_b64 s[2:3], -1, 0
	v_mov_b32_e32 v7, v1
	s_and_b64 s[2:3], vcc, s[2:3]
	s_mov_b64 s[12:13], -1
	v_mov_b32_e32 v6, v0
	s_and_saveexec_b64 s[10:11], s[2:3]
	s_cbranch_execz .LBB66_7
; %bb.4:
	v_mov_b32_e32 v7, v5
	v_and_b32_e32 v6, -4, v4
	v_mov_b32_e32 v9, v7
	v_add_u32_e32 v2, 0, v0
	s_mov_b64 s[2:3], 0
	v_mov_b32_e32 v8, v6
.LBB66_5:                               ; =>This Inner Loop Header: Depth=1
	v_add_co_u32_e32 v8, vcc, -4, v8
	v_addc_co_u32_e32 v9, vcc, -1, v9, vcc
	v_cmp_eq_u64_e32 vcc, 0, v[8:9]
	ds_write_b32 v2, v3
	s_or_b64 s[2:3], vcc, s[2:3]
	v_add_u32_e32 v2, 4, v2
	s_andn2_b64 exec, exec, s[2:3]
	s_cbranch_execnz .LBB66_5
; %bb.6:
	s_or_b64 exec, exec, s[2:3]
	v_cmp_ne_u64_e32 vcc, v[4:5], v[6:7]
	v_add_co_u32_e64 v6, s[2:3], v6, v0
	v_addc_co_u32_e64 v7, s[2:3], 0, v7, s[2:3]
	s_orn2_b64 s[12:13], vcc, exec
.LBB66_7:
	s_or_b64 exec, exec, s[10:11]
	v_mov_b32_e32 v2, 1
	s_and_saveexec_b64 s[2:3], s[12:13]
	s_cbranch_execz .LBB66_11
; %bb.8:
	v_add_u32_e32 v2, 0, v6
	s_mov_b64 s[10:11], 0
	v_mov_b32_e32 v3, 0
.LBB66_9:                               ; =>This Inner Loop Header: Depth=1
	v_add_co_u32_e32 v6, vcc, s14, v6
	v_addc_co_u32_e32 v7, vcc, 0, v7, vcc
	v_cmp_le_i64_e32 vcc, s[18:19], v[6:7]
	ds_write_b8 v2, v3
	s_or_b64 s[10:11], vcc, s[10:11]
	v_add_u32_e32 v2, s14, v2
	s_andn2_b64 exec, exec, s[10:11]
	s_cbranch_execnz .LBB66_9
; %bb.10:
	s_or_b64 exec, exec, s[10:11]
	v_mov_b32_e32 v2, s7
.LBB66_11:
	s_or_b64 exec, exec, s[2:3]
.LBB66_12:
	s_or_b64 exec, exec, s[8:9]
	s_load_dwordx2 s[20:21], s[4:5], 0xd0
	s_load_dwordx8 s[8:15], s[4:5], 0x4e0
	v_and_b32_e32 v12, 0xffff, v2
	v_mad_u64_u32 v[2:3], s[2:3], s6, v12, v[0:1]
	v_mov_b32_e32 v4, 0
	v_mov_b32_e32 v3, v4
	s_waitcnt lgkmcnt(0)
	v_cmp_gt_i64_e32 vcc, s[14:15], v[2:3]
	s_barrier
	s_and_saveexec_b64 s[6:7], vcc
	s_cbranch_execz .LBB66_29
; %bb.13:
	s_load_dword s26, s[4:5], 0x4d8
	s_add_u32 s27, s4, 0x340
	s_addc_u32 s29, s5, 0
	s_load_dword s28, s[24:25], 0x0
	s_load_dwordx2 s[22:23], s[4:5], 0x410
	s_movk_i32 s44, 0xff
	s_load_dwordx2 s[24:25], s[4:5], 0x340
	s_waitcnt lgkmcnt(0)
	s_cmp_gt_i32 s26, 1
	s_cselect_b64 s[2:3], -1, 0
	s_sub_u32 s33, s12, s10
	s_subb_u32 s42, s13, s11
	s_mov_b32 s5, 0
	s_add_i32 s4, s26, -1
	s_add_i32 s43, s26, 1
	s_lshl_b64 s[4:5], s[4:5], 3
	v_mul_lo_u32 v13, s28, v12
	s_add_u32 s4, s27, s4
	s_addc_u32 s5, s29, s5
	s_add_u32 s26, s4, 8
	v_cndmask_b32_e64 v5, 0, 1, s[2:3]
	s_addc_u32 s27, s5, 0
	s_mov_b64 s[28:29], 0
	v_cmp_ne_u32_e64 s[2:3], 1, v5
	s_branch .LBB66_15
.LBB66_14:                              ;   in Loop: Header=BB66_15 Depth=1
	s_or_b64 exec, exec, s[30:31]
	v_add_co_u32_e32 v2, vcc, v2, v13
	v_addc_co_u32_e32 v3, vcc, 0, v3, vcc
	v_cmp_le_i64_e32 vcc, s[14:15], v[2:3]
	s_or_b64 s[28:29], vcc, s[28:29]
	s_andn2_b64 exec, exec, s[28:29]
	s_cbranch_execz .LBB66_29
.LBB66_15:                              ; =>This Loop Header: Depth=1
                                        ;     Child Loop BB66_16 Depth 2
                                        ;     Child Loop BB66_28 Depth 2
	v_mov_b32_e32 v6, 0
	v_mov_b32_e32 v9, v3
	;; [unrolled: 1-line block ×4, first 2 shown]
	s_and_b64 vcc, exec, s[2:3]
	s_mov_b64 s[30:31], s[26:27]
	s_mov_b32 s45, s43
	v_mov_b32_e32 v8, v2
	v_mov_b32_e32 v10, v2
	s_cbranch_vccnz .LBB66_22
.LBB66_16:                              ;   Parent Loop BB66_15 Depth=1
                                        ; =>  This Inner Loop Header: Depth=2
	s_load_dwordx2 s[34:35], s[30:31], 0x0
                                        ; implicit-def: $vgpr10_vgpr11
	s_waitcnt lgkmcnt(0)
	v_or_b32_e32 v5, s35, v9
	v_cmp_ne_u64_e32 vcc, 0, v[4:5]
	s_and_saveexec_b64 s[4:5], vcc
	s_xor_b64 s[36:37], exec, s[4:5]
	s_cbranch_execz .LBB66_18
; %bb.17:                               ;   in Loop: Header=BB66_16 Depth=2
	s_ashr_i32 s38, s35, 31
	s_add_u32 s4, s34, s38
	s_mov_b32 s39, s38
	s_addc_u32 s5, s35, s38
	s_xor_b64 s[40:41], s[4:5], s[38:39]
	v_cvt_f32_u32_e32 v5, s40
	v_cvt_f32_u32_e32 v10, s41
	s_sub_u32 s39, 0, s40
	s_subb_u32 s46, 0, s41
	v_mac_f32_e32 v5, 0x4f800000, v10
	v_rcp_f32_e32 v5, v5
	v_mul_f32_e32 v5, 0x5f7ffffc, v5
	v_mul_f32_e32 v10, 0x2f800000, v5
	v_trunc_f32_e32 v10, v10
	v_mac_f32_e32 v5, 0xcf800000, v10
	v_cvt_u32_f32_e32 v10, v10
	v_cvt_u32_f32_e32 v5, v5
	v_readfirstlane_b32 s47, v10
	v_readfirstlane_b32 s4, v5
	s_mul_i32 s5, s39, s47
	s_mul_hi_u32 s49, s39, s4
	s_mul_i32 s48, s46, s4
	s_add_i32 s5, s49, s5
	s_add_i32 s5, s5, s48
	s_mul_i32 s50, s39, s4
	s_mul_i32 s49, s4, s5
	s_mul_hi_u32 s51, s4, s50
	s_mul_hi_u32 s48, s4, s5
	s_add_u32 s49, s51, s49
	s_addc_u32 s48, 0, s48
	s_mul_hi_u32 s52, s47, s50
	s_mul_i32 s50, s47, s50
	s_add_u32 s49, s49, s50
	s_mul_hi_u32 s51, s47, s5
	s_addc_u32 s48, s48, s52
	s_addc_u32 s49, s51, 0
	s_mul_i32 s5, s47, s5
	s_add_u32 s5, s48, s5
	s_addc_u32 s48, 0, s49
	s_add_u32 s49, s4, s5
	s_cselect_b64 s[4:5], -1, 0
	s_cmp_lg_u64 s[4:5], 0
	s_addc_u32 s47, s47, s48
	s_mul_i32 s4, s39, s47
	s_mul_hi_u32 s5, s39, s49
	s_add_i32 s4, s5, s4
	s_mul_i32 s46, s46, s49
	s_add_i32 s4, s4, s46
	s_mul_i32 s39, s39, s49
	s_mul_hi_u32 s46, s47, s39
	s_mul_i32 s48, s47, s39
	s_mul_i32 s51, s49, s4
	s_mul_hi_u32 s39, s49, s39
	s_mul_hi_u32 s50, s49, s4
	s_add_u32 s39, s39, s51
	s_addc_u32 s50, 0, s50
	s_add_u32 s39, s39, s48
	s_mul_hi_u32 s5, s47, s4
	s_addc_u32 s39, s50, s46
	s_addc_u32 s5, s5, 0
	s_mul_i32 s4, s47, s4
	s_add_u32 s4, s39, s4
	s_addc_u32 s39, 0, s5
	s_add_u32 s46, s49, s4
	s_cselect_b64 s[4:5], -1, 0
	v_ashrrev_i32_e32 v5, 31, v9
	s_cmp_lg_u64 s[4:5], 0
	v_add_co_u32_e32 v10, vcc, v8, v5
	s_addc_u32 s39, s47, s39
	v_xor_b32_e32 v16, v10, v5
	v_mad_u64_u32 v[10:11], s[4:5], v16, s39, 0
	v_mul_hi_u32 v15, v16, s46
	v_addc_co_u32_e32 v14, vcc, v9, v5, vcc
	v_xor_b32_e32 v17, v14, v5
	v_add_co_u32_e32 v18, vcc, v15, v10
	v_addc_co_u32_e32 v19, vcc, 0, v11, vcc
	v_mad_u64_u32 v[10:11], s[4:5], v17, s46, 0
	v_mad_u64_u32 v[14:15], s[4:5], v17, s39, 0
	v_add_co_u32_e32 v10, vcc, v18, v10
	v_addc_co_u32_e32 v10, vcc, v19, v11, vcc
	v_addc_co_u32_e32 v11, vcc, 0, v15, vcc
	v_add_co_u32_e32 v14, vcc, v10, v14
	v_addc_co_u32_e32 v15, vcc, 0, v11, vcc
	v_mul_lo_u32 v18, s41, v14
	v_mul_lo_u32 v19, s40, v15
	v_mad_u64_u32 v[10:11], s[4:5], s40, v14, 0
	v_xor_b32_e32 v5, s38, v5
	v_add3_u32 v11, v11, v19, v18
	v_sub_u32_e32 v18, v17, v11
	v_mov_b32_e32 v19, s41
	v_sub_co_u32_e32 v10, vcc, v16, v10
	v_subb_co_u32_e64 v16, s[4:5], v18, v19, vcc
	v_subrev_co_u32_e64 v18, s[4:5], s40, v10
	v_subbrev_co_u32_e64 v16, s[4:5], 0, v16, s[4:5]
	v_cmp_le_u32_e64 s[4:5], s41, v16
	v_cndmask_b32_e64 v19, 0, -1, s[4:5]
	v_cmp_le_u32_e64 s[4:5], s40, v18
	v_cndmask_b32_e64 v18, 0, -1, s[4:5]
	v_cmp_eq_u32_e64 s[4:5], s41, v16
	v_cndmask_b32_e64 v16, v19, v18, s[4:5]
	v_add_co_u32_e64 v18, s[4:5], 2, v14
	v_subb_co_u32_e32 v11, vcc, v17, v11, vcc
	v_addc_co_u32_e64 v19, s[4:5], 0, v15, s[4:5]
	v_cmp_le_u32_e32 vcc, s41, v11
	v_add_co_u32_e64 v20, s[4:5], 1, v14
	v_cndmask_b32_e64 v17, 0, -1, vcc
	v_cmp_le_u32_e32 vcc, s40, v10
	v_addc_co_u32_e64 v21, s[4:5], 0, v15, s[4:5]
	v_cndmask_b32_e64 v10, 0, -1, vcc
	v_cmp_eq_u32_e32 vcc, s41, v11
	v_cmp_ne_u32_e64 s[4:5], 0, v16
	v_cndmask_b32_e32 v10, v17, v10, vcc
	v_cndmask_b32_e64 v16, v21, v19, s[4:5]
	v_cmp_ne_u32_e32 vcc, 0, v10
	v_cndmask_b32_e64 v11, v20, v18, s[4:5]
	v_cndmask_b32_e32 v10, v15, v16, vcc
	v_cndmask_b32_e32 v11, v14, v11, vcc
	v_xor_b32_e32 v14, v10, v5
	v_xor_b32_e32 v10, v11, v5
	v_sub_co_u32_e32 v10, vcc, v10, v5
	v_subb_co_u32_e32 v11, vcc, v14, v5, vcc
.LBB66_18:                              ;   in Loop: Header=BB66_16 Depth=2
	s_andn2_saveexec_b64 s[4:5], s[36:37]
	s_cbranch_execz .LBB66_20
; %bb.19:                               ;   in Loop: Header=BB66_16 Depth=2
	v_cvt_f32_u32_e32 v5, s34
	s_sub_i32 s36, 0, s34
	v_rcp_iflag_f32_e32 v5, v5
	v_mul_f32_e32 v5, 0x4f7ffffe, v5
	v_cvt_u32_f32_e32 v5, v5
	v_mul_lo_u32 v10, s36, v5
	v_mul_hi_u32 v10, v5, v10
	v_add_u32_e32 v5, v5, v10
	v_mul_hi_u32 v5, v8, v5
	v_mul_lo_u32 v10, v5, s34
	v_add_u32_e32 v11, 1, v5
	v_sub_u32_e32 v10, v8, v10
	v_subrev_u32_e32 v14, s34, v10
	v_cmp_le_u32_e32 vcc, s34, v10
	v_cndmask_b32_e32 v10, v10, v14, vcc
	v_cndmask_b32_e32 v5, v5, v11, vcc
	v_add_u32_e32 v11, 1, v5
	v_cmp_le_u32_e32 vcc, s34, v10
	v_cndmask_b32_e32 v10, v5, v11, vcc
	v_mov_b32_e32 v11, v4
.LBB66_20:                              ;   in Loop: Header=BB66_16 Depth=2
	s_or_b64 exec, exec, s[4:5]
	v_mul_lo_u32 v5, v11, s34
	v_mul_lo_u32 v16, v10, s35
	v_mad_u64_u32 v[14:15], s[4:5], v10, s34, 0
	s_load_dwordx2 s[4:5], s[30:31], 0xc8
	s_add_i32 s45, s45, -1
	v_add3_u32 v5, v15, v16, v5
	v_sub_co_u32_e32 v8, vcc, v8, v14
	v_subb_co_u32_e32 v5, vcc, v9, v5, vcc
	s_waitcnt lgkmcnt(0)
	v_mul_lo_u32 v5, s4, v5
	v_mul_lo_u32 v9, s5, v8
	v_mad_u64_u32 v[6:7], s[4:5], s4, v8, v[6:7]
	s_add_u32 s30, s30, -8
	s_addc_u32 s31, s31, -1
	s_cmp_gt_u32 s45, 2
	v_add3_u32 v7, v9, v7, v5
	s_cbranch_scc0 .LBB66_22
; %bb.21:                               ;   in Loop: Header=BB66_16 Depth=2
	v_mov_b32_e32 v8, v10
	v_mov_b32_e32 v9, v11
	s_branch .LBB66_16
.LBB66_22:                              ;   in Loop: Header=BB66_15 Depth=1
	v_mov_b32_e32 v8, s24
	v_mov_b32_e32 v9, s25
	v_mul_lo_u32 v5, s22, v11
	v_mul_lo_u32 v11, s23, v10
	v_mad_u64_u32 v[8:9], s[4:5], s22, v10, v[8:9]
	v_add3_u32 v9, v11, v9, v5
	v_add_co_u32_e32 v5, vcc, v8, v6
	v_addc_co_u32_e32 v6, vcc, v9, v7, vcc
	global_load_sbyte v5, v[5:6], off
	s_waitcnt vmcnt(0)
	v_bfe_i32 v5, v5, 0, 16
	v_ashrrev_i32_e32 v6, 31, v5
	v_cmp_le_i64_e32 vcc, s[10:11], v[5:6]
	v_cmp_ge_i64_e64 s[4:5], s[12:13], v[5:6]
	s_and_b64 s[4:5], vcc, s[4:5]
	s_and_saveexec_b64 s[30:31], s[4:5]
	s_cbranch_execz .LBB66_14
; %bb.23:                               ;   in Loop: Header=BB66_15 Depth=1
	v_mov_b32_e32 v7, s11
	v_subrev_co_u32_e32 v5, vcc, s10, v5
	v_subb_co_u32_e32 v6, vcc, v6, v7, vcc
	v_mul_lo_u32 v8, v6, s8
	v_mul_lo_u32 v9, v5, s9
	v_mad_u64_u32 v[6:7], s[4:5], v5, s8, 0
	v_add3_u32 v7, v7, v9, v8
	v_or_b32_e32 v5, s42, v7
	v_cmp_ne_u64_e32 vcc, 0, v[4:5]
                                        ; implicit-def: $vgpr8_vgpr9
	s_and_saveexec_b64 s[4:5], vcc
	s_xor_b64 s[34:35], exec, s[4:5]
	s_cbranch_execz .LBB66_25
; %bb.24:                               ;   in Loop: Header=BB66_15 Depth=1
	s_ashr_i32 s36, s42, 31
	s_add_u32 s4, s33, s36
	s_mov_b32 s37, s36
	s_addc_u32 s5, s42, s36
	s_xor_b64 s[38:39], s[4:5], s[36:37]
	v_cvt_f32_u32_e32 v5, s38
	v_cvt_f32_u32_e32 v8, s39
	s_sub_u32 s37, 0, s38
	s_subb_u32 s40, 0, s39
	v_ashrrev_i32_e32 v9, 31, v7
	v_mac_f32_e32 v5, 0x4f800000, v8
	v_rcp_f32_e32 v5, v5
	v_mul_f32_e32 v5, 0x5f7ffffc, v5
	v_mul_f32_e32 v8, 0x2f800000, v5
	v_trunc_f32_e32 v8, v8
	v_mac_f32_e32 v5, 0xcf800000, v8
	v_cvt_u32_f32_e32 v8, v8
	v_cvt_u32_f32_e32 v5, v5
	v_readfirstlane_b32 s41, v8
	v_readfirstlane_b32 s4, v5
	s_mul_i32 s5, s37, s41
	s_mul_hi_u32 s46, s37, s4
	s_mul_i32 s45, s40, s4
	s_add_i32 s5, s46, s5
	s_add_i32 s5, s5, s45
	s_mul_i32 s47, s37, s4
	s_mul_i32 s46, s4, s5
	s_mul_hi_u32 s48, s4, s47
	s_mul_hi_u32 s45, s4, s5
	s_add_u32 s46, s48, s46
	s_addc_u32 s45, 0, s45
	s_mul_hi_u32 s49, s41, s47
	s_mul_i32 s47, s41, s47
	s_add_u32 s46, s46, s47
	s_mul_hi_u32 s48, s41, s5
	s_addc_u32 s45, s45, s49
	s_addc_u32 s46, s48, 0
	s_mul_i32 s5, s41, s5
	s_add_u32 s5, s45, s5
	s_addc_u32 s45, 0, s46
	s_add_u32 s46, s4, s5
	s_cselect_b64 s[4:5], -1, 0
	s_cmp_lg_u64 s[4:5], 0
	s_addc_u32 s41, s41, s45
	s_mul_i32 s4, s37, s41
	s_mul_hi_u32 s5, s37, s46
	s_add_i32 s4, s5, s4
	s_mul_i32 s40, s40, s46
	s_add_i32 s4, s4, s40
	s_mul_i32 s37, s37, s46
	s_mul_hi_u32 s40, s41, s37
	s_mul_i32 s45, s41, s37
	s_mul_i32 s48, s46, s4
	s_mul_hi_u32 s37, s46, s37
	s_mul_hi_u32 s47, s46, s4
	s_add_u32 s37, s37, s48
	s_addc_u32 s47, 0, s47
	s_add_u32 s37, s37, s45
	s_mul_hi_u32 s5, s41, s4
	s_addc_u32 s37, s47, s40
	s_addc_u32 s5, s5, 0
	s_mul_i32 s4, s41, s4
	s_add_u32 s4, s37, s4
	s_addc_u32 s37, 0, s5
	s_add_u32 s40, s46, s4
	s_cselect_b64 s[4:5], -1, 0
	s_cmp_lg_u64 s[4:5], 0
	v_add_co_u32_e32 v5, vcc, v6, v9
	s_addc_u32 s37, s41, s37
	v_xor_b32_e32 v10, v5, v9
	v_mad_u64_u32 v[5:6], s[4:5], v10, s37, 0
	v_mul_hi_u32 v8, v10, s40
	v_addc_co_u32_e32 v7, vcc, v7, v9, vcc
	v_xor_b32_e32 v11, v7, v9
	v_add_co_u32_e32 v14, vcc, v8, v5
	v_addc_co_u32_e32 v15, vcc, 0, v6, vcc
	v_mad_u64_u32 v[5:6], s[4:5], v11, s40, 0
	v_mad_u64_u32 v[7:8], s[4:5], v11, s37, 0
	v_add_co_u32_e32 v5, vcc, v14, v5
	v_addc_co_u32_e32 v5, vcc, v15, v6, vcc
	v_addc_co_u32_e32 v6, vcc, 0, v8, vcc
	v_add_co_u32_e32 v7, vcc, v5, v7
	v_addc_co_u32_e32 v5, vcc, 0, v6, vcc
	v_mul_lo_u32 v8, s39, v7
	v_mul_lo_u32 v14, s38, v5
	v_mad_u64_u32 v[5:6], s[4:5], s38, v7, 0
	v_add3_u32 v6, v6, v14, v8
	v_sub_u32_e32 v8, v11, v6
	v_mov_b32_e32 v14, s39
	v_sub_co_u32_e32 v5, vcc, v10, v5
	v_subb_co_u32_e64 v8, s[4:5], v8, v14, vcc
	v_subrev_co_u32_e64 v10, s[4:5], s38, v5
	v_subbrev_co_u32_e64 v8, s[4:5], 0, v8, s[4:5]
	v_cmp_le_u32_e64 s[4:5], s39, v8
	v_subb_co_u32_e32 v6, vcc, v11, v6, vcc
	v_cndmask_b32_e64 v14, 0, -1, s[4:5]
	v_cmp_le_u32_e64 s[4:5], s38, v10
	v_cmp_le_u32_e32 vcc, s39, v6
	v_cndmask_b32_e64 v10, 0, -1, s[4:5]
	v_cmp_eq_u32_e64 s[4:5], s39, v8
	v_cndmask_b32_e64 v11, 0, -1, vcc
	v_cmp_le_u32_e32 vcc, s38, v5
	v_cndmask_b32_e64 v8, v14, v10, s[4:5]
	v_cndmask_b32_e64 v5, 0, -1, vcc
	v_cmp_eq_u32_e32 vcc, s39, v6
	v_add_co_u32_e64 v10, s[4:5], 2, v7
	v_add_co_u32_e64 v14, s[4:5], 1, v7
	v_cndmask_b32_e32 v5, v11, v5, vcc
	v_cmp_ne_u32_e32 vcc, 0, v8
	v_cndmask_b32_e32 v6, v14, v10, vcc
	v_cmp_ne_u32_e32 vcc, 0, v5
	v_cndmask_b32_e32 v5, v7, v6, vcc
	v_xor_b32_e32 v6, s36, v9
	v_xor_b32_e32 v5, v5, v6
	v_sub_co_u32_e32 v8, vcc, v5, v6
                                        ; implicit-def: $vgpr6_vgpr7
.LBB66_25:                              ;   in Loop: Header=BB66_15 Depth=1
	s_andn2_saveexec_b64 s[4:5], s[34:35]
	s_cbranch_execz .LBB66_27
; %bb.26:                               ;   in Loop: Header=BB66_15 Depth=1
	v_cvt_f32_u32_e32 v5, s33
	s_sub_i32 s34, 0, s33
	v_rcp_iflag_f32_e32 v5, v5
	v_mul_f32_e32 v5, 0x4f7ffffe, v5
	v_cvt_u32_f32_e32 v5, v5
	v_mul_lo_u32 v7, s34, v5
	v_mul_hi_u32 v7, v5, v7
	v_add_u32_e32 v5, v5, v7
	v_mul_hi_u32 v5, v6, v5
	v_mul_lo_u32 v7, v5, s33
	v_add_u32_e32 v8, 1, v5
	v_sub_u32_e32 v6, v6, v7
	v_subrev_u32_e32 v7, s33, v6
	v_cmp_le_u32_e32 vcc, s33, v6
	v_cndmask_b32_e32 v6, v6, v7, vcc
	v_cndmask_b32_e32 v5, v5, v8, vcc
	v_add_u32_e32 v7, 1, v5
	v_cmp_le_u32_e32 vcc, s33, v6
	v_cndmask_b32_e32 v8, v5, v7, vcc
.LBB66_27:                              ;   in Loop: Header=BB66_15 Depth=1
	s_or_b64 exec, exec, s[4:5]
	v_ashrrev_i32_e32 v9, 31, v8
	v_cmp_eq_u64_e32 vcc, s[8:9], v[8:9]
	s_mov_b64 s[4:5], 0
	v_subbrev_co_u32_e32 v5, vcc, 0, v8, vcc
	v_add_u32_e32 v8, 0, v5
	v_and_b32_e32 v6, -4, v8
	ds_read_b32 v7, v6
	v_and_b32_e32 v5, 3, v8
	v_sub_u32_e32 v9, 0, v5
	v_lshlrev_b32_e32 v5, 3, v5
	v_lshlrev_b32_e64 v6, v5, s44
	v_not_b32_e32 v6, v6
	v_add_u32_e32 v8, v8, v9
.LBB66_28:                              ;   Parent Loop BB66_15 Depth=1
                                        ; =>  This Inner Loop Header: Depth=2
	s_waitcnt lgkmcnt(0)
	v_lshrrev_b32_e32 v9, v5, v7
	v_add_u32_e32 v9, 1, v9
	v_and_b32_e32 v10, v7, v6
	v_and_b32_e32 v9, 0xff, v9
	v_lshl_or_b32 v9, v9, v5, v10
	ds_cmpst_rtn_b32 v9, v8, v7, v9
	s_waitcnt lgkmcnt(0)
	v_cmp_eq_u32_e32 vcc, v7, v9
	s_or_b64 s[4:5], vcc, s[4:5]
	v_mov_b32_e32 v7, v9
	s_andn2_b64 exec, exec, s[4:5]
	s_cbranch_execnz .LBB66_28
	s_branch .LBB66_14
.LBB66_29:
	s_or_b64 exec, exec, s[6:7]
; %bb.30:
	s_barrier
	s_and_saveexec_b64 s[2:3], s[0:1]
	s_cbranch_execz .LBB66_35
; %bb.31:
	v_mov_b32_e32 v2, s16
	s_mov_b64 s[0:1], 0
	v_mov_b32_e32 v3, s17
	s_movk_i32 s4, 0xff
.LBB66_32:                              ; =>This Loop Header: Depth=1
                                        ;     Child Loop BB66_33 Depth 2
	v_mad_u64_u32 v[4:5], s[2:3], v0, s20, v[2:3]
	v_mul_lo_u32 v6, v0, s21
	v_mul_lo_u32 v7, v1, s20
	v_add3_u32 v5, v7, v5, v6
	v_and_b32_e32 v6, 3, v4
	v_sub_co_u32_e32 v7, vcc, 0, v6
	v_subb_co_u32_e64 v8, s[2:3], 0, 0, vcc
	v_add_co_u32_e32 v4, vcc, v4, v7
	v_addc_co_u32_e32 v5, vcc, v5, v8, vcc
	global_load_dword v7, v[4:5], off
	v_add_u32_e32 v8, 0, v0
	ds_read_u8 v8, v8
	v_lshlrev_b32_e32 v9, 3, v6
	v_lshlrev_b32_e64 v6, v9, s4
	v_not_b32_e32 v10, v6
	s_mov_b64 s[2:3], 0
.LBB66_33:                              ;   Parent Loop BB66_32 Depth=1
                                        ; =>  This Inner Loop Header: Depth=2
	s_waitcnt vmcnt(0)
	v_lshrrev_b32_e32 v6, v9, v7
	s_waitcnt lgkmcnt(0)
	v_add_u16_e32 v6, v8, v6
	v_and_b32_e32 v11, v7, v10
	v_and_b32_e32 v6, 0xff, v6
	v_lshl_or_b32 v6, v6, v9, v11
	global_atomic_cmpswap v6, v[4:5], v[6:7], off glc
	s_waitcnt vmcnt(0)
	v_cmp_eq_u32_e32 vcc, v7, v6
	s_or_b64 s[2:3], vcc, s[2:3]
	v_mov_b32_e32 v7, v6
	s_andn2_b64 exec, exec, s[2:3]
	s_cbranch_execnz .LBB66_33
; %bb.34:                               ;   in Loop: Header=BB66_32 Depth=1
	s_or_b64 exec, exec, s[2:3]
	v_add_co_u32_e32 v0, vcc, v0, v12
	v_addc_co_u32_e32 v1, vcc, 0, v1, vcc
	v_cmp_le_i64_e32 vcc, s[18:19], v[0:1]
	s_or_b64 s[0:1], vcc, s[0:1]
	s_andn2_b64 exec, exec, s[0:1]
	s_cbranch_execnz .LBB66_32
.LBB66_35:
	s_endpgm
	.section	.rodata,"a",@progbits
	.p2align	6, 0x0
	.amdhsa_kernel _ZN2at4cuda17kernelHistogram1DIaalLi1ELi2ELin1ELNS0_23CUDAHistogramMemoryTypeE0EZNS0_21CUDA_tensor_histogramIaaLb0EEEbNS_6TensorES4_S4_lNS_14AccumulateTypeIT0_Lb1EE4typeES8_NS0_13TensorArgTypeES9_S9_EUllE0_EEvNS0_6detail10TensorInfoIT_T1_EESF_NSC_IKS6_SE_EElS8_S8_SE_T6_
		.amdhsa_group_segment_fixed_size 0
		.amdhsa_private_segment_fixed_size 0
		.amdhsa_kernarg_size 1544
		.amdhsa_user_sgpr_count 6
		.amdhsa_user_sgpr_private_segment_buffer 1
		.amdhsa_user_sgpr_dispatch_ptr 0
		.amdhsa_user_sgpr_queue_ptr 0
		.amdhsa_user_sgpr_kernarg_segment_ptr 1
		.amdhsa_user_sgpr_dispatch_id 0
		.amdhsa_user_sgpr_flat_scratch_init 0
		.amdhsa_user_sgpr_private_segment_size 0
		.amdhsa_uses_dynamic_stack 0
		.amdhsa_system_sgpr_private_segment_wavefront_offset 0
		.amdhsa_system_sgpr_workgroup_id_x 1
		.amdhsa_system_sgpr_workgroup_id_y 0
		.amdhsa_system_sgpr_workgroup_id_z 0
		.amdhsa_system_sgpr_workgroup_info 0
		.amdhsa_system_vgpr_workitem_id 0
		.amdhsa_next_free_vgpr 22
		.amdhsa_next_free_sgpr 53
		.amdhsa_reserve_vcc 1
		.amdhsa_reserve_flat_scratch 0
		.amdhsa_float_round_mode_32 0
		.amdhsa_float_round_mode_16_64 0
		.amdhsa_float_denorm_mode_32 3
		.amdhsa_float_denorm_mode_16_64 3
		.amdhsa_dx10_clamp 1
		.amdhsa_ieee_mode 1
		.amdhsa_fp16_overflow 0
		.amdhsa_exception_fp_ieee_invalid_op 0
		.amdhsa_exception_fp_denorm_src 0
		.amdhsa_exception_fp_ieee_div_zero 0
		.amdhsa_exception_fp_ieee_overflow 0
		.amdhsa_exception_fp_ieee_underflow 0
		.amdhsa_exception_fp_ieee_inexact 0
		.amdhsa_exception_int_div_zero 0
	.end_amdhsa_kernel
	.section	.text._ZN2at4cuda17kernelHistogram1DIaalLi1ELi2ELin1ELNS0_23CUDAHistogramMemoryTypeE0EZNS0_21CUDA_tensor_histogramIaaLb0EEEbNS_6TensorES4_S4_lNS_14AccumulateTypeIT0_Lb1EE4typeES8_NS0_13TensorArgTypeES9_S9_EUllE0_EEvNS0_6detail10TensorInfoIT_T1_EESF_NSC_IKS6_SE_EElS8_S8_SE_T6_,"axG",@progbits,_ZN2at4cuda17kernelHistogram1DIaalLi1ELi2ELin1ELNS0_23CUDAHistogramMemoryTypeE0EZNS0_21CUDA_tensor_histogramIaaLb0EEEbNS_6TensorES4_S4_lNS_14AccumulateTypeIT0_Lb1EE4typeES8_NS0_13TensorArgTypeES9_S9_EUllE0_EEvNS0_6detail10TensorInfoIT_T1_EESF_NSC_IKS6_SE_EElS8_S8_SE_T6_,comdat
.Lfunc_end66:
	.size	_ZN2at4cuda17kernelHistogram1DIaalLi1ELi2ELin1ELNS0_23CUDAHistogramMemoryTypeE0EZNS0_21CUDA_tensor_histogramIaaLb0EEEbNS_6TensorES4_S4_lNS_14AccumulateTypeIT0_Lb1EE4typeES8_NS0_13TensorArgTypeES9_S9_EUllE0_EEvNS0_6detail10TensorInfoIT_T1_EESF_NSC_IKS6_SE_EElS8_S8_SE_T6_, .Lfunc_end66-_ZN2at4cuda17kernelHistogram1DIaalLi1ELi2ELin1ELNS0_23CUDAHistogramMemoryTypeE0EZNS0_21CUDA_tensor_histogramIaaLb0EEEbNS_6TensorES4_S4_lNS_14AccumulateTypeIT0_Lb1EE4typeES8_NS0_13TensorArgTypeES9_S9_EUllE0_EEvNS0_6detail10TensorInfoIT_T1_EESF_NSC_IKS6_SE_EElS8_S8_SE_T6_
                                        ; -- End function
	.set _ZN2at4cuda17kernelHistogram1DIaalLi1ELi2ELin1ELNS0_23CUDAHistogramMemoryTypeE0EZNS0_21CUDA_tensor_histogramIaaLb0EEEbNS_6TensorES4_S4_lNS_14AccumulateTypeIT0_Lb1EE4typeES8_NS0_13TensorArgTypeES9_S9_EUllE0_EEvNS0_6detail10TensorInfoIT_T1_EESF_NSC_IKS6_SE_EElS8_S8_SE_T6_.num_vgpr, 22
	.set _ZN2at4cuda17kernelHistogram1DIaalLi1ELi2ELin1ELNS0_23CUDAHistogramMemoryTypeE0EZNS0_21CUDA_tensor_histogramIaaLb0EEEbNS_6TensorES4_S4_lNS_14AccumulateTypeIT0_Lb1EE4typeES8_NS0_13TensorArgTypeES9_S9_EUllE0_EEvNS0_6detail10TensorInfoIT_T1_EESF_NSC_IKS6_SE_EElS8_S8_SE_T6_.num_agpr, 0
	.set _ZN2at4cuda17kernelHistogram1DIaalLi1ELi2ELin1ELNS0_23CUDAHistogramMemoryTypeE0EZNS0_21CUDA_tensor_histogramIaaLb0EEEbNS_6TensorES4_S4_lNS_14AccumulateTypeIT0_Lb1EE4typeES8_NS0_13TensorArgTypeES9_S9_EUllE0_EEvNS0_6detail10TensorInfoIT_T1_EESF_NSC_IKS6_SE_EElS8_S8_SE_T6_.numbered_sgpr, 53
	.set _ZN2at4cuda17kernelHistogram1DIaalLi1ELi2ELin1ELNS0_23CUDAHistogramMemoryTypeE0EZNS0_21CUDA_tensor_histogramIaaLb0EEEbNS_6TensorES4_S4_lNS_14AccumulateTypeIT0_Lb1EE4typeES8_NS0_13TensorArgTypeES9_S9_EUllE0_EEvNS0_6detail10TensorInfoIT_T1_EESF_NSC_IKS6_SE_EElS8_S8_SE_T6_.num_named_barrier, 0
	.set _ZN2at4cuda17kernelHistogram1DIaalLi1ELi2ELin1ELNS0_23CUDAHistogramMemoryTypeE0EZNS0_21CUDA_tensor_histogramIaaLb0EEEbNS_6TensorES4_S4_lNS_14AccumulateTypeIT0_Lb1EE4typeES8_NS0_13TensorArgTypeES9_S9_EUllE0_EEvNS0_6detail10TensorInfoIT_T1_EESF_NSC_IKS6_SE_EElS8_S8_SE_T6_.private_seg_size, 0
	.set _ZN2at4cuda17kernelHistogram1DIaalLi1ELi2ELin1ELNS0_23CUDAHistogramMemoryTypeE0EZNS0_21CUDA_tensor_histogramIaaLb0EEEbNS_6TensorES4_S4_lNS_14AccumulateTypeIT0_Lb1EE4typeES8_NS0_13TensorArgTypeES9_S9_EUllE0_EEvNS0_6detail10TensorInfoIT_T1_EESF_NSC_IKS6_SE_EElS8_S8_SE_T6_.uses_vcc, 1
	.set _ZN2at4cuda17kernelHistogram1DIaalLi1ELi2ELin1ELNS0_23CUDAHistogramMemoryTypeE0EZNS0_21CUDA_tensor_histogramIaaLb0EEEbNS_6TensorES4_S4_lNS_14AccumulateTypeIT0_Lb1EE4typeES8_NS0_13TensorArgTypeES9_S9_EUllE0_EEvNS0_6detail10TensorInfoIT_T1_EESF_NSC_IKS6_SE_EElS8_S8_SE_T6_.uses_flat_scratch, 0
	.set _ZN2at4cuda17kernelHistogram1DIaalLi1ELi2ELin1ELNS0_23CUDAHistogramMemoryTypeE0EZNS0_21CUDA_tensor_histogramIaaLb0EEEbNS_6TensorES4_S4_lNS_14AccumulateTypeIT0_Lb1EE4typeES8_NS0_13TensorArgTypeES9_S9_EUllE0_EEvNS0_6detail10TensorInfoIT_T1_EESF_NSC_IKS6_SE_EElS8_S8_SE_T6_.has_dyn_sized_stack, 0
	.set _ZN2at4cuda17kernelHistogram1DIaalLi1ELi2ELin1ELNS0_23CUDAHistogramMemoryTypeE0EZNS0_21CUDA_tensor_histogramIaaLb0EEEbNS_6TensorES4_S4_lNS_14AccumulateTypeIT0_Lb1EE4typeES8_NS0_13TensorArgTypeES9_S9_EUllE0_EEvNS0_6detail10TensorInfoIT_T1_EESF_NSC_IKS6_SE_EElS8_S8_SE_T6_.has_recursion, 0
	.set _ZN2at4cuda17kernelHistogram1DIaalLi1ELi2ELin1ELNS0_23CUDAHistogramMemoryTypeE0EZNS0_21CUDA_tensor_histogramIaaLb0EEEbNS_6TensorES4_S4_lNS_14AccumulateTypeIT0_Lb1EE4typeES8_NS0_13TensorArgTypeES9_S9_EUllE0_EEvNS0_6detail10TensorInfoIT_T1_EESF_NSC_IKS6_SE_EElS8_S8_SE_T6_.has_indirect_call, 0
	.section	.AMDGPU.csdata,"",@progbits
; Kernel info:
; codeLenInByte = 2644
; TotalNumSgprs: 57
; NumVgprs: 22
; ScratchSize: 0
; MemoryBound: 0
; FloatMode: 240
; IeeeMode: 1
; LDSByteSize: 0 bytes/workgroup (compile time only)
; SGPRBlocks: 7
; VGPRBlocks: 5
; NumSGPRsForWavesPerEU: 57
; NumVGPRsForWavesPerEU: 22
; Occupancy: 10
; WaveLimiterHint : 1
; COMPUTE_PGM_RSRC2:SCRATCH_EN: 0
; COMPUTE_PGM_RSRC2:USER_SGPR: 6
; COMPUTE_PGM_RSRC2:TRAP_HANDLER: 0
; COMPUTE_PGM_RSRC2:TGID_X_EN: 1
; COMPUTE_PGM_RSRC2:TGID_Y_EN: 0
; COMPUTE_PGM_RSRC2:TGID_Z_EN: 0
; COMPUTE_PGM_RSRC2:TIDIG_COMP_CNT: 0
	.section	.text._ZN2at4cuda17kernelHistogram1DIaalLi1ELi2ELin1ELNS0_23CUDAHistogramMemoryTypeE1EZNS0_21CUDA_tensor_histogramIaaLb0EEEbNS_6TensorES4_S4_lNS_14AccumulateTypeIT0_Lb1EE4typeES8_NS0_13TensorArgTypeES9_S9_EUllE0_EEvNS0_6detail10TensorInfoIT_T1_EESF_NSC_IKS6_SE_EElS8_S8_SE_T6_,"axG",@progbits,_ZN2at4cuda17kernelHistogram1DIaalLi1ELi2ELin1ELNS0_23CUDAHistogramMemoryTypeE1EZNS0_21CUDA_tensor_histogramIaaLb0EEEbNS_6TensorES4_S4_lNS_14AccumulateTypeIT0_Lb1EE4typeES8_NS0_13TensorArgTypeES9_S9_EUllE0_EEvNS0_6detail10TensorInfoIT_T1_EESF_NSC_IKS6_SE_EElS8_S8_SE_T6_,comdat
	.protected	_ZN2at4cuda17kernelHistogram1DIaalLi1ELi2ELin1ELNS0_23CUDAHistogramMemoryTypeE1EZNS0_21CUDA_tensor_histogramIaaLb0EEEbNS_6TensorES4_S4_lNS_14AccumulateTypeIT0_Lb1EE4typeES8_NS0_13TensorArgTypeES9_S9_EUllE0_EEvNS0_6detail10TensorInfoIT_T1_EESF_NSC_IKS6_SE_EElS8_S8_SE_T6_ ; -- Begin function _ZN2at4cuda17kernelHistogram1DIaalLi1ELi2ELin1ELNS0_23CUDAHistogramMemoryTypeE1EZNS0_21CUDA_tensor_histogramIaaLb0EEEbNS_6TensorES4_S4_lNS_14AccumulateTypeIT0_Lb1EE4typeES8_NS0_13TensorArgTypeES9_S9_EUllE0_EEvNS0_6detail10TensorInfoIT_T1_EESF_NSC_IKS6_SE_EElS8_S8_SE_T6_
	.globl	_ZN2at4cuda17kernelHistogram1DIaalLi1ELi2ELin1ELNS0_23CUDAHistogramMemoryTypeE1EZNS0_21CUDA_tensor_histogramIaaLb0EEEbNS_6TensorES4_S4_lNS_14AccumulateTypeIT0_Lb1EE4typeES8_NS0_13TensorArgTypeES9_S9_EUllE0_EEvNS0_6detail10TensorInfoIT_T1_EESF_NSC_IKS6_SE_EElS8_S8_SE_T6_
	.p2align	8
	.type	_ZN2at4cuda17kernelHistogram1DIaalLi1ELi2ELin1ELNS0_23CUDAHistogramMemoryTypeE1EZNS0_21CUDA_tensor_histogramIaaLb0EEEbNS_6TensorES4_S4_lNS_14AccumulateTypeIT0_Lb1EE4typeES8_NS0_13TensorArgTypeES9_S9_EUllE0_EEvNS0_6detail10TensorInfoIT_T1_EESF_NSC_IKS6_SE_EElS8_S8_SE_T6_,@function
_ZN2at4cuda17kernelHistogram1DIaalLi1ELi2ELin1ELNS0_23CUDAHistogramMemoryTypeE1EZNS0_21CUDA_tensor_histogramIaaLb0EEEbNS_6TensorES4_S4_lNS_14AccumulateTypeIT0_Lb1EE4typeES8_NS0_13TensorArgTypeES9_S9_EUllE0_EEvNS0_6detail10TensorInfoIT_T1_EESF_NSC_IKS6_SE_EElS8_S8_SE_T6_: ; @_ZN2at4cuda17kernelHistogram1DIaalLi1ELi2ELin1ELNS0_23CUDAHistogramMemoryTypeE1EZNS0_21CUDA_tensor_histogramIaaLb0EEEbNS_6TensorES4_S4_lNS_14AccumulateTypeIT0_Lb1EE4typeES8_NS0_13TensorArgTypeES9_S9_EUllE0_EEvNS0_6detail10TensorInfoIT_T1_EESF_NSC_IKS6_SE_EElS8_S8_SE_T6_
; %bb.0:
	s_load_dword s2, s[4:5], 0x514
	s_load_dwordx8 s[8:15], s[4:5], 0x4e0
	s_add_u32 s0, s4, 0x508
	s_addc_u32 s1, s5, 0
	v_mov_b32_e32 v2, 0
	s_waitcnt lgkmcnt(0)
	s_and_b32 s2, s2, 0xffff
	s_mul_i32 s6, s6, s2
	v_add_u32_e32 v0, s6, v0
	v_mov_b32_e32 v1, v2
	v_cmp_gt_i64_e32 vcc, s[14:15], v[0:1]
	s_and_saveexec_b64 s[6:7], vcc
	s_cbranch_execz .LBB67_17
; %bb.1:
	s_load_dword s22, s[4:5], 0x4d8
	s_load_dword s3, s[0:1], 0x0
	s_add_u32 s23, s4, 0x340
	s_addc_u32 s24, s5, 0
	s_load_dwordx2 s[6:7], s[4:5], 0x0
	s_load_dwordx2 s[16:17], s[4:5], 0xd0
	;; [unrolled: 1-line block ×4, first 2 shown]
	s_waitcnt lgkmcnt(0)
	s_cmp_gt_i32 s22, 1
	s_cselect_b64 s[0:1], -1, 0
	s_sub_u32 s33, s12, s10
	s_subb_u32 s36, s13, s11
	s_mul_i32 s37, s3, s2
	s_mov_b32 s3, 0
	s_add_i32 s2, s22, -1
	s_add_i32 s38, s22, 1
	s_lshl_b64 s[2:3], s[2:3], 3
	s_add_u32 s2, s23, s2
	s_addc_u32 s3, s24, s3
	s_add_u32 s4, s2, 8
	v_cndmask_b32_e64 v3, 0, 1, s[0:1]
	s_addc_u32 s5, s3, 0
	s_mov_b64 s[22:23], 0
	s_movk_i32 s39, 0xff
	v_cmp_ne_u32_e64 s[0:1], 1, v3
	s_branch .LBB67_3
.LBB67_2:                               ;   in Loop: Header=BB67_3 Depth=1
	s_or_b64 exec, exec, s[24:25]
	v_add_co_u32_e32 v0, vcc, s37, v0
	v_addc_co_u32_e32 v1, vcc, 0, v1, vcc
	v_cmp_le_i64_e32 vcc, s[14:15], v[0:1]
	s_or_b64 s[22:23], vcc, s[22:23]
	s_andn2_b64 exec, exec, s[22:23]
	s_cbranch_execz .LBB67_17
.LBB67_3:                               ; =>This Loop Header: Depth=1
                                        ;     Child Loop BB67_4 Depth 2
                                        ;     Child Loop BB67_16 Depth 2
	v_mov_b32_e32 v4, 0
	v_mov_b32_e32 v7, v1
	;; [unrolled: 1-line block ×4, first 2 shown]
	s_and_b64 vcc, exec, s[0:1]
	s_mov_b64 s[24:25], s[4:5]
	s_mov_b32 s40, s38
	v_mov_b32_e32 v6, v0
	v_mov_b32_e32 v8, v0
	s_cbranch_vccnz .LBB67_10
.LBB67_4:                               ;   Parent Loop BB67_3 Depth=1
                                        ; =>  This Inner Loop Header: Depth=2
	s_load_dwordx2 s[26:27], s[24:25], 0x0
                                        ; implicit-def: $vgpr8_vgpr9
	s_waitcnt lgkmcnt(0)
	v_or_b32_e32 v3, s27, v7
	v_cmp_ne_u64_e32 vcc, 0, v[2:3]
	s_and_saveexec_b64 s[2:3], vcc
	s_xor_b64 s[28:29], exec, s[2:3]
	s_cbranch_execz .LBB67_6
; %bb.5:                                ;   in Loop: Header=BB67_4 Depth=2
	s_ashr_i32 s30, s27, 31
	s_add_u32 s2, s26, s30
	s_mov_b32 s31, s30
	s_addc_u32 s3, s27, s30
	s_xor_b64 s[34:35], s[2:3], s[30:31]
	v_cvt_f32_u32_e32 v3, s34
	v_cvt_f32_u32_e32 v8, s35
	s_sub_u32 s31, 0, s34
	s_subb_u32 s41, 0, s35
	v_mac_f32_e32 v3, 0x4f800000, v8
	v_rcp_f32_e32 v3, v3
	v_mul_f32_e32 v3, 0x5f7ffffc, v3
	v_mul_f32_e32 v8, 0x2f800000, v3
	v_trunc_f32_e32 v8, v8
	v_mac_f32_e32 v3, 0xcf800000, v8
	v_cvt_u32_f32_e32 v8, v8
	v_cvt_u32_f32_e32 v3, v3
	v_readfirstlane_b32 s42, v8
	v_readfirstlane_b32 s2, v3
	s_mul_i32 s3, s31, s42
	s_mul_hi_u32 s44, s31, s2
	s_mul_i32 s43, s41, s2
	s_add_i32 s3, s44, s3
	s_add_i32 s3, s3, s43
	s_mul_i32 s45, s31, s2
	s_mul_i32 s44, s2, s3
	s_mul_hi_u32 s46, s2, s45
	s_mul_hi_u32 s43, s2, s3
	s_add_u32 s44, s46, s44
	s_addc_u32 s43, 0, s43
	s_mul_hi_u32 s47, s42, s45
	s_mul_i32 s45, s42, s45
	s_add_u32 s44, s44, s45
	s_mul_hi_u32 s46, s42, s3
	s_addc_u32 s43, s43, s47
	s_addc_u32 s44, s46, 0
	s_mul_i32 s3, s42, s3
	s_add_u32 s3, s43, s3
	s_addc_u32 s43, 0, s44
	s_add_u32 s44, s2, s3
	s_cselect_b64 s[2:3], -1, 0
	s_cmp_lg_u64 s[2:3], 0
	s_addc_u32 s42, s42, s43
	s_mul_i32 s2, s31, s42
	s_mul_hi_u32 s3, s31, s44
	s_add_i32 s2, s3, s2
	s_mul_i32 s41, s41, s44
	s_add_i32 s2, s2, s41
	s_mul_i32 s31, s31, s44
	s_mul_hi_u32 s41, s42, s31
	s_mul_i32 s43, s42, s31
	s_mul_i32 s46, s44, s2
	s_mul_hi_u32 s31, s44, s31
	s_mul_hi_u32 s45, s44, s2
	s_add_u32 s31, s31, s46
	s_addc_u32 s45, 0, s45
	s_add_u32 s31, s31, s43
	s_mul_hi_u32 s3, s42, s2
	s_addc_u32 s31, s45, s41
	s_addc_u32 s3, s3, 0
	s_mul_i32 s2, s42, s2
	s_add_u32 s2, s31, s2
	s_addc_u32 s31, 0, s3
	s_add_u32 s41, s44, s2
	s_cselect_b64 s[2:3], -1, 0
	v_ashrrev_i32_e32 v3, 31, v7
	s_cmp_lg_u64 s[2:3], 0
	v_add_co_u32_e32 v8, vcc, v6, v3
	s_addc_u32 s31, s42, s31
	v_xor_b32_e32 v12, v8, v3
	v_mad_u64_u32 v[8:9], s[2:3], v12, s31, 0
	v_mul_hi_u32 v11, v12, s41
	v_addc_co_u32_e32 v10, vcc, v7, v3, vcc
	v_xor_b32_e32 v13, v10, v3
	v_add_co_u32_e32 v14, vcc, v11, v8
	v_addc_co_u32_e32 v15, vcc, 0, v9, vcc
	v_mad_u64_u32 v[8:9], s[2:3], v13, s41, 0
	v_mad_u64_u32 v[10:11], s[2:3], v13, s31, 0
	v_add_co_u32_e32 v8, vcc, v14, v8
	v_addc_co_u32_e32 v8, vcc, v15, v9, vcc
	v_addc_co_u32_e32 v9, vcc, 0, v11, vcc
	v_add_co_u32_e32 v10, vcc, v8, v10
	v_addc_co_u32_e32 v11, vcc, 0, v9, vcc
	v_mul_lo_u32 v14, s35, v10
	v_mul_lo_u32 v15, s34, v11
	v_mad_u64_u32 v[8:9], s[2:3], s34, v10, 0
	v_xor_b32_e32 v3, s30, v3
	v_add3_u32 v9, v9, v15, v14
	v_sub_u32_e32 v14, v13, v9
	v_mov_b32_e32 v15, s35
	v_sub_co_u32_e32 v8, vcc, v12, v8
	v_subb_co_u32_e64 v12, s[2:3], v14, v15, vcc
	v_subrev_co_u32_e64 v14, s[2:3], s34, v8
	v_subbrev_co_u32_e64 v12, s[2:3], 0, v12, s[2:3]
	v_cmp_le_u32_e64 s[2:3], s35, v12
	v_cndmask_b32_e64 v15, 0, -1, s[2:3]
	v_cmp_le_u32_e64 s[2:3], s34, v14
	v_cndmask_b32_e64 v14, 0, -1, s[2:3]
	v_cmp_eq_u32_e64 s[2:3], s35, v12
	v_cndmask_b32_e64 v12, v15, v14, s[2:3]
	v_add_co_u32_e64 v14, s[2:3], 2, v10
	v_subb_co_u32_e32 v9, vcc, v13, v9, vcc
	v_addc_co_u32_e64 v15, s[2:3], 0, v11, s[2:3]
	v_cmp_le_u32_e32 vcc, s35, v9
	v_add_co_u32_e64 v16, s[2:3], 1, v10
	v_cndmask_b32_e64 v13, 0, -1, vcc
	v_cmp_le_u32_e32 vcc, s34, v8
	v_addc_co_u32_e64 v17, s[2:3], 0, v11, s[2:3]
	v_cndmask_b32_e64 v8, 0, -1, vcc
	v_cmp_eq_u32_e32 vcc, s35, v9
	v_cmp_ne_u32_e64 s[2:3], 0, v12
	v_cndmask_b32_e32 v8, v13, v8, vcc
	v_cndmask_b32_e64 v12, v17, v15, s[2:3]
	v_cmp_ne_u32_e32 vcc, 0, v8
	v_cndmask_b32_e64 v9, v16, v14, s[2:3]
	v_cndmask_b32_e32 v8, v11, v12, vcc
	v_cndmask_b32_e32 v9, v10, v9, vcc
	v_xor_b32_e32 v10, v8, v3
	v_xor_b32_e32 v8, v9, v3
	v_sub_co_u32_e32 v8, vcc, v8, v3
	v_subb_co_u32_e32 v9, vcc, v10, v3, vcc
.LBB67_6:                               ;   in Loop: Header=BB67_4 Depth=2
	s_andn2_saveexec_b64 s[2:3], s[28:29]
	s_cbranch_execz .LBB67_8
; %bb.7:                                ;   in Loop: Header=BB67_4 Depth=2
	v_cvt_f32_u32_e32 v3, s26
	s_sub_i32 s28, 0, s26
	v_rcp_iflag_f32_e32 v3, v3
	v_mul_f32_e32 v3, 0x4f7ffffe, v3
	v_cvt_u32_f32_e32 v3, v3
	v_mul_lo_u32 v8, s28, v3
	v_mul_hi_u32 v8, v3, v8
	v_add_u32_e32 v3, v3, v8
	v_mul_hi_u32 v3, v6, v3
	v_mul_lo_u32 v8, v3, s26
	v_add_u32_e32 v9, 1, v3
	v_sub_u32_e32 v8, v6, v8
	v_subrev_u32_e32 v10, s26, v8
	v_cmp_le_u32_e32 vcc, s26, v8
	v_cndmask_b32_e32 v8, v8, v10, vcc
	v_cndmask_b32_e32 v3, v3, v9, vcc
	v_add_u32_e32 v9, 1, v3
	v_cmp_le_u32_e32 vcc, s26, v8
	v_cndmask_b32_e32 v8, v3, v9, vcc
	v_mov_b32_e32 v9, v2
.LBB67_8:                               ;   in Loop: Header=BB67_4 Depth=2
	s_or_b64 exec, exec, s[2:3]
	v_mul_lo_u32 v3, v9, s26
	v_mul_lo_u32 v12, v8, s27
	v_mad_u64_u32 v[10:11], s[2:3], v8, s26, 0
	s_load_dwordx2 s[2:3], s[24:25], 0xc8
	s_add_i32 s40, s40, -1
	v_add3_u32 v3, v11, v12, v3
	v_sub_co_u32_e32 v6, vcc, v6, v10
	v_subb_co_u32_e32 v3, vcc, v7, v3, vcc
	s_waitcnt lgkmcnt(0)
	v_mul_lo_u32 v3, s2, v3
	v_mul_lo_u32 v7, s3, v6
	v_mad_u64_u32 v[4:5], s[2:3], s2, v6, v[4:5]
	s_add_u32 s24, s24, -8
	s_addc_u32 s25, s25, -1
	s_cmp_gt_u32 s40, 2
	v_add3_u32 v5, v7, v5, v3
	s_cbranch_scc0 .LBB67_10
; %bb.9:                                ;   in Loop: Header=BB67_4 Depth=2
	v_mov_b32_e32 v6, v8
	v_mov_b32_e32 v7, v9
	s_branch .LBB67_4
.LBB67_10:                              ;   in Loop: Header=BB67_3 Depth=1
	v_mov_b32_e32 v6, s20
	v_mov_b32_e32 v7, s21
	v_mul_lo_u32 v3, s18, v9
	v_mul_lo_u32 v9, s19, v8
	v_mad_u64_u32 v[6:7], s[2:3], s18, v8, v[6:7]
	v_add3_u32 v7, v9, v7, v3
	v_add_co_u32_e32 v3, vcc, v6, v4
	v_addc_co_u32_e32 v4, vcc, v7, v5, vcc
	global_load_sbyte v3, v[3:4], off
	s_waitcnt vmcnt(0)
	v_bfe_i32 v3, v3, 0, 16
	v_ashrrev_i32_e32 v4, 31, v3
	v_cmp_le_i64_e32 vcc, s[10:11], v[3:4]
	v_cmp_ge_i64_e64 s[2:3], s[12:13], v[3:4]
	s_and_b64 s[2:3], vcc, s[2:3]
	s_and_saveexec_b64 s[24:25], s[2:3]
	s_cbranch_execz .LBB67_2
; %bb.11:                               ;   in Loop: Header=BB67_3 Depth=1
	v_mov_b32_e32 v5, s11
	v_subrev_co_u32_e32 v3, vcc, s10, v3
	v_subb_co_u32_e32 v4, vcc, v4, v5, vcc
	v_mul_lo_u32 v6, v4, s8
	v_mul_lo_u32 v7, v3, s9
	v_mad_u64_u32 v[4:5], s[2:3], v3, s8, 0
	v_add3_u32 v5, v5, v7, v6
	v_or_b32_e32 v3, s36, v5
	v_cmp_ne_u64_e32 vcc, 0, v[2:3]
                                        ; implicit-def: $vgpr6_vgpr7
	s_and_saveexec_b64 s[2:3], vcc
	s_xor_b64 s[26:27], exec, s[2:3]
	s_cbranch_execz .LBB67_13
; %bb.12:                               ;   in Loop: Header=BB67_3 Depth=1
	s_ashr_i32 s28, s36, 31
	s_add_u32 s2, s33, s28
	s_mov_b32 s29, s28
	s_addc_u32 s3, s36, s28
	s_xor_b64 s[30:31], s[2:3], s[28:29]
	v_cvt_f32_u32_e32 v3, s30
	v_cvt_f32_u32_e32 v6, s31
	s_sub_u32 s29, 0, s30
	s_subb_u32 s34, 0, s31
	v_ashrrev_i32_e32 v7, 31, v5
	v_mac_f32_e32 v3, 0x4f800000, v6
	v_rcp_f32_e32 v3, v3
	v_mul_f32_e32 v3, 0x5f7ffffc, v3
	v_mul_f32_e32 v6, 0x2f800000, v3
	v_trunc_f32_e32 v6, v6
	v_mac_f32_e32 v3, 0xcf800000, v6
	v_cvt_u32_f32_e32 v6, v6
	v_cvt_u32_f32_e32 v3, v3
	v_readfirstlane_b32 s35, v6
	v_readfirstlane_b32 s2, v3
	s_mul_i32 s3, s29, s35
	s_mul_hi_u32 s41, s29, s2
	s_mul_i32 s40, s34, s2
	s_add_i32 s3, s41, s3
	s_add_i32 s3, s3, s40
	s_mul_i32 s42, s29, s2
	s_mul_i32 s41, s2, s3
	s_mul_hi_u32 s43, s2, s42
	s_mul_hi_u32 s40, s2, s3
	s_add_u32 s41, s43, s41
	s_addc_u32 s40, 0, s40
	s_mul_hi_u32 s44, s35, s42
	s_mul_i32 s42, s35, s42
	s_add_u32 s41, s41, s42
	s_mul_hi_u32 s43, s35, s3
	s_addc_u32 s40, s40, s44
	s_addc_u32 s41, s43, 0
	s_mul_i32 s3, s35, s3
	s_add_u32 s3, s40, s3
	s_addc_u32 s40, 0, s41
	s_add_u32 s41, s2, s3
	s_cselect_b64 s[2:3], -1, 0
	s_cmp_lg_u64 s[2:3], 0
	s_addc_u32 s35, s35, s40
	s_mul_i32 s2, s29, s35
	s_mul_hi_u32 s3, s29, s41
	s_add_i32 s2, s3, s2
	s_mul_i32 s34, s34, s41
	s_add_i32 s2, s2, s34
	s_mul_i32 s29, s29, s41
	s_mul_hi_u32 s34, s35, s29
	s_mul_i32 s40, s35, s29
	s_mul_i32 s43, s41, s2
	s_mul_hi_u32 s29, s41, s29
	s_mul_hi_u32 s42, s41, s2
	s_add_u32 s29, s29, s43
	s_addc_u32 s42, 0, s42
	s_add_u32 s29, s29, s40
	s_mul_hi_u32 s3, s35, s2
	s_addc_u32 s29, s42, s34
	s_addc_u32 s3, s3, 0
	s_mul_i32 s2, s35, s2
	s_add_u32 s2, s29, s2
	s_addc_u32 s29, 0, s3
	s_add_u32 s34, s41, s2
	s_cselect_b64 s[2:3], -1, 0
	s_cmp_lg_u64 s[2:3], 0
	v_add_co_u32_e32 v3, vcc, v4, v7
	s_addc_u32 s29, s35, s29
	v_xor_b32_e32 v8, v3, v7
	v_mad_u64_u32 v[3:4], s[2:3], v8, s29, 0
	v_mul_hi_u32 v6, v8, s34
	v_addc_co_u32_e32 v5, vcc, v5, v7, vcc
	v_xor_b32_e32 v9, v5, v7
	v_add_co_u32_e32 v10, vcc, v6, v3
	v_addc_co_u32_e32 v11, vcc, 0, v4, vcc
	v_mad_u64_u32 v[3:4], s[2:3], v9, s34, 0
	v_mad_u64_u32 v[5:6], s[2:3], v9, s29, 0
	v_add_co_u32_e32 v3, vcc, v10, v3
	v_addc_co_u32_e32 v3, vcc, v11, v4, vcc
	v_addc_co_u32_e32 v4, vcc, 0, v6, vcc
	v_add_co_u32_e32 v5, vcc, v3, v5
	v_addc_co_u32_e32 v3, vcc, 0, v4, vcc
	v_mul_lo_u32 v6, s31, v5
	v_mul_lo_u32 v10, s30, v3
	v_mad_u64_u32 v[3:4], s[2:3], s30, v5, 0
	v_add3_u32 v4, v4, v10, v6
	v_sub_u32_e32 v6, v9, v4
	v_mov_b32_e32 v10, s31
	v_sub_co_u32_e32 v3, vcc, v8, v3
	v_subb_co_u32_e64 v6, s[2:3], v6, v10, vcc
	v_subrev_co_u32_e64 v8, s[2:3], s30, v3
	v_subbrev_co_u32_e64 v6, s[2:3], 0, v6, s[2:3]
	v_cmp_le_u32_e64 s[2:3], s31, v6
	v_subb_co_u32_e32 v4, vcc, v9, v4, vcc
	v_cndmask_b32_e64 v10, 0, -1, s[2:3]
	v_cmp_le_u32_e64 s[2:3], s30, v8
	v_cmp_le_u32_e32 vcc, s31, v4
	v_cndmask_b32_e64 v8, 0, -1, s[2:3]
	v_cmp_eq_u32_e64 s[2:3], s31, v6
	v_cndmask_b32_e64 v9, 0, -1, vcc
	v_cmp_le_u32_e32 vcc, s30, v3
	v_cndmask_b32_e64 v6, v10, v8, s[2:3]
	v_cndmask_b32_e64 v3, 0, -1, vcc
	v_cmp_eq_u32_e32 vcc, s31, v4
	v_add_co_u32_e64 v8, s[2:3], 2, v5
	v_add_co_u32_e64 v10, s[2:3], 1, v5
	v_cndmask_b32_e32 v3, v9, v3, vcc
	v_cmp_ne_u32_e32 vcc, 0, v6
	v_cndmask_b32_e32 v4, v10, v8, vcc
	v_cmp_ne_u32_e32 vcc, 0, v3
	v_cndmask_b32_e32 v3, v5, v4, vcc
	v_xor_b32_e32 v4, s28, v7
	v_xor_b32_e32 v3, v3, v4
	v_sub_co_u32_e32 v6, vcc, v3, v4
                                        ; implicit-def: $vgpr4_vgpr5
.LBB67_13:                              ;   in Loop: Header=BB67_3 Depth=1
	s_andn2_saveexec_b64 s[2:3], s[26:27]
	s_cbranch_execz .LBB67_15
; %bb.14:                               ;   in Loop: Header=BB67_3 Depth=1
	v_cvt_f32_u32_e32 v3, s33
	s_sub_i32 s26, 0, s33
	v_rcp_iflag_f32_e32 v3, v3
	v_mul_f32_e32 v3, 0x4f7ffffe, v3
	v_cvt_u32_f32_e32 v3, v3
	v_mul_lo_u32 v5, s26, v3
	v_mul_hi_u32 v5, v3, v5
	v_add_u32_e32 v3, v3, v5
	v_mul_hi_u32 v3, v4, v3
	v_mul_lo_u32 v5, v3, s33
	v_add_u32_e32 v6, 1, v3
	v_sub_u32_e32 v4, v4, v5
	v_subrev_u32_e32 v5, s33, v4
	v_cmp_le_u32_e32 vcc, s33, v4
	v_cndmask_b32_e32 v4, v4, v5, vcc
	v_cndmask_b32_e32 v3, v3, v6, vcc
	v_add_u32_e32 v5, 1, v3
	v_cmp_le_u32_e32 vcc, s33, v4
	v_cndmask_b32_e32 v6, v3, v5, vcc
.LBB67_15:                              ;   in Loop: Header=BB67_3 Depth=1
	s_or_b64 exec, exec, s[2:3]
	v_ashrrev_i32_e32 v7, 31, v6
	v_cmp_eq_u64_e32 vcc, s[8:9], v[6:7]
	v_cndmask_b32_e64 v3, 0, 1, vcc
	v_sub_co_u32_e32 v5, vcc, v6, v3
	v_subbrev_co_u32_e32 v3, vcc, 0, v7, vcc
	v_mul_lo_u32 v7, v3, s16
	v_mov_b32_e32 v3, s6
	v_mov_b32_e32 v4, s7
	v_mad_u64_u32 v[3:4], s[2:3], v5, s16, v[3:4]
	v_mul_lo_u32 v6, v5, s17
	v_and_b32_e32 v5, 3, v3
	v_add3_u32 v4, v7, v4, v6
	v_sub_co_u32_e32 v6, vcc, 0, v5
	v_subb_co_u32_e64 v7, s[2:3], 0, 0, vcc
	v_add_co_u32_e32 v3, vcc, v3, v6
	v_addc_co_u32_e32 v4, vcc, v4, v7, vcc
	global_load_dword v6, v[3:4], off
	v_lshlrev_b32_e32 v7, 3, v5
	v_lshlrev_b32_e64 v5, v7, s39
	s_mov_b64 s[2:3], 0
	v_not_b32_e32 v8, v5
.LBB67_16:                              ;   Parent Loop BB67_3 Depth=1
                                        ; =>  This Inner Loop Header: Depth=2
	s_waitcnt vmcnt(0)
	v_lshrrev_b32_e32 v5, v7, v6
	v_add_u32_e32 v5, 1, v5
	v_and_b32_e32 v9, v6, v8
	v_and_b32_e32 v5, 0xff, v5
	v_lshl_or_b32 v5, v5, v7, v9
	global_atomic_cmpswap v5, v[3:4], v[5:6], off glc
	s_waitcnt vmcnt(0)
	v_cmp_eq_u32_e32 vcc, v6, v5
	s_or_b64 s[2:3], vcc, s[2:3]
	v_mov_b32_e32 v6, v5
	s_andn2_b64 exec, exec, s[2:3]
	s_cbranch_execnz .LBB67_16
	s_branch .LBB67_2
.LBB67_17:
	s_endpgm
	.section	.rodata,"a",@progbits
	.p2align	6, 0x0
	.amdhsa_kernel _ZN2at4cuda17kernelHistogram1DIaalLi1ELi2ELin1ELNS0_23CUDAHistogramMemoryTypeE1EZNS0_21CUDA_tensor_histogramIaaLb0EEEbNS_6TensorES4_S4_lNS_14AccumulateTypeIT0_Lb1EE4typeES8_NS0_13TensorArgTypeES9_S9_EUllE0_EEvNS0_6detail10TensorInfoIT_T1_EESF_NSC_IKS6_SE_EElS8_S8_SE_T6_
		.amdhsa_group_segment_fixed_size 0
		.amdhsa_private_segment_fixed_size 0
		.amdhsa_kernarg_size 1544
		.amdhsa_user_sgpr_count 6
		.amdhsa_user_sgpr_private_segment_buffer 1
		.amdhsa_user_sgpr_dispatch_ptr 0
		.amdhsa_user_sgpr_queue_ptr 0
		.amdhsa_user_sgpr_kernarg_segment_ptr 1
		.amdhsa_user_sgpr_dispatch_id 0
		.amdhsa_user_sgpr_flat_scratch_init 0
		.amdhsa_user_sgpr_private_segment_size 0
		.amdhsa_uses_dynamic_stack 0
		.amdhsa_system_sgpr_private_segment_wavefront_offset 0
		.amdhsa_system_sgpr_workgroup_id_x 1
		.amdhsa_system_sgpr_workgroup_id_y 0
		.amdhsa_system_sgpr_workgroup_id_z 0
		.amdhsa_system_sgpr_workgroup_info 0
		.amdhsa_system_vgpr_workitem_id 0
		.amdhsa_next_free_vgpr 18
		.amdhsa_next_free_sgpr 48
		.amdhsa_reserve_vcc 1
		.amdhsa_reserve_flat_scratch 0
		.amdhsa_float_round_mode_32 0
		.amdhsa_float_round_mode_16_64 0
		.amdhsa_float_denorm_mode_32 3
		.amdhsa_float_denorm_mode_16_64 3
		.amdhsa_dx10_clamp 1
		.amdhsa_ieee_mode 1
		.amdhsa_fp16_overflow 0
		.amdhsa_exception_fp_ieee_invalid_op 0
		.amdhsa_exception_fp_denorm_src 0
		.amdhsa_exception_fp_ieee_div_zero 0
		.amdhsa_exception_fp_ieee_overflow 0
		.amdhsa_exception_fp_ieee_underflow 0
		.amdhsa_exception_fp_ieee_inexact 0
		.amdhsa_exception_int_div_zero 0
	.end_amdhsa_kernel
	.section	.text._ZN2at4cuda17kernelHistogram1DIaalLi1ELi2ELin1ELNS0_23CUDAHistogramMemoryTypeE1EZNS0_21CUDA_tensor_histogramIaaLb0EEEbNS_6TensorES4_S4_lNS_14AccumulateTypeIT0_Lb1EE4typeES8_NS0_13TensorArgTypeES9_S9_EUllE0_EEvNS0_6detail10TensorInfoIT_T1_EESF_NSC_IKS6_SE_EElS8_S8_SE_T6_,"axG",@progbits,_ZN2at4cuda17kernelHistogram1DIaalLi1ELi2ELin1ELNS0_23CUDAHistogramMemoryTypeE1EZNS0_21CUDA_tensor_histogramIaaLb0EEEbNS_6TensorES4_S4_lNS_14AccumulateTypeIT0_Lb1EE4typeES8_NS0_13TensorArgTypeES9_S9_EUllE0_EEvNS0_6detail10TensorInfoIT_T1_EESF_NSC_IKS6_SE_EElS8_S8_SE_T6_,comdat
.Lfunc_end67:
	.size	_ZN2at4cuda17kernelHistogram1DIaalLi1ELi2ELin1ELNS0_23CUDAHistogramMemoryTypeE1EZNS0_21CUDA_tensor_histogramIaaLb0EEEbNS_6TensorES4_S4_lNS_14AccumulateTypeIT0_Lb1EE4typeES8_NS0_13TensorArgTypeES9_S9_EUllE0_EEvNS0_6detail10TensorInfoIT_T1_EESF_NSC_IKS6_SE_EElS8_S8_SE_T6_, .Lfunc_end67-_ZN2at4cuda17kernelHistogram1DIaalLi1ELi2ELin1ELNS0_23CUDAHistogramMemoryTypeE1EZNS0_21CUDA_tensor_histogramIaaLb0EEEbNS_6TensorES4_S4_lNS_14AccumulateTypeIT0_Lb1EE4typeES8_NS0_13TensorArgTypeES9_S9_EUllE0_EEvNS0_6detail10TensorInfoIT_T1_EESF_NSC_IKS6_SE_EElS8_S8_SE_T6_
                                        ; -- End function
	.set _ZN2at4cuda17kernelHistogram1DIaalLi1ELi2ELin1ELNS0_23CUDAHistogramMemoryTypeE1EZNS0_21CUDA_tensor_histogramIaaLb0EEEbNS_6TensorES4_S4_lNS_14AccumulateTypeIT0_Lb1EE4typeES8_NS0_13TensorArgTypeES9_S9_EUllE0_EEvNS0_6detail10TensorInfoIT_T1_EESF_NSC_IKS6_SE_EElS8_S8_SE_T6_.num_vgpr, 18
	.set _ZN2at4cuda17kernelHistogram1DIaalLi1ELi2ELin1ELNS0_23CUDAHistogramMemoryTypeE1EZNS0_21CUDA_tensor_histogramIaaLb0EEEbNS_6TensorES4_S4_lNS_14AccumulateTypeIT0_Lb1EE4typeES8_NS0_13TensorArgTypeES9_S9_EUllE0_EEvNS0_6detail10TensorInfoIT_T1_EESF_NSC_IKS6_SE_EElS8_S8_SE_T6_.num_agpr, 0
	.set _ZN2at4cuda17kernelHistogram1DIaalLi1ELi2ELin1ELNS0_23CUDAHistogramMemoryTypeE1EZNS0_21CUDA_tensor_histogramIaaLb0EEEbNS_6TensorES4_S4_lNS_14AccumulateTypeIT0_Lb1EE4typeES8_NS0_13TensorArgTypeES9_S9_EUllE0_EEvNS0_6detail10TensorInfoIT_T1_EESF_NSC_IKS6_SE_EElS8_S8_SE_T6_.numbered_sgpr, 48
	.set _ZN2at4cuda17kernelHistogram1DIaalLi1ELi2ELin1ELNS0_23CUDAHistogramMemoryTypeE1EZNS0_21CUDA_tensor_histogramIaaLb0EEEbNS_6TensorES4_S4_lNS_14AccumulateTypeIT0_Lb1EE4typeES8_NS0_13TensorArgTypeES9_S9_EUllE0_EEvNS0_6detail10TensorInfoIT_T1_EESF_NSC_IKS6_SE_EElS8_S8_SE_T6_.num_named_barrier, 0
	.set _ZN2at4cuda17kernelHistogram1DIaalLi1ELi2ELin1ELNS0_23CUDAHistogramMemoryTypeE1EZNS0_21CUDA_tensor_histogramIaaLb0EEEbNS_6TensorES4_S4_lNS_14AccumulateTypeIT0_Lb1EE4typeES8_NS0_13TensorArgTypeES9_S9_EUllE0_EEvNS0_6detail10TensorInfoIT_T1_EESF_NSC_IKS6_SE_EElS8_S8_SE_T6_.private_seg_size, 0
	.set _ZN2at4cuda17kernelHistogram1DIaalLi1ELi2ELin1ELNS0_23CUDAHistogramMemoryTypeE1EZNS0_21CUDA_tensor_histogramIaaLb0EEEbNS_6TensorES4_S4_lNS_14AccumulateTypeIT0_Lb1EE4typeES8_NS0_13TensorArgTypeES9_S9_EUllE0_EEvNS0_6detail10TensorInfoIT_T1_EESF_NSC_IKS6_SE_EElS8_S8_SE_T6_.uses_vcc, 1
	.set _ZN2at4cuda17kernelHistogram1DIaalLi1ELi2ELin1ELNS0_23CUDAHistogramMemoryTypeE1EZNS0_21CUDA_tensor_histogramIaaLb0EEEbNS_6TensorES4_S4_lNS_14AccumulateTypeIT0_Lb1EE4typeES8_NS0_13TensorArgTypeES9_S9_EUllE0_EEvNS0_6detail10TensorInfoIT_T1_EESF_NSC_IKS6_SE_EElS8_S8_SE_T6_.uses_flat_scratch, 0
	.set _ZN2at4cuda17kernelHistogram1DIaalLi1ELi2ELin1ELNS0_23CUDAHistogramMemoryTypeE1EZNS0_21CUDA_tensor_histogramIaaLb0EEEbNS_6TensorES4_S4_lNS_14AccumulateTypeIT0_Lb1EE4typeES8_NS0_13TensorArgTypeES9_S9_EUllE0_EEvNS0_6detail10TensorInfoIT_T1_EESF_NSC_IKS6_SE_EElS8_S8_SE_T6_.has_dyn_sized_stack, 0
	.set _ZN2at4cuda17kernelHistogram1DIaalLi1ELi2ELin1ELNS0_23CUDAHistogramMemoryTypeE1EZNS0_21CUDA_tensor_histogramIaaLb0EEEbNS_6TensorES4_S4_lNS_14AccumulateTypeIT0_Lb1EE4typeES8_NS0_13TensorArgTypeES9_S9_EUllE0_EEvNS0_6detail10TensorInfoIT_T1_EESF_NSC_IKS6_SE_EElS8_S8_SE_T6_.has_recursion, 0
	.set _ZN2at4cuda17kernelHistogram1DIaalLi1ELi2ELin1ELNS0_23CUDAHistogramMemoryTypeE1EZNS0_21CUDA_tensor_histogramIaaLb0EEEbNS_6TensorES4_S4_lNS_14AccumulateTypeIT0_Lb1EE4typeES8_NS0_13TensorArgTypeES9_S9_EUllE0_EEvNS0_6detail10TensorInfoIT_T1_EESF_NSC_IKS6_SE_EElS8_S8_SE_T6_.has_indirect_call, 0
	.section	.AMDGPU.csdata,"",@progbits
; Kernel info:
; codeLenInByte = 2160
; TotalNumSgprs: 52
; NumVgprs: 18
; ScratchSize: 0
; MemoryBound: 0
; FloatMode: 240
; IeeeMode: 1
; LDSByteSize: 0 bytes/workgroup (compile time only)
; SGPRBlocks: 6
; VGPRBlocks: 4
; NumSGPRsForWavesPerEU: 52
; NumVGPRsForWavesPerEU: 18
; Occupancy: 10
; WaveLimiterHint : 1
; COMPUTE_PGM_RSRC2:SCRATCH_EN: 0
; COMPUTE_PGM_RSRC2:USER_SGPR: 6
; COMPUTE_PGM_RSRC2:TRAP_HANDLER: 0
; COMPUTE_PGM_RSRC2:TGID_X_EN: 1
; COMPUTE_PGM_RSRC2:TGID_Y_EN: 0
; COMPUTE_PGM_RSRC2:TGID_Z_EN: 0
; COMPUTE_PGM_RSRC2:TIDIG_COMP_CNT: 0
	.section	.text._ZN2at4cuda17kernelHistogram1DIiilLi1ELi2ELin1ELNS0_23CUDAHistogramMemoryTypeE0EZNS0_21CUDA_tensor_histogramIiiLb0EEEbNS_6TensorES4_S4_lNS_14AccumulateTypeIT0_Lb1EE4typeES8_NS0_13TensorArgTypeES9_S9_EUllE_EEvNS0_6detail10TensorInfoIT_T1_EESF_NSC_IKS6_SE_EElS8_S8_SE_T6_,"axG",@progbits,_ZN2at4cuda17kernelHistogram1DIiilLi1ELi2ELin1ELNS0_23CUDAHistogramMemoryTypeE0EZNS0_21CUDA_tensor_histogramIiiLb0EEEbNS_6TensorES4_S4_lNS_14AccumulateTypeIT0_Lb1EE4typeES8_NS0_13TensorArgTypeES9_S9_EUllE_EEvNS0_6detail10TensorInfoIT_T1_EESF_NSC_IKS6_SE_EElS8_S8_SE_T6_,comdat
	.protected	_ZN2at4cuda17kernelHistogram1DIiilLi1ELi2ELin1ELNS0_23CUDAHistogramMemoryTypeE0EZNS0_21CUDA_tensor_histogramIiiLb0EEEbNS_6TensorES4_S4_lNS_14AccumulateTypeIT0_Lb1EE4typeES8_NS0_13TensorArgTypeES9_S9_EUllE_EEvNS0_6detail10TensorInfoIT_T1_EESF_NSC_IKS6_SE_EElS8_S8_SE_T6_ ; -- Begin function _ZN2at4cuda17kernelHistogram1DIiilLi1ELi2ELin1ELNS0_23CUDAHistogramMemoryTypeE0EZNS0_21CUDA_tensor_histogramIiiLb0EEEbNS_6TensorES4_S4_lNS_14AccumulateTypeIT0_Lb1EE4typeES8_NS0_13TensorArgTypeES9_S9_EUllE_EEvNS0_6detail10TensorInfoIT_T1_EESF_NSC_IKS6_SE_EElS8_S8_SE_T6_
	.globl	_ZN2at4cuda17kernelHistogram1DIiilLi1ELi2ELin1ELNS0_23CUDAHistogramMemoryTypeE0EZNS0_21CUDA_tensor_histogramIiiLb0EEEbNS_6TensorES4_S4_lNS_14AccumulateTypeIT0_Lb1EE4typeES8_NS0_13TensorArgTypeES9_S9_EUllE_EEvNS0_6detail10TensorInfoIT_T1_EESF_NSC_IKS6_SE_EElS8_S8_SE_T6_
	.p2align	8
	.type	_ZN2at4cuda17kernelHistogram1DIiilLi1ELi2ELin1ELNS0_23CUDAHistogramMemoryTypeE0EZNS0_21CUDA_tensor_histogramIiiLb0EEEbNS_6TensorES4_S4_lNS_14AccumulateTypeIT0_Lb1EE4typeES8_NS0_13TensorArgTypeES9_S9_EUllE_EEvNS0_6detail10TensorInfoIT_T1_EESF_NSC_IKS6_SE_EElS8_S8_SE_T6_,@function
_ZN2at4cuda17kernelHistogram1DIiilLi1ELi2ELin1ELNS0_23CUDAHistogramMemoryTypeE0EZNS0_21CUDA_tensor_histogramIiiLb0EEEbNS_6TensorES4_S4_lNS_14AccumulateTypeIT0_Lb1EE4typeES8_NS0_13TensorArgTypeES9_S9_EUllE_EEvNS0_6detail10TensorInfoIT_T1_EESF_NSC_IKS6_SE_EElS8_S8_SE_T6_: ; @_ZN2at4cuda17kernelHistogram1DIiilLi1ELi2ELin1ELNS0_23CUDAHistogramMemoryTypeE0EZNS0_21CUDA_tensor_histogramIiiLb0EEEbNS_6TensorES4_S4_lNS_14AccumulateTypeIT0_Lb1EE4typeES8_NS0_13TensorArgTypeES9_S9_EUllE_EEvNS0_6detail10TensorInfoIT_T1_EESF_NSC_IKS6_SE_EElS8_S8_SE_T6_
; %bb.0:
	s_load_dwordx4 s[16:19], s[4:5], 0x0
	s_load_dwordx2 s[20:21], s[4:5], 0x500
	s_load_dwordx8 s[8:15], s[4:5], 0x4e0
	v_mov_b32_e32 v1, 0
	s_add_u32 s2, s4, 0x6a0
	s_waitcnt lgkmcnt(0)
	v_cmp_gt_i64_e64 s[0:1], s[18:19], v[0:1]
	v_cmp_le_i64_e32 vcc, s[18:19], v[0:1]
	s_addc_u32 s3, s5, 0
                                        ; implicit-def: $sgpr7
                                        ; implicit-def: $sgpr28
	s_and_saveexec_b64 s[22:23], vcc
	s_xor_b64 s[22:23], exec, s[22:23]
	s_cbranch_execz .LBB68_2
; %bb.1:
	s_load_dword s7, s[2:3], 0xc
	s_waitcnt lgkmcnt(0)
	s_and_b32 s28, s7, 0xffff
.LBB68_2:
	s_or_saveexec_b64 s[26:27], s[22:23]
	s_load_dwordx2 s[22:23], s[4:5], 0xd0
	s_load_dwordx2 s[24:25], s[4:5], 0x5d0
	v_mov_b32_e32 v14, s7
	v_mov_b32_e32 v13, s28
	v_lshl_add_u32 v12, v0, 2, 0
	s_xor_b64 exec, exec, s[26:27]
	s_cbranch_execz .LBB68_6
; %bb.3:
	s_load_dword s7, s[2:3], 0xc
	v_mov_b32_e32 v3, v1
	v_lshl_add_u32 v4, v0, 2, 0
	s_mov_b64 s[28:29], 0
	v_mov_b32_e32 v5, 0
	s_waitcnt lgkmcnt(0)
	s_and_b32 s30, s7, 0xffff
	s_lshl_b32 s31, s30, 2
	v_mov_b32_e32 v2, v0
.LBB68_4:                               ; =>This Inner Loop Header: Depth=1
	v_add_co_u32_e32 v2, vcc, s30, v2
	v_addc_co_u32_e32 v3, vcc, 0, v3, vcc
	v_cmp_le_i64_e32 vcc, s[18:19], v[2:3]
	ds_write_b32 v4, v5
	s_or_b64 s[28:29], vcc, s[28:29]
	v_add_u32_e32 v4, s31, v4
	s_andn2_b64 exec, exec, s[28:29]
	s_cbranch_execnz .LBB68_4
; %bb.5:
	s_or_b64 exec, exec, s[28:29]
	v_mov_b32_e32 v14, s7
	v_mov_b32_e32 v13, s30
.LBB68_6:
	s_or_b64 exec, exec, s[26:27]
	v_mad_u64_u32 v[2:3], s[6:7], s6, v13, v[0:1]
	v_mov_b32_e32 v4, 0
	v_mov_b32_e32 v3, v4
	v_cmp_gt_i64_e32 vcc, s[14:15], v[2:3]
	s_waitcnt lgkmcnt(0)
	s_barrier
	s_and_saveexec_b64 s[6:7], vcc
	s_cbranch_execz .LBB68_22
; %bb.7:
	s_load_dword s30, s[4:5], 0x4d8
	s_load_dwordx2 s[28:29], s[4:5], 0x340
	s_add_u32 s31, s4, 0x340
	s_addc_u32 s35, s5, 0
	s_load_dword s34, s[2:3], 0x0
	s_load_dwordx2 s[26:27], s[4:5], 0x410
	s_waitcnt lgkmcnt(0)
	s_cmp_gt_i32 s30, 1
	s_cselect_b64 s[2:3], -1, 0
	s_sub_u32 s33, s12, s10
	s_subb_u32 s46, s13, s11
	s_mov_b32 s5, 0
	s_add_i32 s4, s30, -1
	s_add_i32 s47, s30, 1
	s_lshl_b64 s[4:5], s[4:5], 3
	v_mul_lo_u32 v15, s34, v13
	s_add_u32 s4, s31, s4
	s_addc_u32 s5, s35, s5
	s_add_u32 s30, s4, 8
	v_cndmask_b32_e64 v5, 0, 1, s[2:3]
	s_addc_u32 s31, s5, 0
	s_mov_b64 s[34:35], 0
	v_cmp_ne_u32_e64 s[2:3], 1, v5
	s_branch .LBB68_10
.LBB68_8:                               ;   in Loop: Header=BB68_10 Depth=1
	s_or_b64 exec, exec, s[4:5]
	v_mul_lo_u32 v7, v3, s24
	v_mul_lo_u32 v9, v2, s25
	v_mad_u64_u32 v[5:6], s[4:5], v2, s24, 0
	v_add3_u32 v6, v6, v9, v7
	v_lshlrev_b64 v[5:6], 2, v[5:6]
	v_mov_b32_e32 v7, s21
	v_add_co_u32_e32 v5, vcc, s20, v5
	v_addc_co_u32_e32 v6, vcc, v7, v6, vcc
	global_load_dword v5, v[5:6], off
	v_ashrrev_i32_e32 v9, 31, v8
	v_cmp_eq_u64_e32 vcc, s[8:9], v[8:9]
	v_subbrev_co_u32_e32 v6, vcc, 0, v8, vcc
	v_lshl_add_u32 v6, v6, 2, 0
	s_waitcnt vmcnt(0)
	ds_add_u32 v6, v5
.LBB68_9:                               ;   in Loop: Header=BB68_10 Depth=1
	s_or_b64 exec, exec, s[36:37]
	v_add_co_u32_e32 v2, vcc, v2, v15
	v_addc_co_u32_e32 v3, vcc, 0, v3, vcc
	v_cmp_le_i64_e32 vcc, s[14:15], v[2:3]
	s_or_b64 s[34:35], vcc, s[34:35]
	s_andn2_b64 exec, exec, s[34:35]
	s_cbranch_execz .LBB68_22
.LBB68_10:                              ; =>This Loop Header: Depth=1
                                        ;     Child Loop BB68_11 Depth 2
	v_mov_b32_e32 v6, 0
	v_mov_b32_e32 v9, v3
	v_mov_b32_e32 v11, v3
	v_mov_b32_e32 v7, 0
	s_and_b64 vcc, exec, s[2:3]
	s_mov_b64 s[36:37], s[30:31]
	s_mov_b32 s48, s47
	v_mov_b32_e32 v8, v2
	v_mov_b32_e32 v10, v2
	s_cbranch_vccnz .LBB68_17
.LBB68_11:                              ;   Parent Loop BB68_10 Depth=1
                                        ; =>  This Inner Loop Header: Depth=2
	s_load_dwordx2 s[38:39], s[36:37], 0x0
                                        ; implicit-def: $vgpr10_vgpr11
	s_waitcnt lgkmcnt(0)
	v_or_b32_e32 v5, s39, v9
	v_cmp_ne_u64_e32 vcc, 0, v[4:5]
	s_and_saveexec_b64 s[4:5], vcc
	s_xor_b64 s[40:41], exec, s[4:5]
	s_cbranch_execz .LBB68_13
; %bb.12:                               ;   in Loop: Header=BB68_11 Depth=2
	s_ashr_i32 s42, s39, 31
	s_add_u32 s4, s38, s42
	s_mov_b32 s43, s42
	s_addc_u32 s5, s39, s42
	s_xor_b64 s[44:45], s[4:5], s[42:43]
	v_cvt_f32_u32_e32 v5, s44
	v_cvt_f32_u32_e32 v10, s45
	s_sub_u32 s43, 0, s44
	s_subb_u32 s49, 0, s45
	v_mac_f32_e32 v5, 0x4f800000, v10
	v_rcp_f32_e32 v5, v5
	v_mul_f32_e32 v5, 0x5f7ffffc, v5
	v_mul_f32_e32 v10, 0x2f800000, v5
	v_trunc_f32_e32 v10, v10
	v_mac_f32_e32 v5, 0xcf800000, v10
	v_cvt_u32_f32_e32 v10, v10
	v_cvt_u32_f32_e32 v5, v5
	v_readfirstlane_b32 s50, v10
	v_readfirstlane_b32 s4, v5
	s_mul_i32 s5, s43, s50
	s_mul_hi_u32 s52, s43, s4
	s_mul_i32 s51, s49, s4
	s_add_i32 s5, s52, s5
	s_add_i32 s5, s5, s51
	s_mul_i32 s53, s43, s4
	s_mul_i32 s52, s4, s5
	s_mul_hi_u32 s54, s4, s53
	s_mul_hi_u32 s51, s4, s5
	s_add_u32 s52, s54, s52
	s_addc_u32 s51, 0, s51
	s_mul_hi_u32 s55, s50, s53
	s_mul_i32 s53, s50, s53
	s_add_u32 s52, s52, s53
	s_mul_hi_u32 s54, s50, s5
	s_addc_u32 s51, s51, s55
	s_addc_u32 s52, s54, 0
	s_mul_i32 s5, s50, s5
	s_add_u32 s5, s51, s5
	s_addc_u32 s51, 0, s52
	s_add_u32 s52, s4, s5
	s_cselect_b64 s[4:5], -1, 0
	s_cmp_lg_u64 s[4:5], 0
	s_addc_u32 s50, s50, s51
	s_mul_i32 s4, s43, s50
	s_mul_hi_u32 s5, s43, s52
	s_add_i32 s4, s5, s4
	s_mul_i32 s49, s49, s52
	s_add_i32 s4, s4, s49
	s_mul_i32 s43, s43, s52
	s_mul_hi_u32 s49, s50, s43
	s_mul_i32 s51, s50, s43
	s_mul_i32 s54, s52, s4
	s_mul_hi_u32 s43, s52, s43
	s_mul_hi_u32 s53, s52, s4
	s_add_u32 s43, s43, s54
	s_addc_u32 s53, 0, s53
	s_add_u32 s43, s43, s51
	s_mul_hi_u32 s5, s50, s4
	s_addc_u32 s43, s53, s49
	s_addc_u32 s5, s5, 0
	s_mul_i32 s4, s50, s4
	s_add_u32 s4, s43, s4
	s_addc_u32 s43, 0, s5
	s_add_u32 s49, s52, s4
	s_cselect_b64 s[4:5], -1, 0
	v_ashrrev_i32_e32 v5, 31, v9
	s_cmp_lg_u64 s[4:5], 0
	v_add_co_u32_e32 v10, vcc, v8, v5
	s_addc_u32 s43, s50, s43
	v_xor_b32_e32 v18, v10, v5
	v_mad_u64_u32 v[10:11], s[4:5], v18, s43, 0
	v_mul_hi_u32 v17, v18, s49
	v_addc_co_u32_e32 v16, vcc, v9, v5, vcc
	v_xor_b32_e32 v19, v16, v5
	v_add_co_u32_e32 v20, vcc, v17, v10
	v_addc_co_u32_e32 v21, vcc, 0, v11, vcc
	v_mad_u64_u32 v[10:11], s[4:5], v19, s49, 0
	v_mad_u64_u32 v[16:17], s[4:5], v19, s43, 0
	v_add_co_u32_e32 v10, vcc, v20, v10
	v_addc_co_u32_e32 v10, vcc, v21, v11, vcc
	v_addc_co_u32_e32 v11, vcc, 0, v17, vcc
	v_add_co_u32_e32 v16, vcc, v10, v16
	v_addc_co_u32_e32 v17, vcc, 0, v11, vcc
	v_mul_lo_u32 v20, s45, v16
	v_mul_lo_u32 v21, s44, v17
	v_mad_u64_u32 v[10:11], s[4:5], s44, v16, 0
	v_xor_b32_e32 v5, s42, v5
	v_add3_u32 v11, v11, v21, v20
	v_sub_u32_e32 v20, v19, v11
	v_mov_b32_e32 v21, s45
	v_sub_co_u32_e32 v10, vcc, v18, v10
	v_subb_co_u32_e64 v18, s[4:5], v20, v21, vcc
	v_subrev_co_u32_e64 v20, s[4:5], s44, v10
	v_subbrev_co_u32_e64 v18, s[4:5], 0, v18, s[4:5]
	v_cmp_le_u32_e64 s[4:5], s45, v18
	v_cndmask_b32_e64 v21, 0, -1, s[4:5]
	v_cmp_le_u32_e64 s[4:5], s44, v20
	v_cndmask_b32_e64 v20, 0, -1, s[4:5]
	v_cmp_eq_u32_e64 s[4:5], s45, v18
	v_cndmask_b32_e64 v18, v21, v20, s[4:5]
	v_add_co_u32_e64 v20, s[4:5], 2, v16
	v_subb_co_u32_e32 v11, vcc, v19, v11, vcc
	v_addc_co_u32_e64 v21, s[4:5], 0, v17, s[4:5]
	v_cmp_le_u32_e32 vcc, s45, v11
	v_add_co_u32_e64 v22, s[4:5], 1, v16
	v_cndmask_b32_e64 v19, 0, -1, vcc
	v_cmp_le_u32_e32 vcc, s44, v10
	v_addc_co_u32_e64 v23, s[4:5], 0, v17, s[4:5]
	v_cndmask_b32_e64 v10, 0, -1, vcc
	v_cmp_eq_u32_e32 vcc, s45, v11
	v_cmp_ne_u32_e64 s[4:5], 0, v18
	v_cndmask_b32_e32 v10, v19, v10, vcc
	v_cndmask_b32_e64 v18, v23, v21, s[4:5]
	v_cmp_ne_u32_e32 vcc, 0, v10
	v_cndmask_b32_e64 v11, v22, v20, s[4:5]
	v_cndmask_b32_e32 v10, v17, v18, vcc
	v_cndmask_b32_e32 v11, v16, v11, vcc
	v_xor_b32_e32 v16, v10, v5
	v_xor_b32_e32 v10, v11, v5
	v_sub_co_u32_e32 v10, vcc, v10, v5
	v_subb_co_u32_e32 v11, vcc, v16, v5, vcc
.LBB68_13:                              ;   in Loop: Header=BB68_11 Depth=2
	s_andn2_saveexec_b64 s[4:5], s[40:41]
	s_cbranch_execz .LBB68_15
; %bb.14:                               ;   in Loop: Header=BB68_11 Depth=2
	v_cvt_f32_u32_e32 v5, s38
	s_sub_i32 s40, 0, s38
	v_rcp_iflag_f32_e32 v5, v5
	v_mul_f32_e32 v5, 0x4f7ffffe, v5
	v_cvt_u32_f32_e32 v5, v5
	v_mul_lo_u32 v10, s40, v5
	v_mul_hi_u32 v10, v5, v10
	v_add_u32_e32 v5, v5, v10
	v_mul_hi_u32 v5, v8, v5
	v_mul_lo_u32 v10, v5, s38
	v_add_u32_e32 v11, 1, v5
	v_sub_u32_e32 v10, v8, v10
	v_subrev_u32_e32 v16, s38, v10
	v_cmp_le_u32_e32 vcc, s38, v10
	v_cndmask_b32_e32 v10, v10, v16, vcc
	v_cndmask_b32_e32 v5, v5, v11, vcc
	v_add_u32_e32 v11, 1, v5
	v_cmp_le_u32_e32 vcc, s38, v10
	v_cndmask_b32_e32 v10, v5, v11, vcc
	v_mov_b32_e32 v11, v4
.LBB68_15:                              ;   in Loop: Header=BB68_11 Depth=2
	s_or_b64 exec, exec, s[4:5]
	v_mul_lo_u32 v5, v11, s38
	v_mul_lo_u32 v18, v10, s39
	v_mad_u64_u32 v[16:17], s[4:5], v10, s38, 0
	s_load_dwordx2 s[4:5], s[36:37], 0xc8
	s_add_i32 s48, s48, -1
	v_add3_u32 v5, v17, v18, v5
	v_sub_co_u32_e32 v8, vcc, v8, v16
	v_subb_co_u32_e32 v5, vcc, v9, v5, vcc
	s_waitcnt lgkmcnt(0)
	v_mul_lo_u32 v5, s4, v5
	v_mul_lo_u32 v9, s5, v8
	v_mad_u64_u32 v[6:7], s[4:5], s4, v8, v[6:7]
	s_add_u32 s36, s36, -8
	s_addc_u32 s37, s37, -1
	s_cmp_gt_u32 s48, 2
	v_add3_u32 v7, v9, v7, v5
	s_cbranch_scc0 .LBB68_17
; %bb.16:                               ;   in Loop: Header=BB68_11 Depth=2
	v_mov_b32_e32 v8, v10
	v_mov_b32_e32 v9, v11
	s_branch .LBB68_11
.LBB68_17:                              ;   in Loop: Header=BB68_10 Depth=1
	v_mul_lo_u32 v5, s27, v10
	v_mul_lo_u32 v11, s26, v11
	v_mad_u64_u32 v[8:9], s[4:5], s26, v10, 0
	v_add3_u32 v9, v9, v11, v5
	v_lshlrev_b64 v[8:9], 2, v[8:9]
	v_mov_b32_e32 v5, s29
	v_add_co_u32_e32 v8, vcc, s28, v8
	v_addc_co_u32_e32 v9, vcc, v5, v9, vcc
	v_lshlrev_b64 v[5:6], 2, v[6:7]
	v_add_co_u32_e32 v5, vcc, v8, v5
	v_addc_co_u32_e32 v6, vcc, v9, v6, vcc
	global_load_dword v5, v[5:6], off
	s_waitcnt vmcnt(0)
	v_ashrrev_i32_e32 v6, 31, v5
	v_cmp_le_i64_e32 vcc, s[10:11], v[5:6]
	v_cmp_ge_i64_e64 s[4:5], s[12:13], v[5:6]
	s_and_b64 s[4:5], vcc, s[4:5]
	s_and_saveexec_b64 s[36:37], s[4:5]
	s_cbranch_execz .LBB68_9
; %bb.18:                               ;   in Loop: Header=BB68_10 Depth=1
	v_mov_b32_e32 v7, s11
	v_subrev_co_u32_e32 v5, vcc, s10, v5
	v_subb_co_u32_e32 v6, vcc, v6, v7, vcc
	v_mul_lo_u32 v8, v6, s8
	v_mul_lo_u32 v9, v5, s9
	v_mad_u64_u32 v[6:7], s[4:5], v5, s8, 0
	v_add3_u32 v7, v7, v9, v8
	v_or_b32_e32 v5, s46, v7
	v_cmp_ne_u64_e32 vcc, 0, v[4:5]
                                        ; implicit-def: $vgpr8_vgpr9
	s_and_saveexec_b64 s[4:5], vcc
	s_xor_b64 s[38:39], exec, s[4:5]
	s_cbranch_execz .LBB68_20
; %bb.19:                               ;   in Loop: Header=BB68_10 Depth=1
	s_ashr_i32 s40, s46, 31
	s_add_u32 s4, s33, s40
	s_mov_b32 s41, s40
	s_addc_u32 s5, s46, s40
	s_xor_b64 s[42:43], s[4:5], s[40:41]
	v_cvt_f32_u32_e32 v5, s42
	v_cvt_f32_u32_e32 v8, s43
	s_sub_u32 s41, 0, s42
	s_subb_u32 s44, 0, s43
	v_ashrrev_i32_e32 v9, 31, v7
	v_mac_f32_e32 v5, 0x4f800000, v8
	v_rcp_f32_e32 v5, v5
	v_mul_f32_e32 v5, 0x5f7ffffc, v5
	v_mul_f32_e32 v8, 0x2f800000, v5
	v_trunc_f32_e32 v8, v8
	v_mac_f32_e32 v5, 0xcf800000, v8
	v_cvt_u32_f32_e32 v8, v8
	v_cvt_u32_f32_e32 v5, v5
	v_readfirstlane_b32 s45, v8
	v_readfirstlane_b32 s4, v5
	s_mul_i32 s5, s41, s45
	s_mul_hi_u32 s49, s41, s4
	s_mul_i32 s48, s44, s4
	s_add_i32 s5, s49, s5
	s_add_i32 s5, s5, s48
	s_mul_i32 s50, s41, s4
	s_mul_i32 s49, s4, s5
	s_mul_hi_u32 s51, s4, s50
	s_mul_hi_u32 s48, s4, s5
	s_add_u32 s49, s51, s49
	s_addc_u32 s48, 0, s48
	s_mul_hi_u32 s52, s45, s50
	s_mul_i32 s50, s45, s50
	s_add_u32 s49, s49, s50
	s_mul_hi_u32 s51, s45, s5
	s_addc_u32 s48, s48, s52
	s_addc_u32 s49, s51, 0
	s_mul_i32 s5, s45, s5
	s_add_u32 s5, s48, s5
	s_addc_u32 s48, 0, s49
	s_add_u32 s49, s4, s5
	s_cselect_b64 s[4:5], -1, 0
	s_cmp_lg_u64 s[4:5], 0
	s_addc_u32 s45, s45, s48
	s_mul_i32 s4, s41, s45
	s_mul_hi_u32 s5, s41, s49
	s_add_i32 s4, s5, s4
	s_mul_i32 s44, s44, s49
	s_add_i32 s4, s4, s44
	s_mul_i32 s41, s41, s49
	s_mul_hi_u32 s44, s45, s41
	s_mul_i32 s48, s45, s41
	s_mul_i32 s51, s49, s4
	s_mul_hi_u32 s41, s49, s41
	s_mul_hi_u32 s50, s49, s4
	s_add_u32 s41, s41, s51
	s_addc_u32 s50, 0, s50
	s_add_u32 s41, s41, s48
	s_mul_hi_u32 s5, s45, s4
	s_addc_u32 s41, s50, s44
	s_addc_u32 s5, s5, 0
	s_mul_i32 s4, s45, s4
	s_add_u32 s4, s41, s4
	s_addc_u32 s41, 0, s5
	s_add_u32 s44, s49, s4
	s_cselect_b64 s[4:5], -1, 0
	s_cmp_lg_u64 s[4:5], 0
	v_add_co_u32_e32 v5, vcc, v6, v9
	s_addc_u32 s41, s45, s41
	v_xor_b32_e32 v10, v5, v9
	v_mad_u64_u32 v[5:6], s[4:5], v10, s41, 0
	v_mul_hi_u32 v8, v10, s44
	v_addc_co_u32_e32 v7, vcc, v7, v9, vcc
	v_xor_b32_e32 v11, v7, v9
	v_add_co_u32_e32 v16, vcc, v8, v5
	v_addc_co_u32_e32 v17, vcc, 0, v6, vcc
	v_mad_u64_u32 v[5:6], s[4:5], v11, s44, 0
	v_mad_u64_u32 v[7:8], s[4:5], v11, s41, 0
	v_add_co_u32_e32 v5, vcc, v16, v5
	v_addc_co_u32_e32 v5, vcc, v17, v6, vcc
	v_addc_co_u32_e32 v6, vcc, 0, v8, vcc
	v_add_co_u32_e32 v7, vcc, v5, v7
	v_addc_co_u32_e32 v5, vcc, 0, v6, vcc
	v_mul_lo_u32 v8, s43, v7
	v_mul_lo_u32 v16, s42, v5
	v_mad_u64_u32 v[5:6], s[4:5], s42, v7, 0
	v_add3_u32 v6, v6, v16, v8
	v_sub_u32_e32 v8, v11, v6
	v_mov_b32_e32 v16, s43
	v_sub_co_u32_e32 v5, vcc, v10, v5
	v_subb_co_u32_e64 v8, s[4:5], v8, v16, vcc
	v_subrev_co_u32_e64 v10, s[4:5], s42, v5
	v_subbrev_co_u32_e64 v8, s[4:5], 0, v8, s[4:5]
	v_cmp_le_u32_e64 s[4:5], s43, v8
	v_subb_co_u32_e32 v6, vcc, v11, v6, vcc
	v_cndmask_b32_e64 v16, 0, -1, s[4:5]
	v_cmp_le_u32_e64 s[4:5], s42, v10
	v_cmp_le_u32_e32 vcc, s43, v6
	v_cndmask_b32_e64 v10, 0, -1, s[4:5]
	v_cmp_eq_u32_e64 s[4:5], s43, v8
	v_cndmask_b32_e64 v11, 0, -1, vcc
	v_cmp_le_u32_e32 vcc, s42, v5
	v_cndmask_b32_e64 v8, v16, v10, s[4:5]
	v_cndmask_b32_e64 v5, 0, -1, vcc
	v_cmp_eq_u32_e32 vcc, s43, v6
	v_add_co_u32_e64 v10, s[4:5], 2, v7
	v_add_co_u32_e64 v16, s[4:5], 1, v7
	v_cndmask_b32_e32 v5, v11, v5, vcc
	v_cmp_ne_u32_e32 vcc, 0, v8
	v_cndmask_b32_e32 v6, v16, v10, vcc
	v_cmp_ne_u32_e32 vcc, 0, v5
	v_cndmask_b32_e32 v5, v7, v6, vcc
	v_xor_b32_e32 v6, s40, v9
	v_xor_b32_e32 v5, v5, v6
	v_sub_co_u32_e32 v8, vcc, v5, v6
                                        ; implicit-def: $vgpr6_vgpr7
.LBB68_20:                              ;   in Loop: Header=BB68_10 Depth=1
	s_andn2_saveexec_b64 s[4:5], s[38:39]
	s_cbranch_execz .LBB68_8
; %bb.21:                               ;   in Loop: Header=BB68_10 Depth=1
	v_cvt_f32_u32_e32 v5, s33
	s_sub_i32 s38, 0, s33
	v_rcp_iflag_f32_e32 v5, v5
	v_mul_f32_e32 v5, 0x4f7ffffe, v5
	v_cvt_u32_f32_e32 v5, v5
	v_mul_lo_u32 v7, s38, v5
	v_mul_hi_u32 v7, v5, v7
	v_add_u32_e32 v5, v5, v7
	v_mul_hi_u32 v5, v6, v5
	v_mul_lo_u32 v7, v5, s33
	v_add_u32_e32 v8, 1, v5
	v_sub_u32_e32 v6, v6, v7
	v_subrev_u32_e32 v7, s33, v6
	v_cmp_le_u32_e32 vcc, s33, v6
	v_cndmask_b32_e32 v6, v6, v7, vcc
	v_cndmask_b32_e32 v5, v5, v8, vcc
	v_add_u32_e32 v7, 1, v5
	v_cmp_le_u32_e32 vcc, s33, v6
	v_cndmask_b32_e32 v8, v5, v7, vcc
	s_branch .LBB68_8
.LBB68_22:
	s_or_b64 exec, exec, s[6:7]
; %bb.23:
	s_waitcnt lgkmcnt(0)
	s_barrier
	s_and_saveexec_b64 s[2:3], s[0:1]
	s_cbranch_execz .LBB68_26
; %bb.24:
	v_mad_u64_u32 v[2:3], s[0:1], s22, v0, 0
	v_and_b32_e32 v6, 0xffff, v14
	v_mov_b32_e32 v9, s17
	v_mad_u64_u32 v[3:4], s[0:1], s23, v0, v[3:4]
	v_mad_u64_u32 v[4:5], s[0:1], s22, v6, 0
	v_lshlrev_b64 v[2:3], 2, v[2:3]
	v_mad_u64_u32 v[7:8], s[0:1], s23, v6, v[5:6]
	v_add_co_u32_e32 v2, vcc, s16, v2
	v_mov_b32_e32 v5, v7
	v_lshlrev_b64 v[4:5], 2, v[4:5]
	v_addc_co_u32_e32 v3, vcc, v9, v3, vcc
	v_lshlrev_b32_e32 v7, 2, v13
	s_mov_b64 s[0:1], 0
.LBB68_25:                              ; =>This Inner Loop Header: Depth=1
	ds_read_b32 v8, v12
	v_add_co_u32_e32 v0, vcc, v0, v6
	v_addc_co_u32_e32 v1, vcc, 0, v1, vcc
	s_waitcnt lgkmcnt(0)
	global_atomic_add v[2:3], v8, off
	v_cmp_le_i64_e32 vcc, s[18:19], v[0:1]
	v_add_u32_e32 v12, v12, v7
	s_or_b64 s[0:1], vcc, s[0:1]
	v_add_co_u32_e32 v2, vcc, v2, v4
	v_addc_co_u32_e32 v3, vcc, v3, v5, vcc
	s_andn2_b64 exec, exec, s[0:1]
	s_cbranch_execnz .LBB68_25
.LBB68_26:
	s_endpgm
	.section	.rodata,"a",@progbits
	.p2align	6, 0x0
	.amdhsa_kernel _ZN2at4cuda17kernelHistogram1DIiilLi1ELi2ELin1ELNS0_23CUDAHistogramMemoryTypeE0EZNS0_21CUDA_tensor_histogramIiiLb0EEEbNS_6TensorES4_S4_lNS_14AccumulateTypeIT0_Lb1EE4typeES8_NS0_13TensorArgTypeES9_S9_EUllE_EEvNS0_6detail10TensorInfoIT_T1_EESF_NSC_IKS6_SE_EElS8_S8_SE_T6_
		.amdhsa_group_segment_fixed_size 0
		.amdhsa_private_segment_fixed_size 0
		.amdhsa_kernarg_size 1952
		.amdhsa_user_sgpr_count 6
		.amdhsa_user_sgpr_private_segment_buffer 1
		.amdhsa_user_sgpr_dispatch_ptr 0
		.amdhsa_user_sgpr_queue_ptr 0
		.amdhsa_user_sgpr_kernarg_segment_ptr 1
		.amdhsa_user_sgpr_dispatch_id 0
		.amdhsa_user_sgpr_flat_scratch_init 0
		.amdhsa_user_sgpr_private_segment_size 0
		.amdhsa_uses_dynamic_stack 0
		.amdhsa_system_sgpr_private_segment_wavefront_offset 0
		.amdhsa_system_sgpr_workgroup_id_x 1
		.amdhsa_system_sgpr_workgroup_id_y 0
		.amdhsa_system_sgpr_workgroup_id_z 0
		.amdhsa_system_sgpr_workgroup_info 0
		.amdhsa_system_vgpr_workitem_id 0
		.amdhsa_next_free_vgpr 24
		.amdhsa_next_free_sgpr 56
		.amdhsa_reserve_vcc 1
		.amdhsa_reserve_flat_scratch 0
		.amdhsa_float_round_mode_32 0
		.amdhsa_float_round_mode_16_64 0
		.amdhsa_float_denorm_mode_32 3
		.amdhsa_float_denorm_mode_16_64 3
		.amdhsa_dx10_clamp 1
		.amdhsa_ieee_mode 1
		.amdhsa_fp16_overflow 0
		.amdhsa_exception_fp_ieee_invalid_op 0
		.amdhsa_exception_fp_denorm_src 0
		.amdhsa_exception_fp_ieee_div_zero 0
		.amdhsa_exception_fp_ieee_overflow 0
		.amdhsa_exception_fp_ieee_underflow 0
		.amdhsa_exception_fp_ieee_inexact 0
		.amdhsa_exception_int_div_zero 0
	.end_amdhsa_kernel
	.section	.text._ZN2at4cuda17kernelHistogram1DIiilLi1ELi2ELin1ELNS0_23CUDAHistogramMemoryTypeE0EZNS0_21CUDA_tensor_histogramIiiLb0EEEbNS_6TensorES4_S4_lNS_14AccumulateTypeIT0_Lb1EE4typeES8_NS0_13TensorArgTypeES9_S9_EUllE_EEvNS0_6detail10TensorInfoIT_T1_EESF_NSC_IKS6_SE_EElS8_S8_SE_T6_,"axG",@progbits,_ZN2at4cuda17kernelHistogram1DIiilLi1ELi2ELin1ELNS0_23CUDAHistogramMemoryTypeE0EZNS0_21CUDA_tensor_histogramIiiLb0EEEbNS_6TensorES4_S4_lNS_14AccumulateTypeIT0_Lb1EE4typeES8_NS0_13TensorArgTypeES9_S9_EUllE_EEvNS0_6detail10TensorInfoIT_T1_EESF_NSC_IKS6_SE_EElS8_S8_SE_T6_,comdat
.Lfunc_end68:
	.size	_ZN2at4cuda17kernelHistogram1DIiilLi1ELi2ELin1ELNS0_23CUDAHistogramMemoryTypeE0EZNS0_21CUDA_tensor_histogramIiiLb0EEEbNS_6TensorES4_S4_lNS_14AccumulateTypeIT0_Lb1EE4typeES8_NS0_13TensorArgTypeES9_S9_EUllE_EEvNS0_6detail10TensorInfoIT_T1_EESF_NSC_IKS6_SE_EElS8_S8_SE_T6_, .Lfunc_end68-_ZN2at4cuda17kernelHistogram1DIiilLi1ELi2ELin1ELNS0_23CUDAHistogramMemoryTypeE0EZNS0_21CUDA_tensor_histogramIiiLb0EEEbNS_6TensorES4_S4_lNS_14AccumulateTypeIT0_Lb1EE4typeES8_NS0_13TensorArgTypeES9_S9_EUllE_EEvNS0_6detail10TensorInfoIT_T1_EESF_NSC_IKS6_SE_EElS8_S8_SE_T6_
                                        ; -- End function
	.set _ZN2at4cuda17kernelHistogram1DIiilLi1ELi2ELin1ELNS0_23CUDAHistogramMemoryTypeE0EZNS0_21CUDA_tensor_histogramIiiLb0EEEbNS_6TensorES4_S4_lNS_14AccumulateTypeIT0_Lb1EE4typeES8_NS0_13TensorArgTypeES9_S9_EUllE_EEvNS0_6detail10TensorInfoIT_T1_EESF_NSC_IKS6_SE_EElS8_S8_SE_T6_.num_vgpr, 24
	.set _ZN2at4cuda17kernelHistogram1DIiilLi1ELi2ELin1ELNS0_23CUDAHistogramMemoryTypeE0EZNS0_21CUDA_tensor_histogramIiiLb0EEEbNS_6TensorES4_S4_lNS_14AccumulateTypeIT0_Lb1EE4typeES8_NS0_13TensorArgTypeES9_S9_EUllE_EEvNS0_6detail10TensorInfoIT_T1_EESF_NSC_IKS6_SE_EElS8_S8_SE_T6_.num_agpr, 0
	.set _ZN2at4cuda17kernelHistogram1DIiilLi1ELi2ELin1ELNS0_23CUDAHistogramMemoryTypeE0EZNS0_21CUDA_tensor_histogramIiiLb0EEEbNS_6TensorES4_S4_lNS_14AccumulateTypeIT0_Lb1EE4typeES8_NS0_13TensorArgTypeES9_S9_EUllE_EEvNS0_6detail10TensorInfoIT_T1_EESF_NSC_IKS6_SE_EElS8_S8_SE_T6_.numbered_sgpr, 56
	.set _ZN2at4cuda17kernelHistogram1DIiilLi1ELi2ELin1ELNS0_23CUDAHistogramMemoryTypeE0EZNS0_21CUDA_tensor_histogramIiiLb0EEEbNS_6TensorES4_S4_lNS_14AccumulateTypeIT0_Lb1EE4typeES8_NS0_13TensorArgTypeES9_S9_EUllE_EEvNS0_6detail10TensorInfoIT_T1_EESF_NSC_IKS6_SE_EElS8_S8_SE_T6_.num_named_barrier, 0
	.set _ZN2at4cuda17kernelHistogram1DIiilLi1ELi2ELin1ELNS0_23CUDAHistogramMemoryTypeE0EZNS0_21CUDA_tensor_histogramIiiLb0EEEbNS_6TensorES4_S4_lNS_14AccumulateTypeIT0_Lb1EE4typeES8_NS0_13TensorArgTypeES9_S9_EUllE_EEvNS0_6detail10TensorInfoIT_T1_EESF_NSC_IKS6_SE_EElS8_S8_SE_T6_.private_seg_size, 0
	.set _ZN2at4cuda17kernelHistogram1DIiilLi1ELi2ELin1ELNS0_23CUDAHistogramMemoryTypeE0EZNS0_21CUDA_tensor_histogramIiiLb0EEEbNS_6TensorES4_S4_lNS_14AccumulateTypeIT0_Lb1EE4typeES8_NS0_13TensorArgTypeES9_S9_EUllE_EEvNS0_6detail10TensorInfoIT_T1_EESF_NSC_IKS6_SE_EElS8_S8_SE_T6_.uses_vcc, 1
	.set _ZN2at4cuda17kernelHistogram1DIiilLi1ELi2ELin1ELNS0_23CUDAHistogramMemoryTypeE0EZNS0_21CUDA_tensor_histogramIiiLb0EEEbNS_6TensorES4_S4_lNS_14AccumulateTypeIT0_Lb1EE4typeES8_NS0_13TensorArgTypeES9_S9_EUllE_EEvNS0_6detail10TensorInfoIT_T1_EESF_NSC_IKS6_SE_EElS8_S8_SE_T6_.uses_flat_scratch, 0
	.set _ZN2at4cuda17kernelHistogram1DIiilLi1ELi2ELin1ELNS0_23CUDAHistogramMemoryTypeE0EZNS0_21CUDA_tensor_histogramIiiLb0EEEbNS_6TensorES4_S4_lNS_14AccumulateTypeIT0_Lb1EE4typeES8_NS0_13TensorArgTypeES9_S9_EUllE_EEvNS0_6detail10TensorInfoIT_T1_EESF_NSC_IKS6_SE_EElS8_S8_SE_T6_.has_dyn_sized_stack, 0
	.set _ZN2at4cuda17kernelHistogram1DIiilLi1ELi2ELin1ELNS0_23CUDAHistogramMemoryTypeE0EZNS0_21CUDA_tensor_histogramIiiLb0EEEbNS_6TensorES4_S4_lNS_14AccumulateTypeIT0_Lb1EE4typeES8_NS0_13TensorArgTypeES9_S9_EUllE_EEvNS0_6detail10TensorInfoIT_T1_EESF_NSC_IKS6_SE_EElS8_S8_SE_T6_.has_recursion, 0
	.set _ZN2at4cuda17kernelHistogram1DIiilLi1ELi2ELin1ELNS0_23CUDAHistogramMemoryTypeE0EZNS0_21CUDA_tensor_histogramIiiLb0EEEbNS_6TensorES4_S4_lNS_14AccumulateTypeIT0_Lb1EE4typeES8_NS0_13TensorArgTypeES9_S9_EUllE_EEvNS0_6detail10TensorInfoIT_T1_EESF_NSC_IKS6_SE_EElS8_S8_SE_T6_.has_indirect_call, 0
	.section	.AMDGPU.csdata,"",@progbits
; Kernel info:
; codeLenInByte = 2424
; TotalNumSgprs: 60
; NumVgprs: 24
; ScratchSize: 0
; MemoryBound: 0
; FloatMode: 240
; IeeeMode: 1
; LDSByteSize: 0 bytes/workgroup (compile time only)
; SGPRBlocks: 7
; VGPRBlocks: 5
; NumSGPRsForWavesPerEU: 60
; NumVGPRsForWavesPerEU: 24
; Occupancy: 10
; WaveLimiterHint : 1
; COMPUTE_PGM_RSRC2:SCRATCH_EN: 0
; COMPUTE_PGM_RSRC2:USER_SGPR: 6
; COMPUTE_PGM_RSRC2:TRAP_HANDLER: 0
; COMPUTE_PGM_RSRC2:TGID_X_EN: 1
; COMPUTE_PGM_RSRC2:TGID_Y_EN: 0
; COMPUTE_PGM_RSRC2:TGID_Z_EN: 0
; COMPUTE_PGM_RSRC2:TIDIG_COMP_CNT: 0
	.section	.text._ZN2at4cuda17kernelHistogram1DIiilLi1ELi2ELin1ELNS0_23CUDAHistogramMemoryTypeE1EZNS0_21CUDA_tensor_histogramIiiLb0EEEbNS_6TensorES4_S4_lNS_14AccumulateTypeIT0_Lb1EE4typeES8_NS0_13TensorArgTypeES9_S9_EUllE_EEvNS0_6detail10TensorInfoIT_T1_EESF_NSC_IKS6_SE_EElS8_S8_SE_T6_,"axG",@progbits,_ZN2at4cuda17kernelHistogram1DIiilLi1ELi2ELin1ELNS0_23CUDAHistogramMemoryTypeE1EZNS0_21CUDA_tensor_histogramIiiLb0EEEbNS_6TensorES4_S4_lNS_14AccumulateTypeIT0_Lb1EE4typeES8_NS0_13TensorArgTypeES9_S9_EUllE_EEvNS0_6detail10TensorInfoIT_T1_EESF_NSC_IKS6_SE_EElS8_S8_SE_T6_,comdat
	.protected	_ZN2at4cuda17kernelHistogram1DIiilLi1ELi2ELin1ELNS0_23CUDAHistogramMemoryTypeE1EZNS0_21CUDA_tensor_histogramIiiLb0EEEbNS_6TensorES4_S4_lNS_14AccumulateTypeIT0_Lb1EE4typeES8_NS0_13TensorArgTypeES9_S9_EUllE_EEvNS0_6detail10TensorInfoIT_T1_EESF_NSC_IKS6_SE_EElS8_S8_SE_T6_ ; -- Begin function _ZN2at4cuda17kernelHistogram1DIiilLi1ELi2ELin1ELNS0_23CUDAHistogramMemoryTypeE1EZNS0_21CUDA_tensor_histogramIiiLb0EEEbNS_6TensorES4_S4_lNS_14AccumulateTypeIT0_Lb1EE4typeES8_NS0_13TensorArgTypeES9_S9_EUllE_EEvNS0_6detail10TensorInfoIT_T1_EESF_NSC_IKS6_SE_EElS8_S8_SE_T6_
	.globl	_ZN2at4cuda17kernelHistogram1DIiilLi1ELi2ELin1ELNS0_23CUDAHistogramMemoryTypeE1EZNS0_21CUDA_tensor_histogramIiiLb0EEEbNS_6TensorES4_S4_lNS_14AccumulateTypeIT0_Lb1EE4typeES8_NS0_13TensorArgTypeES9_S9_EUllE_EEvNS0_6detail10TensorInfoIT_T1_EESF_NSC_IKS6_SE_EElS8_S8_SE_T6_
	.p2align	8
	.type	_ZN2at4cuda17kernelHistogram1DIiilLi1ELi2ELin1ELNS0_23CUDAHistogramMemoryTypeE1EZNS0_21CUDA_tensor_histogramIiiLb0EEEbNS_6TensorES4_S4_lNS_14AccumulateTypeIT0_Lb1EE4typeES8_NS0_13TensorArgTypeES9_S9_EUllE_EEvNS0_6detail10TensorInfoIT_T1_EESF_NSC_IKS6_SE_EElS8_S8_SE_T6_,@function
_ZN2at4cuda17kernelHistogram1DIiilLi1ELi2ELin1ELNS0_23CUDAHistogramMemoryTypeE1EZNS0_21CUDA_tensor_histogramIiiLb0EEEbNS_6TensorES4_S4_lNS_14AccumulateTypeIT0_Lb1EE4typeES8_NS0_13TensorArgTypeES9_S9_EUllE_EEvNS0_6detail10TensorInfoIT_T1_EESF_NSC_IKS6_SE_EElS8_S8_SE_T6_: ; @_ZN2at4cuda17kernelHistogram1DIiilLi1ELi2ELin1ELNS0_23CUDAHistogramMemoryTypeE1EZNS0_21CUDA_tensor_histogramIiiLb0EEEbNS_6TensorES4_S4_lNS_14AccumulateTypeIT0_Lb1EE4typeES8_NS0_13TensorArgTypeES9_S9_EUllE_EEvNS0_6detail10TensorInfoIT_T1_EESF_NSC_IKS6_SE_EElS8_S8_SE_T6_
; %bb.0:
	s_load_dword s2, s[4:5], 0x6ac
	s_load_dwordx8 s[8:15], s[4:5], 0x4e0
	s_add_u32 s0, s4, 0x6a0
	s_addc_u32 s1, s5, 0
	v_mov_b32_e32 v2, 0
	s_waitcnt lgkmcnt(0)
	s_and_b32 s2, s2, 0xffff
	s_mul_i32 s6, s6, s2
	v_add_u32_e32 v0, s6, v0
	v_mov_b32_e32 v1, v2
	v_cmp_gt_i64_e32 vcc, s[14:15], v[0:1]
	s_and_saveexec_b64 s[6:7], vcc
	s_cbranch_execz .LBB69_16
; %bb.1:
	s_load_dwordx2 s[6:7], s[4:5], 0x5d0
	s_load_dword s26, s[4:5], 0x4d8
	s_load_dwordx2 s[16:17], s[4:5], 0x500
	s_load_dword s3, s[0:1], 0x0
	s_add_u32 s27, s4, 0x340
	s_addc_u32 s28, s5, 0
	s_waitcnt lgkmcnt(0)
	s_cmp_gt_i32 s26, 1
	s_cselect_b64 s[0:1], -1, 0
	s_load_dwordx2 s[18:19], s[4:5], 0x0
	s_load_dwordx2 s[20:21], s[4:5], 0xd0
	;; [unrolled: 1-line block ×4, first 2 shown]
	s_sub_u32 s33, s12, s10
	s_subb_u32 s40, s13, s11
	s_mul_i32 s41, s3, s2
	s_mov_b32 s3, 0
	s_add_i32 s2, s26, -1
	s_add_i32 s42, s26, 1
	s_lshl_b64 s[2:3], s[2:3], 3
	s_add_u32 s2, s27, s2
	s_addc_u32 s3, s28, s3
	s_add_u32 s4, s2, 8
	v_cndmask_b32_e64 v3, 0, 1, s[0:1]
	s_addc_u32 s5, s3, 0
	s_mov_b64 s[26:27], 0
	v_cmp_ne_u32_e64 s[0:1], 1, v3
	s_branch .LBB69_4
.LBB69_2:                               ;   in Loop: Header=BB69_4 Depth=1
	s_or_b64 exec, exec, s[2:3]
	v_mul_lo_u32 v5, v1, s6
	v_mul_lo_u32 v7, v0, s7
	v_mad_u64_u32 v[3:4], s[2:3], v0, s6, 0
	v_add3_u32 v4, v4, v7, v5
	v_lshlrev_b64 v[3:4], 2, v[3:4]
	v_mov_b32_e32 v5, s17
	v_add_co_u32_e32 v3, vcc, s16, v3
	v_addc_co_u32_e32 v4, vcc, v5, v4, vcc
	global_load_dword v5, v[3:4], off
	v_ashrrev_i32_e32 v7, 31, v6
	v_cmp_eq_u64_e32 vcc, s[8:9], v[6:7]
	v_cndmask_b32_e64 v3, 0, 1, vcc
	v_sub_co_u32_e32 v3, vcc, v6, v3
	v_subbrev_co_u32_e32 v4, vcc, 0, v7, vcc
	v_mul_lo_u32 v6, v4, s20
	v_mul_lo_u32 v7, v3, s21
	v_mad_u64_u32 v[3:4], s[2:3], v3, s20, 0
	v_add3_u32 v4, v4, v7, v6
	v_lshlrev_b64 v[3:4], 2, v[3:4]
	v_mov_b32_e32 v6, s19
	v_add_co_u32_e32 v3, vcc, s18, v3
	v_addc_co_u32_e32 v4, vcc, v6, v4, vcc
	s_waitcnt vmcnt(0)
	global_atomic_add v[3:4], v5, off
.LBB69_3:                               ;   in Loop: Header=BB69_4 Depth=1
	s_or_b64 exec, exec, s[28:29]
	v_add_co_u32_e32 v0, vcc, s41, v0
	v_addc_co_u32_e32 v1, vcc, 0, v1, vcc
	v_cmp_le_i64_e32 vcc, s[14:15], v[0:1]
	s_or_b64 s[26:27], vcc, s[26:27]
	s_andn2_b64 exec, exec, s[26:27]
	s_cbranch_execz .LBB69_16
.LBB69_4:                               ; =>This Loop Header: Depth=1
                                        ;     Child Loop BB69_5 Depth 2
	v_mov_b32_e32 v4, 0
	v_mov_b32_e32 v7, v1
	;; [unrolled: 1-line block ×4, first 2 shown]
	s_and_b64 vcc, exec, s[0:1]
	s_mov_b64 s[28:29], s[4:5]
	s_mov_b32 s43, s42
	v_mov_b32_e32 v6, v0
	v_mov_b32_e32 v8, v0
	s_cbranch_vccnz .LBB69_11
.LBB69_5:                               ;   Parent Loop BB69_4 Depth=1
                                        ; =>  This Inner Loop Header: Depth=2
	s_load_dwordx2 s[30:31], s[28:29], 0x0
                                        ; implicit-def: $vgpr8_vgpr9
	s_waitcnt lgkmcnt(0)
	v_or_b32_e32 v3, s31, v7
	v_cmp_ne_u64_e32 vcc, 0, v[2:3]
	s_and_saveexec_b64 s[2:3], vcc
	s_xor_b64 s[34:35], exec, s[2:3]
	s_cbranch_execz .LBB69_7
; %bb.6:                                ;   in Loop: Header=BB69_5 Depth=2
	s_ashr_i32 s36, s31, 31
	s_add_u32 s2, s30, s36
	s_mov_b32 s37, s36
	s_addc_u32 s3, s31, s36
	s_xor_b64 s[38:39], s[2:3], s[36:37]
	v_cvt_f32_u32_e32 v3, s38
	v_cvt_f32_u32_e32 v8, s39
	s_sub_u32 s37, 0, s38
	s_subb_u32 s44, 0, s39
	v_mac_f32_e32 v3, 0x4f800000, v8
	v_rcp_f32_e32 v3, v3
	v_mul_f32_e32 v3, 0x5f7ffffc, v3
	v_mul_f32_e32 v8, 0x2f800000, v3
	v_trunc_f32_e32 v8, v8
	v_mac_f32_e32 v3, 0xcf800000, v8
	v_cvt_u32_f32_e32 v8, v8
	v_cvt_u32_f32_e32 v3, v3
	v_readfirstlane_b32 s45, v8
	v_readfirstlane_b32 s2, v3
	s_mul_i32 s3, s37, s45
	s_mul_hi_u32 s47, s37, s2
	s_mul_i32 s46, s44, s2
	s_add_i32 s3, s47, s3
	s_add_i32 s3, s3, s46
	s_mul_i32 s48, s37, s2
	s_mul_i32 s47, s2, s3
	s_mul_hi_u32 s49, s2, s48
	s_mul_hi_u32 s46, s2, s3
	s_add_u32 s47, s49, s47
	s_addc_u32 s46, 0, s46
	s_mul_hi_u32 s50, s45, s48
	s_mul_i32 s48, s45, s48
	s_add_u32 s47, s47, s48
	s_mul_hi_u32 s49, s45, s3
	s_addc_u32 s46, s46, s50
	s_addc_u32 s47, s49, 0
	s_mul_i32 s3, s45, s3
	s_add_u32 s3, s46, s3
	s_addc_u32 s46, 0, s47
	s_add_u32 s47, s2, s3
	s_cselect_b64 s[2:3], -1, 0
	s_cmp_lg_u64 s[2:3], 0
	s_addc_u32 s45, s45, s46
	s_mul_i32 s2, s37, s45
	s_mul_hi_u32 s3, s37, s47
	s_add_i32 s2, s3, s2
	s_mul_i32 s44, s44, s47
	s_add_i32 s2, s2, s44
	s_mul_i32 s37, s37, s47
	s_mul_hi_u32 s44, s45, s37
	s_mul_i32 s46, s45, s37
	s_mul_i32 s49, s47, s2
	s_mul_hi_u32 s37, s47, s37
	s_mul_hi_u32 s48, s47, s2
	s_add_u32 s37, s37, s49
	s_addc_u32 s48, 0, s48
	s_add_u32 s37, s37, s46
	s_mul_hi_u32 s3, s45, s2
	s_addc_u32 s37, s48, s44
	s_addc_u32 s3, s3, 0
	s_mul_i32 s2, s45, s2
	s_add_u32 s2, s37, s2
	s_addc_u32 s37, 0, s3
	s_add_u32 s44, s47, s2
	s_cselect_b64 s[2:3], -1, 0
	v_ashrrev_i32_e32 v3, 31, v7
	s_cmp_lg_u64 s[2:3], 0
	v_add_co_u32_e32 v8, vcc, v6, v3
	s_addc_u32 s37, s45, s37
	v_xor_b32_e32 v12, v8, v3
	v_mad_u64_u32 v[8:9], s[2:3], v12, s37, 0
	v_mul_hi_u32 v11, v12, s44
	v_addc_co_u32_e32 v10, vcc, v7, v3, vcc
	v_xor_b32_e32 v13, v10, v3
	v_add_co_u32_e32 v14, vcc, v11, v8
	v_addc_co_u32_e32 v15, vcc, 0, v9, vcc
	v_mad_u64_u32 v[8:9], s[2:3], v13, s44, 0
	v_mad_u64_u32 v[10:11], s[2:3], v13, s37, 0
	v_add_co_u32_e32 v8, vcc, v14, v8
	v_addc_co_u32_e32 v8, vcc, v15, v9, vcc
	v_addc_co_u32_e32 v9, vcc, 0, v11, vcc
	v_add_co_u32_e32 v10, vcc, v8, v10
	v_addc_co_u32_e32 v11, vcc, 0, v9, vcc
	v_mul_lo_u32 v14, s39, v10
	v_mul_lo_u32 v15, s38, v11
	v_mad_u64_u32 v[8:9], s[2:3], s38, v10, 0
	v_xor_b32_e32 v3, s36, v3
	v_add3_u32 v9, v9, v15, v14
	v_sub_u32_e32 v14, v13, v9
	v_mov_b32_e32 v15, s39
	v_sub_co_u32_e32 v8, vcc, v12, v8
	v_subb_co_u32_e64 v12, s[2:3], v14, v15, vcc
	v_subrev_co_u32_e64 v14, s[2:3], s38, v8
	v_subbrev_co_u32_e64 v12, s[2:3], 0, v12, s[2:3]
	v_cmp_le_u32_e64 s[2:3], s39, v12
	v_cndmask_b32_e64 v15, 0, -1, s[2:3]
	v_cmp_le_u32_e64 s[2:3], s38, v14
	v_cndmask_b32_e64 v14, 0, -1, s[2:3]
	v_cmp_eq_u32_e64 s[2:3], s39, v12
	v_cndmask_b32_e64 v12, v15, v14, s[2:3]
	v_add_co_u32_e64 v14, s[2:3], 2, v10
	v_subb_co_u32_e32 v9, vcc, v13, v9, vcc
	v_addc_co_u32_e64 v15, s[2:3], 0, v11, s[2:3]
	v_cmp_le_u32_e32 vcc, s39, v9
	v_add_co_u32_e64 v16, s[2:3], 1, v10
	v_cndmask_b32_e64 v13, 0, -1, vcc
	v_cmp_le_u32_e32 vcc, s38, v8
	v_addc_co_u32_e64 v17, s[2:3], 0, v11, s[2:3]
	v_cndmask_b32_e64 v8, 0, -1, vcc
	v_cmp_eq_u32_e32 vcc, s39, v9
	v_cmp_ne_u32_e64 s[2:3], 0, v12
	v_cndmask_b32_e32 v8, v13, v8, vcc
	v_cndmask_b32_e64 v12, v17, v15, s[2:3]
	v_cmp_ne_u32_e32 vcc, 0, v8
	v_cndmask_b32_e64 v9, v16, v14, s[2:3]
	v_cndmask_b32_e32 v8, v11, v12, vcc
	v_cndmask_b32_e32 v9, v10, v9, vcc
	v_xor_b32_e32 v10, v8, v3
	v_xor_b32_e32 v8, v9, v3
	v_sub_co_u32_e32 v8, vcc, v8, v3
	v_subb_co_u32_e32 v9, vcc, v10, v3, vcc
.LBB69_7:                               ;   in Loop: Header=BB69_5 Depth=2
	s_andn2_saveexec_b64 s[2:3], s[34:35]
	s_cbranch_execz .LBB69_9
; %bb.8:                                ;   in Loop: Header=BB69_5 Depth=2
	v_cvt_f32_u32_e32 v3, s30
	s_sub_i32 s34, 0, s30
	v_rcp_iflag_f32_e32 v3, v3
	v_mul_f32_e32 v3, 0x4f7ffffe, v3
	v_cvt_u32_f32_e32 v3, v3
	v_mul_lo_u32 v8, s34, v3
	v_mul_hi_u32 v8, v3, v8
	v_add_u32_e32 v3, v3, v8
	v_mul_hi_u32 v3, v6, v3
	v_mul_lo_u32 v8, v3, s30
	v_add_u32_e32 v9, 1, v3
	v_sub_u32_e32 v8, v6, v8
	v_subrev_u32_e32 v10, s30, v8
	v_cmp_le_u32_e32 vcc, s30, v8
	v_cndmask_b32_e32 v8, v8, v10, vcc
	v_cndmask_b32_e32 v3, v3, v9, vcc
	v_add_u32_e32 v9, 1, v3
	v_cmp_le_u32_e32 vcc, s30, v8
	v_cndmask_b32_e32 v8, v3, v9, vcc
	v_mov_b32_e32 v9, v2
.LBB69_9:                               ;   in Loop: Header=BB69_5 Depth=2
	s_or_b64 exec, exec, s[2:3]
	v_mul_lo_u32 v3, v9, s30
	v_mul_lo_u32 v12, v8, s31
	v_mad_u64_u32 v[10:11], s[2:3], v8, s30, 0
	s_load_dwordx2 s[2:3], s[28:29], 0xc8
	s_add_i32 s43, s43, -1
	v_add3_u32 v3, v11, v12, v3
	v_sub_co_u32_e32 v6, vcc, v6, v10
	v_subb_co_u32_e32 v3, vcc, v7, v3, vcc
	s_waitcnt lgkmcnt(0)
	v_mul_lo_u32 v3, s2, v3
	v_mul_lo_u32 v7, s3, v6
	v_mad_u64_u32 v[4:5], s[2:3], s2, v6, v[4:5]
	s_add_u32 s28, s28, -8
	s_addc_u32 s29, s29, -1
	s_cmp_gt_u32 s43, 2
	v_add3_u32 v5, v7, v5, v3
	s_cbranch_scc0 .LBB69_11
; %bb.10:                               ;   in Loop: Header=BB69_5 Depth=2
	v_mov_b32_e32 v6, v8
	v_mov_b32_e32 v7, v9
	s_branch .LBB69_5
.LBB69_11:                              ;   in Loop: Header=BB69_4 Depth=1
	s_waitcnt lgkmcnt(0)
	v_mul_lo_u32 v3, s23, v8
	v_mul_lo_u32 v9, s22, v9
	v_mad_u64_u32 v[6:7], s[2:3], s22, v8, 0
	v_add3_u32 v7, v7, v9, v3
	v_lshlrev_b64 v[6:7], 2, v[6:7]
	v_mov_b32_e32 v3, s25
	v_add_co_u32_e32 v6, vcc, s24, v6
	v_addc_co_u32_e32 v7, vcc, v3, v7, vcc
	v_lshlrev_b64 v[3:4], 2, v[4:5]
	v_add_co_u32_e32 v3, vcc, v6, v3
	v_addc_co_u32_e32 v4, vcc, v7, v4, vcc
	global_load_dword v3, v[3:4], off
	s_waitcnt vmcnt(0)
	v_ashrrev_i32_e32 v4, 31, v3
	v_cmp_le_i64_e32 vcc, s[10:11], v[3:4]
	v_cmp_ge_i64_e64 s[2:3], s[12:13], v[3:4]
	s_and_b64 s[2:3], vcc, s[2:3]
	s_and_saveexec_b64 s[28:29], s[2:3]
	s_cbranch_execz .LBB69_3
; %bb.12:                               ;   in Loop: Header=BB69_4 Depth=1
	v_mov_b32_e32 v5, s11
	v_subrev_co_u32_e32 v3, vcc, s10, v3
	v_subb_co_u32_e32 v4, vcc, v4, v5, vcc
	v_mul_lo_u32 v6, v4, s8
	v_mul_lo_u32 v7, v3, s9
	v_mad_u64_u32 v[4:5], s[2:3], v3, s8, 0
	v_add3_u32 v5, v5, v7, v6
	v_or_b32_e32 v3, s40, v5
	v_cmp_ne_u64_e32 vcc, 0, v[2:3]
                                        ; implicit-def: $vgpr6_vgpr7
	s_and_saveexec_b64 s[2:3], vcc
	s_xor_b64 s[30:31], exec, s[2:3]
	s_cbranch_execz .LBB69_14
; %bb.13:                               ;   in Loop: Header=BB69_4 Depth=1
	s_ashr_i32 s34, s40, 31
	s_add_u32 s2, s33, s34
	s_mov_b32 s35, s34
	s_addc_u32 s3, s40, s34
	s_xor_b64 s[36:37], s[2:3], s[34:35]
	v_cvt_f32_u32_e32 v3, s36
	v_cvt_f32_u32_e32 v6, s37
	s_sub_u32 s35, 0, s36
	s_subb_u32 s38, 0, s37
	v_ashrrev_i32_e32 v7, 31, v5
	v_mac_f32_e32 v3, 0x4f800000, v6
	v_rcp_f32_e32 v3, v3
	v_mul_f32_e32 v3, 0x5f7ffffc, v3
	v_mul_f32_e32 v6, 0x2f800000, v3
	v_trunc_f32_e32 v6, v6
	v_mac_f32_e32 v3, 0xcf800000, v6
	v_cvt_u32_f32_e32 v6, v6
	v_cvt_u32_f32_e32 v3, v3
	v_readfirstlane_b32 s39, v6
	v_readfirstlane_b32 s2, v3
	s_mul_i32 s3, s35, s39
	s_mul_hi_u32 s44, s35, s2
	s_mul_i32 s43, s38, s2
	s_add_i32 s3, s44, s3
	s_add_i32 s3, s3, s43
	s_mul_i32 s45, s35, s2
	s_mul_i32 s44, s2, s3
	s_mul_hi_u32 s46, s2, s45
	s_mul_hi_u32 s43, s2, s3
	s_add_u32 s44, s46, s44
	s_addc_u32 s43, 0, s43
	s_mul_hi_u32 s47, s39, s45
	s_mul_i32 s45, s39, s45
	s_add_u32 s44, s44, s45
	s_mul_hi_u32 s46, s39, s3
	s_addc_u32 s43, s43, s47
	s_addc_u32 s44, s46, 0
	s_mul_i32 s3, s39, s3
	s_add_u32 s3, s43, s3
	s_addc_u32 s43, 0, s44
	s_add_u32 s44, s2, s3
	s_cselect_b64 s[2:3], -1, 0
	s_cmp_lg_u64 s[2:3], 0
	s_addc_u32 s39, s39, s43
	s_mul_i32 s2, s35, s39
	s_mul_hi_u32 s3, s35, s44
	s_add_i32 s2, s3, s2
	s_mul_i32 s38, s38, s44
	s_add_i32 s2, s2, s38
	s_mul_i32 s35, s35, s44
	s_mul_hi_u32 s38, s39, s35
	s_mul_i32 s43, s39, s35
	s_mul_i32 s46, s44, s2
	s_mul_hi_u32 s35, s44, s35
	s_mul_hi_u32 s45, s44, s2
	s_add_u32 s35, s35, s46
	s_addc_u32 s45, 0, s45
	s_add_u32 s35, s35, s43
	s_mul_hi_u32 s3, s39, s2
	s_addc_u32 s35, s45, s38
	s_addc_u32 s3, s3, 0
	s_mul_i32 s2, s39, s2
	s_add_u32 s2, s35, s2
	s_addc_u32 s35, 0, s3
	s_add_u32 s38, s44, s2
	s_cselect_b64 s[2:3], -1, 0
	s_cmp_lg_u64 s[2:3], 0
	v_add_co_u32_e32 v3, vcc, v4, v7
	s_addc_u32 s35, s39, s35
	v_xor_b32_e32 v8, v3, v7
	v_mad_u64_u32 v[3:4], s[2:3], v8, s35, 0
	v_mul_hi_u32 v6, v8, s38
	v_addc_co_u32_e32 v5, vcc, v5, v7, vcc
	v_xor_b32_e32 v9, v5, v7
	v_add_co_u32_e32 v10, vcc, v6, v3
	v_addc_co_u32_e32 v11, vcc, 0, v4, vcc
	v_mad_u64_u32 v[3:4], s[2:3], v9, s38, 0
	v_mad_u64_u32 v[5:6], s[2:3], v9, s35, 0
	v_add_co_u32_e32 v3, vcc, v10, v3
	v_addc_co_u32_e32 v3, vcc, v11, v4, vcc
	v_addc_co_u32_e32 v4, vcc, 0, v6, vcc
	v_add_co_u32_e32 v5, vcc, v3, v5
	v_addc_co_u32_e32 v3, vcc, 0, v4, vcc
	v_mul_lo_u32 v6, s37, v5
	v_mul_lo_u32 v10, s36, v3
	v_mad_u64_u32 v[3:4], s[2:3], s36, v5, 0
	v_add3_u32 v4, v4, v10, v6
	v_sub_u32_e32 v6, v9, v4
	v_mov_b32_e32 v10, s37
	v_sub_co_u32_e32 v3, vcc, v8, v3
	v_subb_co_u32_e64 v6, s[2:3], v6, v10, vcc
	v_subrev_co_u32_e64 v8, s[2:3], s36, v3
	v_subbrev_co_u32_e64 v6, s[2:3], 0, v6, s[2:3]
	v_cmp_le_u32_e64 s[2:3], s37, v6
	v_subb_co_u32_e32 v4, vcc, v9, v4, vcc
	v_cndmask_b32_e64 v10, 0, -1, s[2:3]
	v_cmp_le_u32_e64 s[2:3], s36, v8
	v_cmp_le_u32_e32 vcc, s37, v4
	v_cndmask_b32_e64 v8, 0, -1, s[2:3]
	v_cmp_eq_u32_e64 s[2:3], s37, v6
	v_cndmask_b32_e64 v9, 0, -1, vcc
	v_cmp_le_u32_e32 vcc, s36, v3
	v_cndmask_b32_e64 v6, v10, v8, s[2:3]
	v_cndmask_b32_e64 v3, 0, -1, vcc
	v_cmp_eq_u32_e32 vcc, s37, v4
	v_add_co_u32_e64 v8, s[2:3], 2, v5
	v_add_co_u32_e64 v10, s[2:3], 1, v5
	v_cndmask_b32_e32 v3, v9, v3, vcc
	v_cmp_ne_u32_e32 vcc, 0, v6
	v_cndmask_b32_e32 v4, v10, v8, vcc
	v_cmp_ne_u32_e32 vcc, 0, v3
	v_cndmask_b32_e32 v3, v5, v4, vcc
	v_xor_b32_e32 v4, s34, v7
	v_xor_b32_e32 v3, v3, v4
	v_sub_co_u32_e32 v6, vcc, v3, v4
                                        ; implicit-def: $vgpr4_vgpr5
.LBB69_14:                              ;   in Loop: Header=BB69_4 Depth=1
	s_andn2_saveexec_b64 s[2:3], s[30:31]
	s_cbranch_execz .LBB69_2
; %bb.15:                               ;   in Loop: Header=BB69_4 Depth=1
	v_cvt_f32_u32_e32 v3, s33
	s_sub_i32 s30, 0, s33
	v_rcp_iflag_f32_e32 v3, v3
	v_mul_f32_e32 v3, 0x4f7ffffe, v3
	v_cvt_u32_f32_e32 v3, v3
	v_mul_lo_u32 v5, s30, v3
	v_mul_hi_u32 v5, v3, v5
	v_add_u32_e32 v3, v3, v5
	v_mul_hi_u32 v3, v4, v3
	v_mul_lo_u32 v5, v3, s33
	v_add_u32_e32 v6, 1, v3
	v_sub_u32_e32 v4, v4, v5
	v_subrev_u32_e32 v5, s33, v4
	v_cmp_le_u32_e32 vcc, s33, v4
	v_cndmask_b32_e32 v4, v4, v5, vcc
	v_cndmask_b32_e32 v3, v3, v6, vcc
	v_add_u32_e32 v5, 1, v3
	v_cmp_le_u32_e32 vcc, s33, v4
	v_cndmask_b32_e32 v6, v3, v5, vcc
	s_branch .LBB69_2
.LBB69_16:
	s_endpgm
	.section	.rodata,"a",@progbits
	.p2align	6, 0x0
	.amdhsa_kernel _ZN2at4cuda17kernelHistogram1DIiilLi1ELi2ELin1ELNS0_23CUDAHistogramMemoryTypeE1EZNS0_21CUDA_tensor_histogramIiiLb0EEEbNS_6TensorES4_S4_lNS_14AccumulateTypeIT0_Lb1EE4typeES8_NS0_13TensorArgTypeES9_S9_EUllE_EEvNS0_6detail10TensorInfoIT_T1_EESF_NSC_IKS6_SE_EElS8_S8_SE_T6_
		.amdhsa_group_segment_fixed_size 0
		.amdhsa_private_segment_fixed_size 0
		.amdhsa_kernarg_size 1952
		.amdhsa_user_sgpr_count 6
		.amdhsa_user_sgpr_private_segment_buffer 1
		.amdhsa_user_sgpr_dispatch_ptr 0
		.amdhsa_user_sgpr_queue_ptr 0
		.amdhsa_user_sgpr_kernarg_segment_ptr 1
		.amdhsa_user_sgpr_dispatch_id 0
		.amdhsa_user_sgpr_flat_scratch_init 0
		.amdhsa_user_sgpr_private_segment_size 0
		.amdhsa_uses_dynamic_stack 0
		.amdhsa_system_sgpr_private_segment_wavefront_offset 0
		.amdhsa_system_sgpr_workgroup_id_x 1
		.amdhsa_system_sgpr_workgroup_id_y 0
		.amdhsa_system_sgpr_workgroup_id_z 0
		.amdhsa_system_sgpr_workgroup_info 0
		.amdhsa_system_vgpr_workitem_id 0
		.amdhsa_next_free_vgpr 18
		.amdhsa_next_free_sgpr 51
		.amdhsa_reserve_vcc 1
		.amdhsa_reserve_flat_scratch 0
		.amdhsa_float_round_mode_32 0
		.amdhsa_float_round_mode_16_64 0
		.amdhsa_float_denorm_mode_32 3
		.amdhsa_float_denorm_mode_16_64 3
		.amdhsa_dx10_clamp 1
		.amdhsa_ieee_mode 1
		.amdhsa_fp16_overflow 0
		.amdhsa_exception_fp_ieee_invalid_op 0
		.amdhsa_exception_fp_denorm_src 0
		.amdhsa_exception_fp_ieee_div_zero 0
		.amdhsa_exception_fp_ieee_overflow 0
		.amdhsa_exception_fp_ieee_underflow 0
		.amdhsa_exception_fp_ieee_inexact 0
		.amdhsa_exception_int_div_zero 0
	.end_amdhsa_kernel
	.section	.text._ZN2at4cuda17kernelHistogram1DIiilLi1ELi2ELin1ELNS0_23CUDAHistogramMemoryTypeE1EZNS0_21CUDA_tensor_histogramIiiLb0EEEbNS_6TensorES4_S4_lNS_14AccumulateTypeIT0_Lb1EE4typeES8_NS0_13TensorArgTypeES9_S9_EUllE_EEvNS0_6detail10TensorInfoIT_T1_EESF_NSC_IKS6_SE_EElS8_S8_SE_T6_,"axG",@progbits,_ZN2at4cuda17kernelHistogram1DIiilLi1ELi2ELin1ELNS0_23CUDAHistogramMemoryTypeE1EZNS0_21CUDA_tensor_histogramIiiLb0EEEbNS_6TensorES4_S4_lNS_14AccumulateTypeIT0_Lb1EE4typeES8_NS0_13TensorArgTypeES9_S9_EUllE_EEvNS0_6detail10TensorInfoIT_T1_EESF_NSC_IKS6_SE_EElS8_S8_SE_T6_,comdat
.Lfunc_end69:
	.size	_ZN2at4cuda17kernelHistogram1DIiilLi1ELi2ELin1ELNS0_23CUDAHistogramMemoryTypeE1EZNS0_21CUDA_tensor_histogramIiiLb0EEEbNS_6TensorES4_S4_lNS_14AccumulateTypeIT0_Lb1EE4typeES8_NS0_13TensorArgTypeES9_S9_EUllE_EEvNS0_6detail10TensorInfoIT_T1_EESF_NSC_IKS6_SE_EElS8_S8_SE_T6_, .Lfunc_end69-_ZN2at4cuda17kernelHistogram1DIiilLi1ELi2ELin1ELNS0_23CUDAHistogramMemoryTypeE1EZNS0_21CUDA_tensor_histogramIiiLb0EEEbNS_6TensorES4_S4_lNS_14AccumulateTypeIT0_Lb1EE4typeES8_NS0_13TensorArgTypeES9_S9_EUllE_EEvNS0_6detail10TensorInfoIT_T1_EESF_NSC_IKS6_SE_EElS8_S8_SE_T6_
                                        ; -- End function
	.set _ZN2at4cuda17kernelHistogram1DIiilLi1ELi2ELin1ELNS0_23CUDAHistogramMemoryTypeE1EZNS0_21CUDA_tensor_histogramIiiLb0EEEbNS_6TensorES4_S4_lNS_14AccumulateTypeIT0_Lb1EE4typeES8_NS0_13TensorArgTypeES9_S9_EUllE_EEvNS0_6detail10TensorInfoIT_T1_EESF_NSC_IKS6_SE_EElS8_S8_SE_T6_.num_vgpr, 18
	.set _ZN2at4cuda17kernelHistogram1DIiilLi1ELi2ELin1ELNS0_23CUDAHistogramMemoryTypeE1EZNS0_21CUDA_tensor_histogramIiiLb0EEEbNS_6TensorES4_S4_lNS_14AccumulateTypeIT0_Lb1EE4typeES8_NS0_13TensorArgTypeES9_S9_EUllE_EEvNS0_6detail10TensorInfoIT_T1_EESF_NSC_IKS6_SE_EElS8_S8_SE_T6_.num_agpr, 0
	.set _ZN2at4cuda17kernelHistogram1DIiilLi1ELi2ELin1ELNS0_23CUDAHistogramMemoryTypeE1EZNS0_21CUDA_tensor_histogramIiiLb0EEEbNS_6TensorES4_S4_lNS_14AccumulateTypeIT0_Lb1EE4typeES8_NS0_13TensorArgTypeES9_S9_EUllE_EEvNS0_6detail10TensorInfoIT_T1_EESF_NSC_IKS6_SE_EElS8_S8_SE_T6_.numbered_sgpr, 51
	.set _ZN2at4cuda17kernelHistogram1DIiilLi1ELi2ELin1ELNS0_23CUDAHistogramMemoryTypeE1EZNS0_21CUDA_tensor_histogramIiiLb0EEEbNS_6TensorES4_S4_lNS_14AccumulateTypeIT0_Lb1EE4typeES8_NS0_13TensorArgTypeES9_S9_EUllE_EEvNS0_6detail10TensorInfoIT_T1_EESF_NSC_IKS6_SE_EElS8_S8_SE_T6_.num_named_barrier, 0
	.set _ZN2at4cuda17kernelHistogram1DIiilLi1ELi2ELin1ELNS0_23CUDAHistogramMemoryTypeE1EZNS0_21CUDA_tensor_histogramIiiLb0EEEbNS_6TensorES4_S4_lNS_14AccumulateTypeIT0_Lb1EE4typeES8_NS0_13TensorArgTypeES9_S9_EUllE_EEvNS0_6detail10TensorInfoIT_T1_EESF_NSC_IKS6_SE_EElS8_S8_SE_T6_.private_seg_size, 0
	.set _ZN2at4cuda17kernelHistogram1DIiilLi1ELi2ELin1ELNS0_23CUDAHistogramMemoryTypeE1EZNS0_21CUDA_tensor_histogramIiiLb0EEEbNS_6TensorES4_S4_lNS_14AccumulateTypeIT0_Lb1EE4typeES8_NS0_13TensorArgTypeES9_S9_EUllE_EEvNS0_6detail10TensorInfoIT_T1_EESF_NSC_IKS6_SE_EElS8_S8_SE_T6_.uses_vcc, 1
	.set _ZN2at4cuda17kernelHistogram1DIiilLi1ELi2ELin1ELNS0_23CUDAHistogramMemoryTypeE1EZNS0_21CUDA_tensor_histogramIiiLb0EEEbNS_6TensorES4_S4_lNS_14AccumulateTypeIT0_Lb1EE4typeES8_NS0_13TensorArgTypeES9_S9_EUllE_EEvNS0_6detail10TensorInfoIT_T1_EESF_NSC_IKS6_SE_EElS8_S8_SE_T6_.uses_flat_scratch, 0
	.set _ZN2at4cuda17kernelHistogram1DIiilLi1ELi2ELin1ELNS0_23CUDAHistogramMemoryTypeE1EZNS0_21CUDA_tensor_histogramIiiLb0EEEbNS_6TensorES4_S4_lNS_14AccumulateTypeIT0_Lb1EE4typeES8_NS0_13TensorArgTypeES9_S9_EUllE_EEvNS0_6detail10TensorInfoIT_T1_EESF_NSC_IKS6_SE_EElS8_S8_SE_T6_.has_dyn_sized_stack, 0
	.set _ZN2at4cuda17kernelHistogram1DIiilLi1ELi2ELin1ELNS0_23CUDAHistogramMemoryTypeE1EZNS0_21CUDA_tensor_histogramIiiLb0EEEbNS_6TensorES4_S4_lNS_14AccumulateTypeIT0_Lb1EE4typeES8_NS0_13TensorArgTypeES9_S9_EUllE_EEvNS0_6detail10TensorInfoIT_T1_EESF_NSC_IKS6_SE_EElS8_S8_SE_T6_.has_recursion, 0
	.set _ZN2at4cuda17kernelHistogram1DIiilLi1ELi2ELin1ELNS0_23CUDAHistogramMemoryTypeE1EZNS0_21CUDA_tensor_histogramIiiLb0EEEbNS_6TensorES4_S4_lNS_14AccumulateTypeIT0_Lb1EE4typeES8_NS0_13TensorArgTypeES9_S9_EUllE_EEvNS0_6detail10TensorInfoIT_T1_EESF_NSC_IKS6_SE_EElS8_S8_SE_T6_.has_indirect_call, 0
	.section	.AMDGPU.csdata,"",@progbits
; Kernel info:
; codeLenInByte = 2156
; TotalNumSgprs: 55
; NumVgprs: 18
; ScratchSize: 0
; MemoryBound: 0
; FloatMode: 240
; IeeeMode: 1
; LDSByteSize: 0 bytes/workgroup (compile time only)
; SGPRBlocks: 6
; VGPRBlocks: 4
; NumSGPRsForWavesPerEU: 55
; NumVGPRsForWavesPerEU: 18
; Occupancy: 10
; WaveLimiterHint : 1
; COMPUTE_PGM_RSRC2:SCRATCH_EN: 0
; COMPUTE_PGM_RSRC2:USER_SGPR: 6
; COMPUTE_PGM_RSRC2:TRAP_HANDLER: 0
; COMPUTE_PGM_RSRC2:TGID_X_EN: 1
; COMPUTE_PGM_RSRC2:TGID_Y_EN: 0
; COMPUTE_PGM_RSRC2:TGID_Z_EN: 0
; COMPUTE_PGM_RSRC2:TIDIG_COMP_CNT: 0
	.section	.text._ZN2at4cuda17kernelHistogram1DIiilLi1ELi2ELin1ELNS0_23CUDAHistogramMemoryTypeE0EZNS0_21CUDA_tensor_histogramIiiLb0EEEbNS_6TensorES4_S4_lNS_14AccumulateTypeIT0_Lb1EE4typeES8_NS0_13TensorArgTypeES9_S9_EUllE0_EEvNS0_6detail10TensorInfoIT_T1_EESF_NSC_IKS6_SE_EElS8_S8_SE_T6_,"axG",@progbits,_ZN2at4cuda17kernelHistogram1DIiilLi1ELi2ELin1ELNS0_23CUDAHistogramMemoryTypeE0EZNS0_21CUDA_tensor_histogramIiiLb0EEEbNS_6TensorES4_S4_lNS_14AccumulateTypeIT0_Lb1EE4typeES8_NS0_13TensorArgTypeES9_S9_EUllE0_EEvNS0_6detail10TensorInfoIT_T1_EESF_NSC_IKS6_SE_EElS8_S8_SE_T6_,comdat
	.protected	_ZN2at4cuda17kernelHistogram1DIiilLi1ELi2ELin1ELNS0_23CUDAHistogramMemoryTypeE0EZNS0_21CUDA_tensor_histogramIiiLb0EEEbNS_6TensorES4_S4_lNS_14AccumulateTypeIT0_Lb1EE4typeES8_NS0_13TensorArgTypeES9_S9_EUllE0_EEvNS0_6detail10TensorInfoIT_T1_EESF_NSC_IKS6_SE_EElS8_S8_SE_T6_ ; -- Begin function _ZN2at4cuda17kernelHistogram1DIiilLi1ELi2ELin1ELNS0_23CUDAHistogramMemoryTypeE0EZNS0_21CUDA_tensor_histogramIiiLb0EEEbNS_6TensorES4_S4_lNS_14AccumulateTypeIT0_Lb1EE4typeES8_NS0_13TensorArgTypeES9_S9_EUllE0_EEvNS0_6detail10TensorInfoIT_T1_EESF_NSC_IKS6_SE_EElS8_S8_SE_T6_
	.globl	_ZN2at4cuda17kernelHistogram1DIiilLi1ELi2ELin1ELNS0_23CUDAHistogramMemoryTypeE0EZNS0_21CUDA_tensor_histogramIiiLb0EEEbNS_6TensorES4_S4_lNS_14AccumulateTypeIT0_Lb1EE4typeES8_NS0_13TensorArgTypeES9_S9_EUllE0_EEvNS0_6detail10TensorInfoIT_T1_EESF_NSC_IKS6_SE_EElS8_S8_SE_T6_
	.p2align	8
	.type	_ZN2at4cuda17kernelHistogram1DIiilLi1ELi2ELin1ELNS0_23CUDAHistogramMemoryTypeE0EZNS0_21CUDA_tensor_histogramIiiLb0EEEbNS_6TensorES4_S4_lNS_14AccumulateTypeIT0_Lb1EE4typeES8_NS0_13TensorArgTypeES9_S9_EUllE0_EEvNS0_6detail10TensorInfoIT_T1_EESF_NSC_IKS6_SE_EElS8_S8_SE_T6_,@function
_ZN2at4cuda17kernelHistogram1DIiilLi1ELi2ELin1ELNS0_23CUDAHistogramMemoryTypeE0EZNS0_21CUDA_tensor_histogramIiiLb0EEEbNS_6TensorES4_S4_lNS_14AccumulateTypeIT0_Lb1EE4typeES8_NS0_13TensorArgTypeES9_S9_EUllE0_EEvNS0_6detail10TensorInfoIT_T1_EESF_NSC_IKS6_SE_EElS8_S8_SE_T6_: ; @_ZN2at4cuda17kernelHistogram1DIiilLi1ELi2ELin1ELNS0_23CUDAHistogramMemoryTypeE0EZNS0_21CUDA_tensor_histogramIiiLb0EEEbNS_6TensorES4_S4_lNS_14AccumulateTypeIT0_Lb1EE4typeES8_NS0_13TensorArgTypeES9_S9_EUllE0_EEvNS0_6detail10TensorInfoIT_T1_EESF_NSC_IKS6_SE_EElS8_S8_SE_T6_
; %bb.0:
	s_load_dwordx4 s[16:19], s[4:5], 0x0
	v_mov_b32_e32 v1, 0
	s_add_u32 s2, s4, 0x508
	s_addc_u32 s3, s5, 0
                                        ; implicit-def: $sgpr7
                                        ; implicit-def: $sgpr10
	s_waitcnt lgkmcnt(0)
	v_cmp_gt_i64_e64 s[0:1], s[18:19], v[0:1]
	v_cmp_le_i64_e32 vcc, s[18:19], v[0:1]
	s_and_saveexec_b64 s[8:9], vcc
	s_xor_b64 s[8:9], exec, s[8:9]
	s_cbranch_execz .LBB70_2
; %bb.1:
	s_load_dword s7, s[2:3], 0xc
	s_waitcnt lgkmcnt(0)
	s_and_b32 s10, s7, 0xffff
.LBB70_2:
	s_or_saveexec_b64 s[8:9], s[8:9]
	s_load_dwordx2 s[20:21], s[4:5], 0xd0
	v_mov_b32_e32 v14, s7
	v_mov_b32_e32 v13, s10
	v_lshl_add_u32 v12, v0, 2, 0
	s_xor_b64 exec, exec, s[8:9]
	s_cbranch_execz .LBB70_6
; %bb.3:
	s_load_dword s7, s[2:3], 0xc
	v_mov_b32_e32 v3, v1
	v_lshl_add_u32 v4, v0, 2, 0
	s_mov_b64 s[10:11], 0
	v_mov_b32_e32 v5, 0
	s_waitcnt lgkmcnt(0)
	s_and_b32 s12, s7, 0xffff
	s_lshl_b32 s13, s12, 2
	v_mov_b32_e32 v2, v0
.LBB70_4:                               ; =>This Inner Loop Header: Depth=1
	v_add_co_u32_e32 v2, vcc, s12, v2
	v_addc_co_u32_e32 v3, vcc, 0, v3, vcc
	v_cmp_le_i64_e32 vcc, s[18:19], v[2:3]
	ds_write_b32 v4, v5
	s_or_b64 s[10:11], vcc, s[10:11]
	v_add_u32_e32 v4, s13, v4
	s_andn2_b64 exec, exec, s[10:11]
	s_cbranch_execnz .LBB70_4
; %bb.5:
	s_or_b64 exec, exec, s[10:11]
	v_mov_b32_e32 v14, s7
	v_mov_b32_e32 v13, s12
.LBB70_6:
	s_or_b64 exec, exec, s[8:9]
	s_load_dwordx8 s[8:15], s[4:5], 0x4e0
	v_mad_u64_u32 v[2:3], s[6:7], s6, v13, v[0:1]
	v_mov_b32_e32 v4, 0
	v_mov_b32_e32 v3, v4
	s_waitcnt lgkmcnt(0)
	v_cmp_gt_i64_e32 vcc, s[14:15], v[2:3]
	s_barrier
	s_and_saveexec_b64 s[6:7], vcc
	s_cbranch_execz .LBB70_22
; %bb.7:
	s_load_dword s26, s[4:5], 0x4d8
	s_load_dwordx2 s[24:25], s[4:5], 0x340
	s_add_u32 s27, s4, 0x340
	s_addc_u32 s29, s5, 0
	s_load_dword s28, s[2:3], 0x0
	s_load_dwordx2 s[22:23], s[4:5], 0x410
	s_waitcnt lgkmcnt(0)
	s_cmp_gt_i32 s26, 1
	s_cselect_b64 s[2:3], -1, 0
	s_sub_u32 s33, s12, s10
	s_subb_u32 s42, s13, s11
	s_mov_b32 s5, 0
	s_add_i32 s4, s26, -1
	s_add_i32 s43, s26, 1
	s_lshl_b64 s[4:5], s[4:5], 3
	v_mul_lo_u32 v15, s28, v13
	s_add_u32 s4, s27, s4
	s_addc_u32 s5, s29, s5
	s_add_u32 s26, s4, 8
	v_cndmask_b32_e64 v5, 0, 1, s[2:3]
	s_addc_u32 s27, s5, 0
	s_mov_b64 s[28:29], 0
	v_cmp_ne_u32_e64 s[2:3], 1, v5
	s_branch .LBB70_10
.LBB70_8:                               ;   in Loop: Header=BB70_10 Depth=1
	s_or_b64 exec, exec, s[4:5]
	v_ashrrev_i32_e32 v9, 31, v8
	v_cmp_eq_u64_e32 vcc, s[8:9], v[8:9]
	v_mov_b32_e32 v6, 1
	v_subbrev_co_u32_e32 v5, vcc, 0, v8, vcc
	v_lshl_add_u32 v5, v5, 2, 0
	ds_add_u32 v5, v6
.LBB70_9:                               ;   in Loop: Header=BB70_10 Depth=1
	s_or_b64 exec, exec, s[30:31]
	v_add_co_u32_e32 v2, vcc, v2, v15
	v_addc_co_u32_e32 v3, vcc, 0, v3, vcc
	v_cmp_le_i64_e32 vcc, s[14:15], v[2:3]
	s_or_b64 s[28:29], vcc, s[28:29]
	s_andn2_b64 exec, exec, s[28:29]
	s_cbranch_execz .LBB70_22
.LBB70_10:                              ; =>This Loop Header: Depth=1
                                        ;     Child Loop BB70_11 Depth 2
	v_mov_b32_e32 v6, 0
	v_mov_b32_e32 v9, v3
	;; [unrolled: 1-line block ×4, first 2 shown]
	s_and_b64 vcc, exec, s[2:3]
	s_mov_b64 s[30:31], s[26:27]
	s_mov_b32 s44, s43
	v_mov_b32_e32 v8, v2
	v_mov_b32_e32 v10, v2
	s_cbranch_vccnz .LBB70_17
.LBB70_11:                              ;   Parent Loop BB70_10 Depth=1
                                        ; =>  This Inner Loop Header: Depth=2
	s_load_dwordx2 s[34:35], s[30:31], 0x0
                                        ; implicit-def: $vgpr10_vgpr11
	s_waitcnt lgkmcnt(0)
	v_or_b32_e32 v5, s35, v9
	v_cmp_ne_u64_e32 vcc, 0, v[4:5]
	s_and_saveexec_b64 s[4:5], vcc
	s_xor_b64 s[36:37], exec, s[4:5]
	s_cbranch_execz .LBB70_13
; %bb.12:                               ;   in Loop: Header=BB70_11 Depth=2
	s_ashr_i32 s38, s35, 31
	s_add_u32 s4, s34, s38
	s_mov_b32 s39, s38
	s_addc_u32 s5, s35, s38
	s_xor_b64 s[40:41], s[4:5], s[38:39]
	v_cvt_f32_u32_e32 v5, s40
	v_cvt_f32_u32_e32 v10, s41
	s_sub_u32 s39, 0, s40
	s_subb_u32 s45, 0, s41
	v_mac_f32_e32 v5, 0x4f800000, v10
	v_rcp_f32_e32 v5, v5
	v_mul_f32_e32 v5, 0x5f7ffffc, v5
	v_mul_f32_e32 v10, 0x2f800000, v5
	v_trunc_f32_e32 v10, v10
	v_mac_f32_e32 v5, 0xcf800000, v10
	v_cvt_u32_f32_e32 v10, v10
	v_cvt_u32_f32_e32 v5, v5
	v_readfirstlane_b32 s46, v10
	v_readfirstlane_b32 s4, v5
	s_mul_i32 s5, s39, s46
	s_mul_hi_u32 s48, s39, s4
	s_mul_i32 s47, s45, s4
	s_add_i32 s5, s48, s5
	s_add_i32 s5, s5, s47
	s_mul_i32 s49, s39, s4
	s_mul_i32 s48, s4, s5
	s_mul_hi_u32 s50, s4, s49
	s_mul_hi_u32 s47, s4, s5
	s_add_u32 s48, s50, s48
	s_addc_u32 s47, 0, s47
	s_mul_hi_u32 s51, s46, s49
	s_mul_i32 s49, s46, s49
	s_add_u32 s48, s48, s49
	s_mul_hi_u32 s50, s46, s5
	s_addc_u32 s47, s47, s51
	s_addc_u32 s48, s50, 0
	s_mul_i32 s5, s46, s5
	s_add_u32 s5, s47, s5
	s_addc_u32 s47, 0, s48
	s_add_u32 s48, s4, s5
	s_cselect_b64 s[4:5], -1, 0
	s_cmp_lg_u64 s[4:5], 0
	s_addc_u32 s46, s46, s47
	s_mul_i32 s4, s39, s46
	s_mul_hi_u32 s5, s39, s48
	s_add_i32 s4, s5, s4
	s_mul_i32 s45, s45, s48
	s_add_i32 s4, s4, s45
	s_mul_i32 s39, s39, s48
	s_mul_hi_u32 s45, s46, s39
	s_mul_i32 s47, s46, s39
	s_mul_i32 s50, s48, s4
	s_mul_hi_u32 s39, s48, s39
	s_mul_hi_u32 s49, s48, s4
	s_add_u32 s39, s39, s50
	s_addc_u32 s49, 0, s49
	s_add_u32 s39, s39, s47
	s_mul_hi_u32 s5, s46, s4
	s_addc_u32 s39, s49, s45
	s_addc_u32 s5, s5, 0
	s_mul_i32 s4, s46, s4
	s_add_u32 s4, s39, s4
	s_addc_u32 s39, 0, s5
	s_add_u32 s45, s48, s4
	s_cselect_b64 s[4:5], -1, 0
	v_ashrrev_i32_e32 v5, 31, v9
	s_cmp_lg_u64 s[4:5], 0
	v_add_co_u32_e32 v10, vcc, v8, v5
	s_addc_u32 s39, s46, s39
	v_xor_b32_e32 v18, v10, v5
	v_mad_u64_u32 v[10:11], s[4:5], v18, s39, 0
	v_mul_hi_u32 v17, v18, s45
	v_addc_co_u32_e32 v16, vcc, v9, v5, vcc
	v_xor_b32_e32 v19, v16, v5
	v_add_co_u32_e32 v20, vcc, v17, v10
	v_addc_co_u32_e32 v21, vcc, 0, v11, vcc
	v_mad_u64_u32 v[10:11], s[4:5], v19, s45, 0
	v_mad_u64_u32 v[16:17], s[4:5], v19, s39, 0
	v_add_co_u32_e32 v10, vcc, v20, v10
	v_addc_co_u32_e32 v10, vcc, v21, v11, vcc
	v_addc_co_u32_e32 v11, vcc, 0, v17, vcc
	v_add_co_u32_e32 v16, vcc, v10, v16
	v_addc_co_u32_e32 v17, vcc, 0, v11, vcc
	v_mul_lo_u32 v20, s41, v16
	v_mul_lo_u32 v21, s40, v17
	v_mad_u64_u32 v[10:11], s[4:5], s40, v16, 0
	v_xor_b32_e32 v5, s38, v5
	v_add3_u32 v11, v11, v21, v20
	v_sub_u32_e32 v20, v19, v11
	v_mov_b32_e32 v21, s41
	v_sub_co_u32_e32 v10, vcc, v18, v10
	v_subb_co_u32_e64 v18, s[4:5], v20, v21, vcc
	v_subrev_co_u32_e64 v20, s[4:5], s40, v10
	v_subbrev_co_u32_e64 v18, s[4:5], 0, v18, s[4:5]
	v_cmp_le_u32_e64 s[4:5], s41, v18
	v_cndmask_b32_e64 v21, 0, -1, s[4:5]
	v_cmp_le_u32_e64 s[4:5], s40, v20
	v_cndmask_b32_e64 v20, 0, -1, s[4:5]
	v_cmp_eq_u32_e64 s[4:5], s41, v18
	v_cndmask_b32_e64 v18, v21, v20, s[4:5]
	v_add_co_u32_e64 v20, s[4:5], 2, v16
	v_subb_co_u32_e32 v11, vcc, v19, v11, vcc
	v_addc_co_u32_e64 v21, s[4:5], 0, v17, s[4:5]
	v_cmp_le_u32_e32 vcc, s41, v11
	v_add_co_u32_e64 v22, s[4:5], 1, v16
	v_cndmask_b32_e64 v19, 0, -1, vcc
	v_cmp_le_u32_e32 vcc, s40, v10
	v_addc_co_u32_e64 v23, s[4:5], 0, v17, s[4:5]
	v_cndmask_b32_e64 v10, 0, -1, vcc
	v_cmp_eq_u32_e32 vcc, s41, v11
	v_cmp_ne_u32_e64 s[4:5], 0, v18
	v_cndmask_b32_e32 v10, v19, v10, vcc
	v_cndmask_b32_e64 v18, v23, v21, s[4:5]
	v_cmp_ne_u32_e32 vcc, 0, v10
	v_cndmask_b32_e64 v11, v22, v20, s[4:5]
	v_cndmask_b32_e32 v10, v17, v18, vcc
	v_cndmask_b32_e32 v11, v16, v11, vcc
	v_xor_b32_e32 v16, v10, v5
	v_xor_b32_e32 v10, v11, v5
	v_sub_co_u32_e32 v10, vcc, v10, v5
	v_subb_co_u32_e32 v11, vcc, v16, v5, vcc
.LBB70_13:                              ;   in Loop: Header=BB70_11 Depth=2
	s_andn2_saveexec_b64 s[4:5], s[36:37]
	s_cbranch_execz .LBB70_15
; %bb.14:                               ;   in Loop: Header=BB70_11 Depth=2
	v_cvt_f32_u32_e32 v5, s34
	s_sub_i32 s36, 0, s34
	v_rcp_iflag_f32_e32 v5, v5
	v_mul_f32_e32 v5, 0x4f7ffffe, v5
	v_cvt_u32_f32_e32 v5, v5
	v_mul_lo_u32 v10, s36, v5
	v_mul_hi_u32 v10, v5, v10
	v_add_u32_e32 v5, v5, v10
	v_mul_hi_u32 v5, v8, v5
	v_mul_lo_u32 v10, v5, s34
	v_add_u32_e32 v11, 1, v5
	v_sub_u32_e32 v10, v8, v10
	v_subrev_u32_e32 v16, s34, v10
	v_cmp_le_u32_e32 vcc, s34, v10
	v_cndmask_b32_e32 v10, v10, v16, vcc
	v_cndmask_b32_e32 v5, v5, v11, vcc
	v_add_u32_e32 v11, 1, v5
	v_cmp_le_u32_e32 vcc, s34, v10
	v_cndmask_b32_e32 v10, v5, v11, vcc
	v_mov_b32_e32 v11, v4
.LBB70_15:                              ;   in Loop: Header=BB70_11 Depth=2
	s_or_b64 exec, exec, s[4:5]
	v_mul_lo_u32 v5, v11, s34
	v_mul_lo_u32 v18, v10, s35
	v_mad_u64_u32 v[16:17], s[4:5], v10, s34, 0
	s_load_dwordx2 s[4:5], s[30:31], 0xc8
	s_add_i32 s44, s44, -1
	v_add3_u32 v5, v17, v18, v5
	v_sub_co_u32_e32 v8, vcc, v8, v16
	v_subb_co_u32_e32 v5, vcc, v9, v5, vcc
	s_waitcnt lgkmcnt(0)
	v_mul_lo_u32 v5, s4, v5
	v_mul_lo_u32 v9, s5, v8
	v_mad_u64_u32 v[6:7], s[4:5], s4, v8, v[6:7]
	s_add_u32 s30, s30, -8
	s_addc_u32 s31, s31, -1
	s_cmp_gt_u32 s44, 2
	v_add3_u32 v7, v9, v7, v5
	s_cbranch_scc0 .LBB70_17
; %bb.16:                               ;   in Loop: Header=BB70_11 Depth=2
	v_mov_b32_e32 v8, v10
	v_mov_b32_e32 v9, v11
	s_branch .LBB70_11
.LBB70_17:                              ;   in Loop: Header=BB70_10 Depth=1
	v_mul_lo_u32 v5, s23, v10
	v_mul_lo_u32 v11, s22, v11
	v_mad_u64_u32 v[8:9], s[4:5], s22, v10, 0
	v_add3_u32 v9, v9, v11, v5
	v_lshlrev_b64 v[8:9], 2, v[8:9]
	v_mov_b32_e32 v5, s25
	v_add_co_u32_e32 v8, vcc, s24, v8
	v_addc_co_u32_e32 v9, vcc, v5, v9, vcc
	v_lshlrev_b64 v[5:6], 2, v[6:7]
	v_add_co_u32_e32 v5, vcc, v8, v5
	v_addc_co_u32_e32 v6, vcc, v9, v6, vcc
	global_load_dword v5, v[5:6], off
	s_waitcnt vmcnt(0)
	v_ashrrev_i32_e32 v6, 31, v5
	v_cmp_le_i64_e32 vcc, s[10:11], v[5:6]
	v_cmp_ge_i64_e64 s[4:5], s[12:13], v[5:6]
	s_and_b64 s[4:5], vcc, s[4:5]
	s_and_saveexec_b64 s[30:31], s[4:5]
	s_cbranch_execz .LBB70_9
; %bb.18:                               ;   in Loop: Header=BB70_10 Depth=1
	v_mov_b32_e32 v7, s11
	v_subrev_co_u32_e32 v5, vcc, s10, v5
	v_subb_co_u32_e32 v6, vcc, v6, v7, vcc
	v_mul_lo_u32 v8, v6, s8
	v_mul_lo_u32 v9, v5, s9
	v_mad_u64_u32 v[6:7], s[4:5], v5, s8, 0
	v_add3_u32 v7, v7, v9, v8
	v_or_b32_e32 v5, s42, v7
	v_cmp_ne_u64_e32 vcc, 0, v[4:5]
                                        ; implicit-def: $vgpr8_vgpr9
	s_and_saveexec_b64 s[4:5], vcc
	s_xor_b64 s[34:35], exec, s[4:5]
	s_cbranch_execz .LBB70_20
; %bb.19:                               ;   in Loop: Header=BB70_10 Depth=1
	s_ashr_i32 s36, s42, 31
	s_add_u32 s4, s33, s36
	s_mov_b32 s37, s36
	s_addc_u32 s5, s42, s36
	s_xor_b64 s[38:39], s[4:5], s[36:37]
	v_cvt_f32_u32_e32 v5, s38
	v_cvt_f32_u32_e32 v8, s39
	s_sub_u32 s37, 0, s38
	s_subb_u32 s40, 0, s39
	v_ashrrev_i32_e32 v9, 31, v7
	v_mac_f32_e32 v5, 0x4f800000, v8
	v_rcp_f32_e32 v5, v5
	v_mul_f32_e32 v5, 0x5f7ffffc, v5
	v_mul_f32_e32 v8, 0x2f800000, v5
	v_trunc_f32_e32 v8, v8
	v_mac_f32_e32 v5, 0xcf800000, v8
	v_cvt_u32_f32_e32 v8, v8
	v_cvt_u32_f32_e32 v5, v5
	v_readfirstlane_b32 s41, v8
	v_readfirstlane_b32 s4, v5
	s_mul_i32 s5, s37, s41
	s_mul_hi_u32 s45, s37, s4
	s_mul_i32 s44, s40, s4
	s_add_i32 s5, s45, s5
	s_add_i32 s5, s5, s44
	s_mul_i32 s46, s37, s4
	s_mul_i32 s45, s4, s5
	s_mul_hi_u32 s47, s4, s46
	s_mul_hi_u32 s44, s4, s5
	s_add_u32 s45, s47, s45
	s_addc_u32 s44, 0, s44
	s_mul_hi_u32 s48, s41, s46
	s_mul_i32 s46, s41, s46
	s_add_u32 s45, s45, s46
	s_mul_hi_u32 s47, s41, s5
	s_addc_u32 s44, s44, s48
	s_addc_u32 s45, s47, 0
	s_mul_i32 s5, s41, s5
	s_add_u32 s5, s44, s5
	s_addc_u32 s44, 0, s45
	s_add_u32 s45, s4, s5
	s_cselect_b64 s[4:5], -1, 0
	s_cmp_lg_u64 s[4:5], 0
	s_addc_u32 s41, s41, s44
	s_mul_i32 s4, s37, s41
	s_mul_hi_u32 s5, s37, s45
	s_add_i32 s4, s5, s4
	s_mul_i32 s40, s40, s45
	s_add_i32 s4, s4, s40
	s_mul_i32 s37, s37, s45
	s_mul_hi_u32 s40, s41, s37
	s_mul_i32 s44, s41, s37
	s_mul_i32 s47, s45, s4
	s_mul_hi_u32 s37, s45, s37
	s_mul_hi_u32 s46, s45, s4
	s_add_u32 s37, s37, s47
	s_addc_u32 s46, 0, s46
	s_add_u32 s37, s37, s44
	s_mul_hi_u32 s5, s41, s4
	s_addc_u32 s37, s46, s40
	s_addc_u32 s5, s5, 0
	s_mul_i32 s4, s41, s4
	s_add_u32 s4, s37, s4
	s_addc_u32 s37, 0, s5
	s_add_u32 s40, s45, s4
	s_cselect_b64 s[4:5], -1, 0
	s_cmp_lg_u64 s[4:5], 0
	v_add_co_u32_e32 v5, vcc, v6, v9
	s_addc_u32 s37, s41, s37
	v_xor_b32_e32 v10, v5, v9
	v_mad_u64_u32 v[5:6], s[4:5], v10, s37, 0
	v_mul_hi_u32 v8, v10, s40
	v_addc_co_u32_e32 v7, vcc, v7, v9, vcc
	v_xor_b32_e32 v11, v7, v9
	v_add_co_u32_e32 v16, vcc, v8, v5
	v_addc_co_u32_e32 v17, vcc, 0, v6, vcc
	v_mad_u64_u32 v[5:6], s[4:5], v11, s40, 0
	v_mad_u64_u32 v[7:8], s[4:5], v11, s37, 0
	v_add_co_u32_e32 v5, vcc, v16, v5
	v_addc_co_u32_e32 v5, vcc, v17, v6, vcc
	v_addc_co_u32_e32 v6, vcc, 0, v8, vcc
	v_add_co_u32_e32 v7, vcc, v5, v7
	v_addc_co_u32_e32 v5, vcc, 0, v6, vcc
	v_mul_lo_u32 v8, s39, v7
	v_mul_lo_u32 v16, s38, v5
	v_mad_u64_u32 v[5:6], s[4:5], s38, v7, 0
	v_add3_u32 v6, v6, v16, v8
	v_sub_u32_e32 v8, v11, v6
	v_mov_b32_e32 v16, s39
	v_sub_co_u32_e32 v5, vcc, v10, v5
	v_subb_co_u32_e64 v8, s[4:5], v8, v16, vcc
	v_subrev_co_u32_e64 v10, s[4:5], s38, v5
	v_subbrev_co_u32_e64 v8, s[4:5], 0, v8, s[4:5]
	v_cmp_le_u32_e64 s[4:5], s39, v8
	v_subb_co_u32_e32 v6, vcc, v11, v6, vcc
	v_cndmask_b32_e64 v16, 0, -1, s[4:5]
	v_cmp_le_u32_e64 s[4:5], s38, v10
	v_cmp_le_u32_e32 vcc, s39, v6
	v_cndmask_b32_e64 v10, 0, -1, s[4:5]
	v_cmp_eq_u32_e64 s[4:5], s39, v8
	v_cndmask_b32_e64 v11, 0, -1, vcc
	v_cmp_le_u32_e32 vcc, s38, v5
	v_cndmask_b32_e64 v8, v16, v10, s[4:5]
	v_cndmask_b32_e64 v5, 0, -1, vcc
	v_cmp_eq_u32_e32 vcc, s39, v6
	v_add_co_u32_e64 v10, s[4:5], 2, v7
	v_add_co_u32_e64 v16, s[4:5], 1, v7
	v_cndmask_b32_e32 v5, v11, v5, vcc
	v_cmp_ne_u32_e32 vcc, 0, v8
	v_cndmask_b32_e32 v6, v16, v10, vcc
	v_cmp_ne_u32_e32 vcc, 0, v5
	v_cndmask_b32_e32 v5, v7, v6, vcc
	v_xor_b32_e32 v6, s36, v9
	v_xor_b32_e32 v5, v5, v6
	v_sub_co_u32_e32 v8, vcc, v5, v6
                                        ; implicit-def: $vgpr6_vgpr7
.LBB70_20:                              ;   in Loop: Header=BB70_10 Depth=1
	s_andn2_saveexec_b64 s[4:5], s[34:35]
	s_cbranch_execz .LBB70_8
; %bb.21:                               ;   in Loop: Header=BB70_10 Depth=1
	v_cvt_f32_u32_e32 v5, s33
	s_sub_i32 s34, 0, s33
	v_rcp_iflag_f32_e32 v5, v5
	v_mul_f32_e32 v5, 0x4f7ffffe, v5
	v_cvt_u32_f32_e32 v5, v5
	v_mul_lo_u32 v7, s34, v5
	v_mul_hi_u32 v7, v5, v7
	v_add_u32_e32 v5, v5, v7
	v_mul_hi_u32 v5, v6, v5
	v_mul_lo_u32 v7, v5, s33
	v_add_u32_e32 v8, 1, v5
	v_sub_u32_e32 v6, v6, v7
	v_subrev_u32_e32 v7, s33, v6
	v_cmp_le_u32_e32 vcc, s33, v6
	v_cndmask_b32_e32 v6, v6, v7, vcc
	v_cndmask_b32_e32 v5, v5, v8, vcc
	v_add_u32_e32 v7, 1, v5
	v_cmp_le_u32_e32 vcc, s33, v6
	v_cndmask_b32_e32 v8, v5, v7, vcc
	s_branch .LBB70_8
.LBB70_22:
	s_or_b64 exec, exec, s[6:7]
; %bb.23:
	s_waitcnt lgkmcnt(0)
	s_barrier
	s_and_saveexec_b64 s[2:3], s[0:1]
	s_cbranch_execz .LBB70_26
; %bb.24:
	v_mad_u64_u32 v[2:3], s[0:1], s20, v0, 0
	v_and_b32_e32 v6, 0xffff, v14
	v_mov_b32_e32 v9, s17
	v_mad_u64_u32 v[3:4], s[0:1], s21, v0, v[3:4]
	v_mad_u64_u32 v[4:5], s[0:1], s20, v6, 0
	v_lshlrev_b64 v[2:3], 2, v[2:3]
	v_mad_u64_u32 v[7:8], s[0:1], s21, v6, v[5:6]
	v_add_co_u32_e32 v2, vcc, s16, v2
	v_mov_b32_e32 v5, v7
	v_lshlrev_b64 v[4:5], 2, v[4:5]
	v_addc_co_u32_e32 v3, vcc, v9, v3, vcc
	v_lshlrev_b32_e32 v7, 2, v13
	s_mov_b64 s[0:1], 0
.LBB70_25:                              ; =>This Inner Loop Header: Depth=1
	ds_read_b32 v8, v12
	v_add_co_u32_e32 v0, vcc, v0, v6
	v_addc_co_u32_e32 v1, vcc, 0, v1, vcc
	s_waitcnt lgkmcnt(0)
	global_atomic_add v[2:3], v8, off
	v_cmp_le_i64_e32 vcc, s[18:19], v[0:1]
	v_add_u32_e32 v12, v12, v7
	s_or_b64 s[0:1], vcc, s[0:1]
	v_add_co_u32_e32 v2, vcc, v2, v4
	v_addc_co_u32_e32 v3, vcc, v3, v5, vcc
	s_andn2_b64 exec, exec, s[0:1]
	s_cbranch_execnz .LBB70_25
.LBB70_26:
	s_endpgm
	.section	.rodata,"a",@progbits
	.p2align	6, 0x0
	.amdhsa_kernel _ZN2at4cuda17kernelHistogram1DIiilLi1ELi2ELin1ELNS0_23CUDAHistogramMemoryTypeE0EZNS0_21CUDA_tensor_histogramIiiLb0EEEbNS_6TensorES4_S4_lNS_14AccumulateTypeIT0_Lb1EE4typeES8_NS0_13TensorArgTypeES9_S9_EUllE0_EEvNS0_6detail10TensorInfoIT_T1_EESF_NSC_IKS6_SE_EElS8_S8_SE_T6_
		.amdhsa_group_segment_fixed_size 0
		.amdhsa_private_segment_fixed_size 0
		.amdhsa_kernarg_size 1544
		.amdhsa_user_sgpr_count 6
		.amdhsa_user_sgpr_private_segment_buffer 1
		.amdhsa_user_sgpr_dispatch_ptr 0
		.amdhsa_user_sgpr_queue_ptr 0
		.amdhsa_user_sgpr_kernarg_segment_ptr 1
		.amdhsa_user_sgpr_dispatch_id 0
		.amdhsa_user_sgpr_flat_scratch_init 0
		.amdhsa_user_sgpr_private_segment_size 0
		.amdhsa_uses_dynamic_stack 0
		.amdhsa_system_sgpr_private_segment_wavefront_offset 0
		.amdhsa_system_sgpr_workgroup_id_x 1
		.amdhsa_system_sgpr_workgroup_id_y 0
		.amdhsa_system_sgpr_workgroup_id_z 0
		.amdhsa_system_sgpr_workgroup_info 0
		.amdhsa_system_vgpr_workitem_id 0
		.amdhsa_next_free_vgpr 24
		.amdhsa_next_free_sgpr 52
		.amdhsa_reserve_vcc 1
		.amdhsa_reserve_flat_scratch 0
		.amdhsa_float_round_mode_32 0
		.amdhsa_float_round_mode_16_64 0
		.amdhsa_float_denorm_mode_32 3
		.amdhsa_float_denorm_mode_16_64 3
		.amdhsa_dx10_clamp 1
		.amdhsa_ieee_mode 1
		.amdhsa_fp16_overflow 0
		.amdhsa_exception_fp_ieee_invalid_op 0
		.amdhsa_exception_fp_denorm_src 0
		.amdhsa_exception_fp_ieee_div_zero 0
		.amdhsa_exception_fp_ieee_overflow 0
		.amdhsa_exception_fp_ieee_underflow 0
		.amdhsa_exception_fp_ieee_inexact 0
		.amdhsa_exception_int_div_zero 0
	.end_amdhsa_kernel
	.section	.text._ZN2at4cuda17kernelHistogram1DIiilLi1ELi2ELin1ELNS0_23CUDAHistogramMemoryTypeE0EZNS0_21CUDA_tensor_histogramIiiLb0EEEbNS_6TensorES4_S4_lNS_14AccumulateTypeIT0_Lb1EE4typeES8_NS0_13TensorArgTypeES9_S9_EUllE0_EEvNS0_6detail10TensorInfoIT_T1_EESF_NSC_IKS6_SE_EElS8_S8_SE_T6_,"axG",@progbits,_ZN2at4cuda17kernelHistogram1DIiilLi1ELi2ELin1ELNS0_23CUDAHistogramMemoryTypeE0EZNS0_21CUDA_tensor_histogramIiiLb0EEEbNS_6TensorES4_S4_lNS_14AccumulateTypeIT0_Lb1EE4typeES8_NS0_13TensorArgTypeES9_S9_EUllE0_EEvNS0_6detail10TensorInfoIT_T1_EESF_NSC_IKS6_SE_EElS8_S8_SE_T6_,comdat
.Lfunc_end70:
	.size	_ZN2at4cuda17kernelHistogram1DIiilLi1ELi2ELin1ELNS0_23CUDAHistogramMemoryTypeE0EZNS0_21CUDA_tensor_histogramIiiLb0EEEbNS_6TensorES4_S4_lNS_14AccumulateTypeIT0_Lb1EE4typeES8_NS0_13TensorArgTypeES9_S9_EUllE0_EEvNS0_6detail10TensorInfoIT_T1_EESF_NSC_IKS6_SE_EElS8_S8_SE_T6_, .Lfunc_end70-_ZN2at4cuda17kernelHistogram1DIiilLi1ELi2ELin1ELNS0_23CUDAHistogramMemoryTypeE0EZNS0_21CUDA_tensor_histogramIiiLb0EEEbNS_6TensorES4_S4_lNS_14AccumulateTypeIT0_Lb1EE4typeES8_NS0_13TensorArgTypeES9_S9_EUllE0_EEvNS0_6detail10TensorInfoIT_T1_EESF_NSC_IKS6_SE_EElS8_S8_SE_T6_
                                        ; -- End function
	.set _ZN2at4cuda17kernelHistogram1DIiilLi1ELi2ELin1ELNS0_23CUDAHistogramMemoryTypeE0EZNS0_21CUDA_tensor_histogramIiiLb0EEEbNS_6TensorES4_S4_lNS_14AccumulateTypeIT0_Lb1EE4typeES8_NS0_13TensorArgTypeES9_S9_EUllE0_EEvNS0_6detail10TensorInfoIT_T1_EESF_NSC_IKS6_SE_EElS8_S8_SE_T6_.num_vgpr, 24
	.set _ZN2at4cuda17kernelHistogram1DIiilLi1ELi2ELin1ELNS0_23CUDAHistogramMemoryTypeE0EZNS0_21CUDA_tensor_histogramIiiLb0EEEbNS_6TensorES4_S4_lNS_14AccumulateTypeIT0_Lb1EE4typeES8_NS0_13TensorArgTypeES9_S9_EUllE0_EEvNS0_6detail10TensorInfoIT_T1_EESF_NSC_IKS6_SE_EElS8_S8_SE_T6_.num_agpr, 0
	.set _ZN2at4cuda17kernelHistogram1DIiilLi1ELi2ELin1ELNS0_23CUDAHistogramMemoryTypeE0EZNS0_21CUDA_tensor_histogramIiiLb0EEEbNS_6TensorES4_S4_lNS_14AccumulateTypeIT0_Lb1EE4typeES8_NS0_13TensorArgTypeES9_S9_EUllE0_EEvNS0_6detail10TensorInfoIT_T1_EESF_NSC_IKS6_SE_EElS8_S8_SE_T6_.numbered_sgpr, 52
	.set _ZN2at4cuda17kernelHistogram1DIiilLi1ELi2ELin1ELNS0_23CUDAHistogramMemoryTypeE0EZNS0_21CUDA_tensor_histogramIiiLb0EEEbNS_6TensorES4_S4_lNS_14AccumulateTypeIT0_Lb1EE4typeES8_NS0_13TensorArgTypeES9_S9_EUllE0_EEvNS0_6detail10TensorInfoIT_T1_EESF_NSC_IKS6_SE_EElS8_S8_SE_T6_.num_named_barrier, 0
	.set _ZN2at4cuda17kernelHistogram1DIiilLi1ELi2ELin1ELNS0_23CUDAHistogramMemoryTypeE0EZNS0_21CUDA_tensor_histogramIiiLb0EEEbNS_6TensorES4_S4_lNS_14AccumulateTypeIT0_Lb1EE4typeES8_NS0_13TensorArgTypeES9_S9_EUllE0_EEvNS0_6detail10TensorInfoIT_T1_EESF_NSC_IKS6_SE_EElS8_S8_SE_T6_.private_seg_size, 0
	.set _ZN2at4cuda17kernelHistogram1DIiilLi1ELi2ELin1ELNS0_23CUDAHistogramMemoryTypeE0EZNS0_21CUDA_tensor_histogramIiiLb0EEEbNS_6TensorES4_S4_lNS_14AccumulateTypeIT0_Lb1EE4typeES8_NS0_13TensorArgTypeES9_S9_EUllE0_EEvNS0_6detail10TensorInfoIT_T1_EESF_NSC_IKS6_SE_EElS8_S8_SE_T6_.uses_vcc, 1
	.set _ZN2at4cuda17kernelHistogram1DIiilLi1ELi2ELin1ELNS0_23CUDAHistogramMemoryTypeE0EZNS0_21CUDA_tensor_histogramIiiLb0EEEbNS_6TensorES4_S4_lNS_14AccumulateTypeIT0_Lb1EE4typeES8_NS0_13TensorArgTypeES9_S9_EUllE0_EEvNS0_6detail10TensorInfoIT_T1_EESF_NSC_IKS6_SE_EElS8_S8_SE_T6_.uses_flat_scratch, 0
	.set _ZN2at4cuda17kernelHistogram1DIiilLi1ELi2ELin1ELNS0_23CUDAHistogramMemoryTypeE0EZNS0_21CUDA_tensor_histogramIiiLb0EEEbNS_6TensorES4_S4_lNS_14AccumulateTypeIT0_Lb1EE4typeES8_NS0_13TensorArgTypeES9_S9_EUllE0_EEvNS0_6detail10TensorInfoIT_T1_EESF_NSC_IKS6_SE_EElS8_S8_SE_T6_.has_dyn_sized_stack, 0
	.set _ZN2at4cuda17kernelHistogram1DIiilLi1ELi2ELin1ELNS0_23CUDAHistogramMemoryTypeE0EZNS0_21CUDA_tensor_histogramIiiLb0EEEbNS_6TensorES4_S4_lNS_14AccumulateTypeIT0_Lb1EE4typeES8_NS0_13TensorArgTypeES9_S9_EUllE0_EEvNS0_6detail10TensorInfoIT_T1_EESF_NSC_IKS6_SE_EElS8_S8_SE_T6_.has_recursion, 0
	.set _ZN2at4cuda17kernelHistogram1DIiilLi1ELi2ELin1ELNS0_23CUDAHistogramMemoryTypeE0EZNS0_21CUDA_tensor_histogramIiiLb0EEEbNS_6TensorES4_S4_lNS_14AccumulateTypeIT0_Lb1EE4typeES8_NS0_13TensorArgTypeES9_S9_EUllE0_EEvNS0_6detail10TensorInfoIT_T1_EESF_NSC_IKS6_SE_EElS8_S8_SE_T6_.has_indirect_call, 0
	.section	.AMDGPU.csdata,"",@progbits
; Kernel info:
; codeLenInByte = 2348
; TotalNumSgprs: 56
; NumVgprs: 24
; ScratchSize: 0
; MemoryBound: 0
; FloatMode: 240
; IeeeMode: 1
; LDSByteSize: 0 bytes/workgroup (compile time only)
; SGPRBlocks: 6
; VGPRBlocks: 5
; NumSGPRsForWavesPerEU: 56
; NumVGPRsForWavesPerEU: 24
; Occupancy: 10
; WaveLimiterHint : 1
; COMPUTE_PGM_RSRC2:SCRATCH_EN: 0
; COMPUTE_PGM_RSRC2:USER_SGPR: 6
; COMPUTE_PGM_RSRC2:TRAP_HANDLER: 0
; COMPUTE_PGM_RSRC2:TGID_X_EN: 1
; COMPUTE_PGM_RSRC2:TGID_Y_EN: 0
; COMPUTE_PGM_RSRC2:TGID_Z_EN: 0
; COMPUTE_PGM_RSRC2:TIDIG_COMP_CNT: 0
	.section	.text._ZN2at4cuda17kernelHistogram1DIiilLi1ELi2ELin1ELNS0_23CUDAHistogramMemoryTypeE1EZNS0_21CUDA_tensor_histogramIiiLb0EEEbNS_6TensorES4_S4_lNS_14AccumulateTypeIT0_Lb1EE4typeES8_NS0_13TensorArgTypeES9_S9_EUllE0_EEvNS0_6detail10TensorInfoIT_T1_EESF_NSC_IKS6_SE_EElS8_S8_SE_T6_,"axG",@progbits,_ZN2at4cuda17kernelHistogram1DIiilLi1ELi2ELin1ELNS0_23CUDAHistogramMemoryTypeE1EZNS0_21CUDA_tensor_histogramIiiLb0EEEbNS_6TensorES4_S4_lNS_14AccumulateTypeIT0_Lb1EE4typeES8_NS0_13TensorArgTypeES9_S9_EUllE0_EEvNS0_6detail10TensorInfoIT_T1_EESF_NSC_IKS6_SE_EElS8_S8_SE_T6_,comdat
	.protected	_ZN2at4cuda17kernelHistogram1DIiilLi1ELi2ELin1ELNS0_23CUDAHistogramMemoryTypeE1EZNS0_21CUDA_tensor_histogramIiiLb0EEEbNS_6TensorES4_S4_lNS_14AccumulateTypeIT0_Lb1EE4typeES8_NS0_13TensorArgTypeES9_S9_EUllE0_EEvNS0_6detail10TensorInfoIT_T1_EESF_NSC_IKS6_SE_EElS8_S8_SE_T6_ ; -- Begin function _ZN2at4cuda17kernelHistogram1DIiilLi1ELi2ELin1ELNS0_23CUDAHistogramMemoryTypeE1EZNS0_21CUDA_tensor_histogramIiiLb0EEEbNS_6TensorES4_S4_lNS_14AccumulateTypeIT0_Lb1EE4typeES8_NS0_13TensorArgTypeES9_S9_EUllE0_EEvNS0_6detail10TensorInfoIT_T1_EESF_NSC_IKS6_SE_EElS8_S8_SE_T6_
	.globl	_ZN2at4cuda17kernelHistogram1DIiilLi1ELi2ELin1ELNS0_23CUDAHistogramMemoryTypeE1EZNS0_21CUDA_tensor_histogramIiiLb0EEEbNS_6TensorES4_S4_lNS_14AccumulateTypeIT0_Lb1EE4typeES8_NS0_13TensorArgTypeES9_S9_EUllE0_EEvNS0_6detail10TensorInfoIT_T1_EESF_NSC_IKS6_SE_EElS8_S8_SE_T6_
	.p2align	8
	.type	_ZN2at4cuda17kernelHistogram1DIiilLi1ELi2ELin1ELNS0_23CUDAHistogramMemoryTypeE1EZNS0_21CUDA_tensor_histogramIiiLb0EEEbNS_6TensorES4_S4_lNS_14AccumulateTypeIT0_Lb1EE4typeES8_NS0_13TensorArgTypeES9_S9_EUllE0_EEvNS0_6detail10TensorInfoIT_T1_EESF_NSC_IKS6_SE_EElS8_S8_SE_T6_,@function
_ZN2at4cuda17kernelHistogram1DIiilLi1ELi2ELin1ELNS0_23CUDAHistogramMemoryTypeE1EZNS0_21CUDA_tensor_histogramIiiLb0EEEbNS_6TensorES4_S4_lNS_14AccumulateTypeIT0_Lb1EE4typeES8_NS0_13TensorArgTypeES9_S9_EUllE0_EEvNS0_6detail10TensorInfoIT_T1_EESF_NSC_IKS6_SE_EElS8_S8_SE_T6_: ; @_ZN2at4cuda17kernelHistogram1DIiilLi1ELi2ELin1ELNS0_23CUDAHistogramMemoryTypeE1EZNS0_21CUDA_tensor_histogramIiiLb0EEEbNS_6TensorES4_S4_lNS_14AccumulateTypeIT0_Lb1EE4typeES8_NS0_13TensorArgTypeES9_S9_EUllE0_EEvNS0_6detail10TensorInfoIT_T1_EESF_NSC_IKS6_SE_EElS8_S8_SE_T6_
; %bb.0:
	s_load_dword s2, s[4:5], 0x514
	s_load_dwordx8 s[8:15], s[4:5], 0x4e0
	s_add_u32 s0, s4, 0x508
	s_addc_u32 s1, s5, 0
	v_mov_b32_e32 v2, 0
	s_waitcnt lgkmcnt(0)
	s_and_b32 s2, s2, 0xffff
	s_mul_i32 s6, s6, s2
	v_add_u32_e32 v0, s6, v0
	v_mov_b32_e32 v1, v2
	v_cmp_gt_i64_e32 vcc, s[14:15], v[0:1]
	s_and_saveexec_b64 s[6:7], vcc
	s_cbranch_execz .LBB71_16
; %bb.1:
	s_load_dword s22, s[4:5], 0x4d8
	s_load_dword s3, s[0:1], 0x0
	s_add_u32 s23, s4, 0x340
	s_addc_u32 s24, s5, 0
	s_load_dwordx2 s[6:7], s[4:5], 0x0
	s_load_dwordx2 s[16:17], s[4:5], 0xd0
	;; [unrolled: 1-line block ×4, first 2 shown]
	s_waitcnt lgkmcnt(0)
	s_cmp_gt_i32 s22, 1
	s_cselect_b64 s[0:1], -1, 0
	s_sub_u32 s33, s12, s10
	s_subb_u32 s36, s13, s11
	s_mul_i32 s37, s3, s2
	s_mov_b32 s3, 0
	s_add_i32 s2, s22, -1
	s_add_i32 s38, s22, 1
	s_lshl_b64 s[2:3], s[2:3], 3
	s_add_u32 s2, s23, s2
	s_addc_u32 s3, s24, s3
	s_add_u32 s4, s2, 8
	v_cndmask_b32_e64 v3, 0, 1, s[0:1]
	s_addc_u32 s5, s3, 0
	s_mov_b64 s[22:23], 0
	v_mov_b32_e32 v10, 1
	v_cmp_ne_u32_e64 s[0:1], 1, v3
	s_branch .LBB71_4
.LBB71_2:                               ;   in Loop: Header=BB71_4 Depth=1
	s_or_b64 exec, exec, s[2:3]
	v_ashrrev_i32_e32 v7, 31, v6
	v_cmp_eq_u64_e32 vcc, s[8:9], v[6:7]
	v_cndmask_b32_e64 v3, 0, 1, vcc
	v_sub_co_u32_e32 v3, vcc, v6, v3
	v_subbrev_co_u32_e32 v4, vcc, 0, v7, vcc
	v_mul_lo_u32 v5, v4, s16
	v_mul_lo_u32 v6, v3, s17
	v_mad_u64_u32 v[3:4], s[2:3], v3, s16, 0
	v_add3_u32 v4, v4, v6, v5
	v_lshlrev_b64 v[3:4], 2, v[3:4]
	v_mov_b32_e32 v5, s7
	v_add_co_u32_e32 v3, vcc, s6, v3
	v_addc_co_u32_e32 v4, vcc, v5, v4, vcc
	global_atomic_add v[3:4], v10, off
.LBB71_3:                               ;   in Loop: Header=BB71_4 Depth=1
	s_or_b64 exec, exec, s[24:25]
	v_add_co_u32_e32 v0, vcc, s37, v0
	v_addc_co_u32_e32 v1, vcc, 0, v1, vcc
	v_cmp_le_i64_e32 vcc, s[14:15], v[0:1]
	s_or_b64 s[22:23], vcc, s[22:23]
	s_andn2_b64 exec, exec, s[22:23]
	s_cbranch_execz .LBB71_16
.LBB71_4:                               ; =>This Loop Header: Depth=1
                                        ;     Child Loop BB71_5 Depth 2
	v_mov_b32_e32 v4, 0
	v_mov_b32_e32 v7, v1
	;; [unrolled: 1-line block ×4, first 2 shown]
	s_and_b64 vcc, exec, s[0:1]
	s_mov_b64 s[24:25], s[4:5]
	s_mov_b32 s39, s38
	v_mov_b32_e32 v6, v0
	v_mov_b32_e32 v8, v0
	s_cbranch_vccnz .LBB71_11
.LBB71_5:                               ;   Parent Loop BB71_4 Depth=1
                                        ; =>  This Inner Loop Header: Depth=2
	s_load_dwordx2 s[26:27], s[24:25], 0x0
                                        ; implicit-def: $vgpr8_vgpr9
	s_waitcnt lgkmcnt(0)
	v_or_b32_e32 v3, s27, v7
	v_cmp_ne_u64_e32 vcc, 0, v[2:3]
	s_and_saveexec_b64 s[2:3], vcc
	s_xor_b64 s[28:29], exec, s[2:3]
	s_cbranch_execz .LBB71_7
; %bb.6:                                ;   in Loop: Header=BB71_5 Depth=2
	s_ashr_i32 s30, s27, 31
	s_add_u32 s2, s26, s30
	s_mov_b32 s31, s30
	s_addc_u32 s3, s27, s30
	s_xor_b64 s[34:35], s[2:3], s[30:31]
	v_cvt_f32_u32_e32 v3, s34
	v_cvt_f32_u32_e32 v8, s35
	s_sub_u32 s31, 0, s34
	s_subb_u32 s40, 0, s35
	v_mac_f32_e32 v3, 0x4f800000, v8
	v_rcp_f32_e32 v3, v3
	v_mul_f32_e32 v3, 0x5f7ffffc, v3
	v_mul_f32_e32 v8, 0x2f800000, v3
	v_trunc_f32_e32 v8, v8
	v_mac_f32_e32 v3, 0xcf800000, v8
	v_cvt_u32_f32_e32 v8, v8
	v_cvt_u32_f32_e32 v3, v3
	v_readfirstlane_b32 s41, v8
	v_readfirstlane_b32 s2, v3
	s_mul_i32 s3, s31, s41
	s_mul_hi_u32 s43, s31, s2
	s_mul_i32 s42, s40, s2
	s_add_i32 s3, s43, s3
	s_add_i32 s3, s3, s42
	s_mul_i32 s44, s31, s2
	s_mul_i32 s43, s2, s3
	s_mul_hi_u32 s45, s2, s44
	s_mul_hi_u32 s42, s2, s3
	s_add_u32 s43, s45, s43
	s_addc_u32 s42, 0, s42
	s_mul_hi_u32 s46, s41, s44
	s_mul_i32 s44, s41, s44
	s_add_u32 s43, s43, s44
	s_mul_hi_u32 s45, s41, s3
	s_addc_u32 s42, s42, s46
	s_addc_u32 s43, s45, 0
	s_mul_i32 s3, s41, s3
	s_add_u32 s3, s42, s3
	s_addc_u32 s42, 0, s43
	s_add_u32 s43, s2, s3
	s_cselect_b64 s[2:3], -1, 0
	s_cmp_lg_u64 s[2:3], 0
	s_addc_u32 s41, s41, s42
	s_mul_i32 s2, s31, s41
	s_mul_hi_u32 s3, s31, s43
	s_add_i32 s2, s3, s2
	s_mul_i32 s40, s40, s43
	s_add_i32 s2, s2, s40
	s_mul_i32 s31, s31, s43
	s_mul_hi_u32 s40, s41, s31
	s_mul_i32 s42, s41, s31
	s_mul_i32 s45, s43, s2
	s_mul_hi_u32 s31, s43, s31
	s_mul_hi_u32 s44, s43, s2
	s_add_u32 s31, s31, s45
	s_addc_u32 s44, 0, s44
	s_add_u32 s31, s31, s42
	s_mul_hi_u32 s3, s41, s2
	s_addc_u32 s31, s44, s40
	s_addc_u32 s3, s3, 0
	s_mul_i32 s2, s41, s2
	s_add_u32 s2, s31, s2
	s_addc_u32 s31, 0, s3
	s_add_u32 s40, s43, s2
	s_cselect_b64 s[2:3], -1, 0
	v_ashrrev_i32_e32 v3, 31, v7
	s_cmp_lg_u64 s[2:3], 0
	v_add_co_u32_e32 v8, vcc, v6, v3
	s_addc_u32 s31, s41, s31
	v_xor_b32_e32 v13, v8, v3
	v_mad_u64_u32 v[8:9], s[2:3], v13, s31, 0
	v_mul_hi_u32 v12, v13, s40
	v_addc_co_u32_e32 v11, vcc, v7, v3, vcc
	v_xor_b32_e32 v14, v11, v3
	v_add_co_u32_e32 v15, vcc, v12, v8
	v_addc_co_u32_e32 v16, vcc, 0, v9, vcc
	v_mad_u64_u32 v[8:9], s[2:3], v14, s40, 0
	v_mad_u64_u32 v[11:12], s[2:3], v14, s31, 0
	v_add_co_u32_e32 v8, vcc, v15, v8
	v_addc_co_u32_e32 v8, vcc, v16, v9, vcc
	v_addc_co_u32_e32 v9, vcc, 0, v12, vcc
	v_add_co_u32_e32 v11, vcc, v8, v11
	v_addc_co_u32_e32 v12, vcc, 0, v9, vcc
	v_mul_lo_u32 v15, s35, v11
	v_mul_lo_u32 v16, s34, v12
	v_mad_u64_u32 v[8:9], s[2:3], s34, v11, 0
	v_xor_b32_e32 v3, s30, v3
	v_add3_u32 v9, v9, v16, v15
	v_sub_u32_e32 v15, v14, v9
	v_mov_b32_e32 v16, s35
	v_sub_co_u32_e32 v8, vcc, v13, v8
	v_subb_co_u32_e64 v13, s[2:3], v15, v16, vcc
	v_subrev_co_u32_e64 v15, s[2:3], s34, v8
	v_subbrev_co_u32_e64 v13, s[2:3], 0, v13, s[2:3]
	v_cmp_le_u32_e64 s[2:3], s35, v13
	v_cndmask_b32_e64 v16, 0, -1, s[2:3]
	v_cmp_le_u32_e64 s[2:3], s34, v15
	v_cndmask_b32_e64 v15, 0, -1, s[2:3]
	v_cmp_eq_u32_e64 s[2:3], s35, v13
	v_cndmask_b32_e64 v13, v16, v15, s[2:3]
	v_add_co_u32_e64 v15, s[2:3], 2, v11
	v_subb_co_u32_e32 v9, vcc, v14, v9, vcc
	v_addc_co_u32_e64 v16, s[2:3], 0, v12, s[2:3]
	v_cmp_le_u32_e32 vcc, s35, v9
	v_add_co_u32_e64 v17, s[2:3], 1, v11
	v_cndmask_b32_e64 v14, 0, -1, vcc
	v_cmp_le_u32_e32 vcc, s34, v8
	v_addc_co_u32_e64 v18, s[2:3], 0, v12, s[2:3]
	v_cndmask_b32_e64 v8, 0, -1, vcc
	v_cmp_eq_u32_e32 vcc, s35, v9
	v_cmp_ne_u32_e64 s[2:3], 0, v13
	v_cndmask_b32_e32 v8, v14, v8, vcc
	v_cndmask_b32_e64 v13, v18, v16, s[2:3]
	v_cmp_ne_u32_e32 vcc, 0, v8
	v_cndmask_b32_e64 v9, v17, v15, s[2:3]
	v_cndmask_b32_e32 v8, v12, v13, vcc
	v_cndmask_b32_e32 v9, v11, v9, vcc
	v_xor_b32_e32 v11, v8, v3
	v_xor_b32_e32 v8, v9, v3
	v_sub_co_u32_e32 v8, vcc, v8, v3
	v_subb_co_u32_e32 v9, vcc, v11, v3, vcc
.LBB71_7:                               ;   in Loop: Header=BB71_5 Depth=2
	s_andn2_saveexec_b64 s[2:3], s[28:29]
	s_cbranch_execz .LBB71_9
; %bb.8:                                ;   in Loop: Header=BB71_5 Depth=2
	v_cvt_f32_u32_e32 v3, s26
	s_sub_i32 s28, 0, s26
	v_rcp_iflag_f32_e32 v3, v3
	v_mul_f32_e32 v3, 0x4f7ffffe, v3
	v_cvt_u32_f32_e32 v3, v3
	v_mul_lo_u32 v8, s28, v3
	v_mul_hi_u32 v8, v3, v8
	v_add_u32_e32 v3, v3, v8
	v_mul_hi_u32 v3, v6, v3
	v_mul_lo_u32 v8, v3, s26
	v_add_u32_e32 v9, 1, v3
	v_sub_u32_e32 v8, v6, v8
	v_subrev_u32_e32 v11, s26, v8
	v_cmp_le_u32_e32 vcc, s26, v8
	v_cndmask_b32_e32 v8, v8, v11, vcc
	v_cndmask_b32_e32 v3, v3, v9, vcc
	v_add_u32_e32 v9, 1, v3
	v_cmp_le_u32_e32 vcc, s26, v8
	v_cndmask_b32_e32 v8, v3, v9, vcc
	v_mov_b32_e32 v9, v2
.LBB71_9:                               ;   in Loop: Header=BB71_5 Depth=2
	s_or_b64 exec, exec, s[2:3]
	v_mul_lo_u32 v3, v9, s26
	v_mul_lo_u32 v13, v8, s27
	v_mad_u64_u32 v[11:12], s[2:3], v8, s26, 0
	s_load_dwordx2 s[2:3], s[24:25], 0xc8
	s_add_i32 s39, s39, -1
	v_add3_u32 v3, v12, v13, v3
	v_sub_co_u32_e32 v6, vcc, v6, v11
	v_subb_co_u32_e32 v3, vcc, v7, v3, vcc
	s_waitcnt lgkmcnt(0)
	v_mul_lo_u32 v3, s2, v3
	v_mul_lo_u32 v7, s3, v6
	v_mad_u64_u32 v[4:5], s[2:3], s2, v6, v[4:5]
	s_add_u32 s24, s24, -8
	s_addc_u32 s25, s25, -1
	s_cmp_gt_u32 s39, 2
	v_add3_u32 v5, v7, v5, v3
	s_cbranch_scc0 .LBB71_11
; %bb.10:                               ;   in Loop: Header=BB71_5 Depth=2
	v_mov_b32_e32 v6, v8
	v_mov_b32_e32 v7, v9
	s_branch .LBB71_5
.LBB71_11:                              ;   in Loop: Header=BB71_4 Depth=1
	v_mul_lo_u32 v3, s19, v8
	v_mul_lo_u32 v9, s18, v9
	v_mad_u64_u32 v[6:7], s[2:3], s18, v8, 0
	v_add3_u32 v7, v7, v9, v3
	v_lshlrev_b64 v[6:7], 2, v[6:7]
	v_mov_b32_e32 v3, s21
	v_add_co_u32_e32 v6, vcc, s20, v6
	v_addc_co_u32_e32 v7, vcc, v3, v7, vcc
	v_lshlrev_b64 v[3:4], 2, v[4:5]
	v_add_co_u32_e32 v3, vcc, v6, v3
	v_addc_co_u32_e32 v4, vcc, v7, v4, vcc
	global_load_dword v3, v[3:4], off
	s_waitcnt vmcnt(0)
	v_ashrrev_i32_e32 v4, 31, v3
	v_cmp_le_i64_e32 vcc, s[10:11], v[3:4]
	v_cmp_ge_i64_e64 s[2:3], s[12:13], v[3:4]
	s_and_b64 s[2:3], vcc, s[2:3]
	s_and_saveexec_b64 s[24:25], s[2:3]
	s_cbranch_execz .LBB71_3
; %bb.12:                               ;   in Loop: Header=BB71_4 Depth=1
	v_mov_b32_e32 v5, s11
	v_subrev_co_u32_e32 v3, vcc, s10, v3
	v_subb_co_u32_e32 v4, vcc, v4, v5, vcc
	v_mul_lo_u32 v6, v4, s8
	v_mul_lo_u32 v7, v3, s9
	v_mad_u64_u32 v[4:5], s[2:3], v3, s8, 0
	v_add3_u32 v5, v5, v7, v6
	v_or_b32_e32 v3, s36, v5
	v_cmp_ne_u64_e32 vcc, 0, v[2:3]
                                        ; implicit-def: $vgpr6_vgpr7
	s_and_saveexec_b64 s[2:3], vcc
	s_xor_b64 s[26:27], exec, s[2:3]
	s_cbranch_execz .LBB71_14
; %bb.13:                               ;   in Loop: Header=BB71_4 Depth=1
	s_ashr_i32 s28, s36, 31
	s_add_u32 s2, s33, s28
	s_mov_b32 s29, s28
	s_addc_u32 s3, s36, s28
	s_xor_b64 s[30:31], s[2:3], s[28:29]
	v_cvt_f32_u32_e32 v3, s30
	v_cvt_f32_u32_e32 v6, s31
	s_sub_u32 s29, 0, s30
	s_subb_u32 s34, 0, s31
	v_ashrrev_i32_e32 v7, 31, v5
	v_mac_f32_e32 v3, 0x4f800000, v6
	v_rcp_f32_e32 v3, v3
	v_mul_f32_e32 v3, 0x5f7ffffc, v3
	v_mul_f32_e32 v6, 0x2f800000, v3
	v_trunc_f32_e32 v6, v6
	v_mac_f32_e32 v3, 0xcf800000, v6
	v_cvt_u32_f32_e32 v6, v6
	v_cvt_u32_f32_e32 v3, v3
	v_readfirstlane_b32 s35, v6
	v_readfirstlane_b32 s2, v3
	s_mul_i32 s3, s29, s35
	s_mul_hi_u32 s40, s29, s2
	s_mul_i32 s39, s34, s2
	s_add_i32 s3, s40, s3
	s_add_i32 s3, s3, s39
	s_mul_i32 s41, s29, s2
	s_mul_i32 s40, s2, s3
	s_mul_hi_u32 s42, s2, s41
	s_mul_hi_u32 s39, s2, s3
	s_add_u32 s40, s42, s40
	s_addc_u32 s39, 0, s39
	s_mul_hi_u32 s43, s35, s41
	s_mul_i32 s41, s35, s41
	s_add_u32 s40, s40, s41
	s_mul_hi_u32 s42, s35, s3
	s_addc_u32 s39, s39, s43
	s_addc_u32 s40, s42, 0
	s_mul_i32 s3, s35, s3
	s_add_u32 s3, s39, s3
	s_addc_u32 s39, 0, s40
	s_add_u32 s40, s2, s3
	s_cselect_b64 s[2:3], -1, 0
	s_cmp_lg_u64 s[2:3], 0
	s_addc_u32 s35, s35, s39
	s_mul_i32 s2, s29, s35
	s_mul_hi_u32 s3, s29, s40
	s_add_i32 s2, s3, s2
	s_mul_i32 s34, s34, s40
	s_add_i32 s2, s2, s34
	s_mul_i32 s29, s29, s40
	s_mul_hi_u32 s34, s35, s29
	s_mul_i32 s39, s35, s29
	s_mul_i32 s42, s40, s2
	s_mul_hi_u32 s29, s40, s29
	s_mul_hi_u32 s41, s40, s2
	s_add_u32 s29, s29, s42
	s_addc_u32 s41, 0, s41
	s_add_u32 s29, s29, s39
	s_mul_hi_u32 s3, s35, s2
	s_addc_u32 s29, s41, s34
	s_addc_u32 s3, s3, 0
	s_mul_i32 s2, s35, s2
	s_add_u32 s2, s29, s2
	s_addc_u32 s29, 0, s3
	s_add_u32 s34, s40, s2
	s_cselect_b64 s[2:3], -1, 0
	s_cmp_lg_u64 s[2:3], 0
	v_add_co_u32_e32 v3, vcc, v4, v7
	s_addc_u32 s29, s35, s29
	v_xor_b32_e32 v8, v3, v7
	v_mad_u64_u32 v[3:4], s[2:3], v8, s29, 0
	v_mul_hi_u32 v6, v8, s34
	v_addc_co_u32_e32 v5, vcc, v5, v7, vcc
	v_xor_b32_e32 v9, v5, v7
	v_add_co_u32_e32 v11, vcc, v6, v3
	v_addc_co_u32_e32 v12, vcc, 0, v4, vcc
	v_mad_u64_u32 v[3:4], s[2:3], v9, s34, 0
	v_mad_u64_u32 v[5:6], s[2:3], v9, s29, 0
	v_add_co_u32_e32 v3, vcc, v11, v3
	v_addc_co_u32_e32 v3, vcc, v12, v4, vcc
	v_addc_co_u32_e32 v4, vcc, 0, v6, vcc
	v_add_co_u32_e32 v5, vcc, v3, v5
	v_addc_co_u32_e32 v3, vcc, 0, v4, vcc
	v_mul_lo_u32 v6, s31, v5
	v_mul_lo_u32 v11, s30, v3
	v_mad_u64_u32 v[3:4], s[2:3], s30, v5, 0
	v_add3_u32 v4, v4, v11, v6
	v_sub_u32_e32 v6, v9, v4
	v_mov_b32_e32 v11, s31
	v_sub_co_u32_e32 v3, vcc, v8, v3
	v_subb_co_u32_e64 v6, s[2:3], v6, v11, vcc
	v_subrev_co_u32_e64 v8, s[2:3], s30, v3
	v_subbrev_co_u32_e64 v6, s[2:3], 0, v6, s[2:3]
	v_cmp_le_u32_e64 s[2:3], s31, v6
	v_subb_co_u32_e32 v4, vcc, v9, v4, vcc
	v_cndmask_b32_e64 v11, 0, -1, s[2:3]
	v_cmp_le_u32_e64 s[2:3], s30, v8
	v_cmp_le_u32_e32 vcc, s31, v4
	v_cndmask_b32_e64 v8, 0, -1, s[2:3]
	v_cmp_eq_u32_e64 s[2:3], s31, v6
	v_cndmask_b32_e64 v9, 0, -1, vcc
	v_cmp_le_u32_e32 vcc, s30, v3
	v_cndmask_b32_e64 v6, v11, v8, s[2:3]
	v_cndmask_b32_e64 v3, 0, -1, vcc
	v_cmp_eq_u32_e32 vcc, s31, v4
	v_add_co_u32_e64 v8, s[2:3], 2, v5
	v_add_co_u32_e64 v11, s[2:3], 1, v5
	v_cndmask_b32_e32 v3, v9, v3, vcc
	v_cmp_ne_u32_e32 vcc, 0, v6
	v_cndmask_b32_e32 v4, v11, v8, vcc
	v_cmp_ne_u32_e32 vcc, 0, v3
	v_cndmask_b32_e32 v3, v5, v4, vcc
	v_xor_b32_e32 v4, s28, v7
	v_xor_b32_e32 v3, v3, v4
	v_sub_co_u32_e32 v6, vcc, v3, v4
                                        ; implicit-def: $vgpr4_vgpr5
.LBB71_14:                              ;   in Loop: Header=BB71_4 Depth=1
	s_andn2_saveexec_b64 s[2:3], s[26:27]
	s_cbranch_execz .LBB71_2
; %bb.15:                               ;   in Loop: Header=BB71_4 Depth=1
	v_cvt_f32_u32_e32 v3, s33
	s_sub_i32 s26, 0, s33
	v_rcp_iflag_f32_e32 v3, v3
	v_mul_f32_e32 v3, 0x4f7ffffe, v3
	v_cvt_u32_f32_e32 v3, v3
	v_mul_lo_u32 v5, s26, v3
	v_mul_hi_u32 v5, v3, v5
	v_add_u32_e32 v3, v3, v5
	v_mul_hi_u32 v3, v4, v3
	v_mul_lo_u32 v5, v3, s33
	v_add_u32_e32 v6, 1, v3
	v_sub_u32_e32 v4, v4, v5
	v_subrev_u32_e32 v5, s33, v4
	v_cmp_le_u32_e32 vcc, s33, v4
	v_cndmask_b32_e32 v4, v4, v5, vcc
	v_cndmask_b32_e32 v3, v3, v6, vcc
	v_add_u32_e32 v5, 1, v3
	v_cmp_le_u32_e32 vcc, s33, v4
	v_cndmask_b32_e32 v6, v3, v5, vcc
	s_branch .LBB71_2
.LBB71_16:
	s_endpgm
	.section	.rodata,"a",@progbits
	.p2align	6, 0x0
	.amdhsa_kernel _ZN2at4cuda17kernelHistogram1DIiilLi1ELi2ELin1ELNS0_23CUDAHistogramMemoryTypeE1EZNS0_21CUDA_tensor_histogramIiiLb0EEEbNS_6TensorES4_S4_lNS_14AccumulateTypeIT0_Lb1EE4typeES8_NS0_13TensorArgTypeES9_S9_EUllE0_EEvNS0_6detail10TensorInfoIT_T1_EESF_NSC_IKS6_SE_EElS8_S8_SE_T6_
		.amdhsa_group_segment_fixed_size 0
		.amdhsa_private_segment_fixed_size 0
		.amdhsa_kernarg_size 1544
		.amdhsa_user_sgpr_count 6
		.amdhsa_user_sgpr_private_segment_buffer 1
		.amdhsa_user_sgpr_dispatch_ptr 0
		.amdhsa_user_sgpr_queue_ptr 0
		.amdhsa_user_sgpr_kernarg_segment_ptr 1
		.amdhsa_user_sgpr_dispatch_id 0
		.amdhsa_user_sgpr_flat_scratch_init 0
		.amdhsa_user_sgpr_private_segment_size 0
		.amdhsa_uses_dynamic_stack 0
		.amdhsa_system_sgpr_private_segment_wavefront_offset 0
		.amdhsa_system_sgpr_workgroup_id_x 1
		.amdhsa_system_sgpr_workgroup_id_y 0
		.amdhsa_system_sgpr_workgroup_id_z 0
		.amdhsa_system_sgpr_workgroup_info 0
		.amdhsa_system_vgpr_workitem_id 0
		.amdhsa_next_free_vgpr 19
		.amdhsa_next_free_sgpr 47
		.amdhsa_reserve_vcc 1
		.amdhsa_reserve_flat_scratch 0
		.amdhsa_float_round_mode_32 0
		.amdhsa_float_round_mode_16_64 0
		.amdhsa_float_denorm_mode_32 3
		.amdhsa_float_denorm_mode_16_64 3
		.amdhsa_dx10_clamp 1
		.amdhsa_ieee_mode 1
		.amdhsa_fp16_overflow 0
		.amdhsa_exception_fp_ieee_invalid_op 0
		.amdhsa_exception_fp_denorm_src 0
		.amdhsa_exception_fp_ieee_div_zero 0
		.amdhsa_exception_fp_ieee_overflow 0
		.amdhsa_exception_fp_ieee_underflow 0
		.amdhsa_exception_fp_ieee_inexact 0
		.amdhsa_exception_int_div_zero 0
	.end_amdhsa_kernel
	.section	.text._ZN2at4cuda17kernelHistogram1DIiilLi1ELi2ELin1ELNS0_23CUDAHistogramMemoryTypeE1EZNS0_21CUDA_tensor_histogramIiiLb0EEEbNS_6TensorES4_S4_lNS_14AccumulateTypeIT0_Lb1EE4typeES8_NS0_13TensorArgTypeES9_S9_EUllE0_EEvNS0_6detail10TensorInfoIT_T1_EESF_NSC_IKS6_SE_EElS8_S8_SE_T6_,"axG",@progbits,_ZN2at4cuda17kernelHistogram1DIiilLi1ELi2ELin1ELNS0_23CUDAHistogramMemoryTypeE1EZNS0_21CUDA_tensor_histogramIiiLb0EEEbNS_6TensorES4_S4_lNS_14AccumulateTypeIT0_Lb1EE4typeES8_NS0_13TensorArgTypeES9_S9_EUllE0_EEvNS0_6detail10TensorInfoIT_T1_EESF_NSC_IKS6_SE_EElS8_S8_SE_T6_,comdat
.Lfunc_end71:
	.size	_ZN2at4cuda17kernelHistogram1DIiilLi1ELi2ELin1ELNS0_23CUDAHistogramMemoryTypeE1EZNS0_21CUDA_tensor_histogramIiiLb0EEEbNS_6TensorES4_S4_lNS_14AccumulateTypeIT0_Lb1EE4typeES8_NS0_13TensorArgTypeES9_S9_EUllE0_EEvNS0_6detail10TensorInfoIT_T1_EESF_NSC_IKS6_SE_EElS8_S8_SE_T6_, .Lfunc_end71-_ZN2at4cuda17kernelHistogram1DIiilLi1ELi2ELin1ELNS0_23CUDAHistogramMemoryTypeE1EZNS0_21CUDA_tensor_histogramIiiLb0EEEbNS_6TensorES4_S4_lNS_14AccumulateTypeIT0_Lb1EE4typeES8_NS0_13TensorArgTypeES9_S9_EUllE0_EEvNS0_6detail10TensorInfoIT_T1_EESF_NSC_IKS6_SE_EElS8_S8_SE_T6_
                                        ; -- End function
	.set _ZN2at4cuda17kernelHistogram1DIiilLi1ELi2ELin1ELNS0_23CUDAHistogramMemoryTypeE1EZNS0_21CUDA_tensor_histogramIiiLb0EEEbNS_6TensorES4_S4_lNS_14AccumulateTypeIT0_Lb1EE4typeES8_NS0_13TensorArgTypeES9_S9_EUllE0_EEvNS0_6detail10TensorInfoIT_T1_EESF_NSC_IKS6_SE_EElS8_S8_SE_T6_.num_vgpr, 19
	.set _ZN2at4cuda17kernelHistogram1DIiilLi1ELi2ELin1ELNS0_23CUDAHistogramMemoryTypeE1EZNS0_21CUDA_tensor_histogramIiiLb0EEEbNS_6TensorES4_S4_lNS_14AccumulateTypeIT0_Lb1EE4typeES8_NS0_13TensorArgTypeES9_S9_EUllE0_EEvNS0_6detail10TensorInfoIT_T1_EESF_NSC_IKS6_SE_EElS8_S8_SE_T6_.num_agpr, 0
	.set _ZN2at4cuda17kernelHistogram1DIiilLi1ELi2ELin1ELNS0_23CUDAHistogramMemoryTypeE1EZNS0_21CUDA_tensor_histogramIiiLb0EEEbNS_6TensorES4_S4_lNS_14AccumulateTypeIT0_Lb1EE4typeES8_NS0_13TensorArgTypeES9_S9_EUllE0_EEvNS0_6detail10TensorInfoIT_T1_EESF_NSC_IKS6_SE_EElS8_S8_SE_T6_.numbered_sgpr, 47
	.set _ZN2at4cuda17kernelHistogram1DIiilLi1ELi2ELin1ELNS0_23CUDAHistogramMemoryTypeE1EZNS0_21CUDA_tensor_histogramIiiLb0EEEbNS_6TensorES4_S4_lNS_14AccumulateTypeIT0_Lb1EE4typeES8_NS0_13TensorArgTypeES9_S9_EUllE0_EEvNS0_6detail10TensorInfoIT_T1_EESF_NSC_IKS6_SE_EElS8_S8_SE_T6_.num_named_barrier, 0
	.set _ZN2at4cuda17kernelHistogram1DIiilLi1ELi2ELin1ELNS0_23CUDAHistogramMemoryTypeE1EZNS0_21CUDA_tensor_histogramIiiLb0EEEbNS_6TensorES4_S4_lNS_14AccumulateTypeIT0_Lb1EE4typeES8_NS0_13TensorArgTypeES9_S9_EUllE0_EEvNS0_6detail10TensorInfoIT_T1_EESF_NSC_IKS6_SE_EElS8_S8_SE_T6_.private_seg_size, 0
	.set _ZN2at4cuda17kernelHistogram1DIiilLi1ELi2ELin1ELNS0_23CUDAHistogramMemoryTypeE1EZNS0_21CUDA_tensor_histogramIiiLb0EEEbNS_6TensorES4_S4_lNS_14AccumulateTypeIT0_Lb1EE4typeES8_NS0_13TensorArgTypeES9_S9_EUllE0_EEvNS0_6detail10TensorInfoIT_T1_EESF_NSC_IKS6_SE_EElS8_S8_SE_T6_.uses_vcc, 1
	.set _ZN2at4cuda17kernelHistogram1DIiilLi1ELi2ELin1ELNS0_23CUDAHistogramMemoryTypeE1EZNS0_21CUDA_tensor_histogramIiiLb0EEEbNS_6TensorES4_S4_lNS_14AccumulateTypeIT0_Lb1EE4typeES8_NS0_13TensorArgTypeES9_S9_EUllE0_EEvNS0_6detail10TensorInfoIT_T1_EESF_NSC_IKS6_SE_EElS8_S8_SE_T6_.uses_flat_scratch, 0
	.set _ZN2at4cuda17kernelHistogram1DIiilLi1ELi2ELin1ELNS0_23CUDAHistogramMemoryTypeE1EZNS0_21CUDA_tensor_histogramIiiLb0EEEbNS_6TensorES4_S4_lNS_14AccumulateTypeIT0_Lb1EE4typeES8_NS0_13TensorArgTypeES9_S9_EUllE0_EEvNS0_6detail10TensorInfoIT_T1_EESF_NSC_IKS6_SE_EElS8_S8_SE_T6_.has_dyn_sized_stack, 0
	.set _ZN2at4cuda17kernelHistogram1DIiilLi1ELi2ELin1ELNS0_23CUDAHistogramMemoryTypeE1EZNS0_21CUDA_tensor_histogramIiiLb0EEEbNS_6TensorES4_S4_lNS_14AccumulateTypeIT0_Lb1EE4typeES8_NS0_13TensorArgTypeES9_S9_EUllE0_EEvNS0_6detail10TensorInfoIT_T1_EESF_NSC_IKS6_SE_EElS8_S8_SE_T6_.has_recursion, 0
	.set _ZN2at4cuda17kernelHistogram1DIiilLi1ELi2ELin1ELNS0_23CUDAHistogramMemoryTypeE1EZNS0_21CUDA_tensor_histogramIiiLb0EEEbNS_6TensorES4_S4_lNS_14AccumulateTypeIT0_Lb1EE4typeES8_NS0_13TensorArgTypeES9_S9_EUllE0_EEvNS0_6detail10TensorInfoIT_T1_EESF_NSC_IKS6_SE_EElS8_S8_SE_T6_.has_indirect_call, 0
	.section	.AMDGPU.csdata,"",@progbits
; Kernel info:
; codeLenInByte = 2076
; TotalNumSgprs: 51
; NumVgprs: 19
; ScratchSize: 0
; MemoryBound: 0
; FloatMode: 240
; IeeeMode: 1
; LDSByteSize: 0 bytes/workgroup (compile time only)
; SGPRBlocks: 6
; VGPRBlocks: 4
; NumSGPRsForWavesPerEU: 51
; NumVGPRsForWavesPerEU: 19
; Occupancy: 10
; WaveLimiterHint : 1
; COMPUTE_PGM_RSRC2:SCRATCH_EN: 0
; COMPUTE_PGM_RSRC2:USER_SGPR: 6
; COMPUTE_PGM_RSRC2:TRAP_HANDLER: 0
; COMPUTE_PGM_RSRC2:TGID_X_EN: 1
; COMPUTE_PGM_RSRC2:TGID_Y_EN: 0
; COMPUTE_PGM_RSRC2:TGID_Z_EN: 0
; COMPUTE_PGM_RSRC2:TIDIG_COMP_CNT: 0
	.section	.text._ZN2at4cuda17kernelHistogram1DIsslLi1ELi2ELin1ELNS0_23CUDAHistogramMemoryTypeE0EZNS0_21CUDA_tensor_histogramIssLb0EEEbNS_6TensorES4_S4_lNS_14AccumulateTypeIT0_Lb1EE4typeES8_NS0_13TensorArgTypeES9_S9_EUllE_EEvNS0_6detail10TensorInfoIT_T1_EESF_NSC_IKS6_SE_EElS8_S8_SE_T6_,"axG",@progbits,_ZN2at4cuda17kernelHistogram1DIsslLi1ELi2ELin1ELNS0_23CUDAHistogramMemoryTypeE0EZNS0_21CUDA_tensor_histogramIssLb0EEEbNS_6TensorES4_S4_lNS_14AccumulateTypeIT0_Lb1EE4typeES8_NS0_13TensorArgTypeES9_S9_EUllE_EEvNS0_6detail10TensorInfoIT_T1_EESF_NSC_IKS6_SE_EElS8_S8_SE_T6_,comdat
	.protected	_ZN2at4cuda17kernelHistogram1DIsslLi1ELi2ELin1ELNS0_23CUDAHistogramMemoryTypeE0EZNS0_21CUDA_tensor_histogramIssLb0EEEbNS_6TensorES4_S4_lNS_14AccumulateTypeIT0_Lb1EE4typeES8_NS0_13TensorArgTypeES9_S9_EUllE_EEvNS0_6detail10TensorInfoIT_T1_EESF_NSC_IKS6_SE_EElS8_S8_SE_T6_ ; -- Begin function _ZN2at4cuda17kernelHistogram1DIsslLi1ELi2ELin1ELNS0_23CUDAHistogramMemoryTypeE0EZNS0_21CUDA_tensor_histogramIssLb0EEEbNS_6TensorES4_S4_lNS_14AccumulateTypeIT0_Lb1EE4typeES8_NS0_13TensorArgTypeES9_S9_EUllE_EEvNS0_6detail10TensorInfoIT_T1_EESF_NSC_IKS6_SE_EElS8_S8_SE_T6_
	.globl	_ZN2at4cuda17kernelHistogram1DIsslLi1ELi2ELin1ELNS0_23CUDAHistogramMemoryTypeE0EZNS0_21CUDA_tensor_histogramIssLb0EEEbNS_6TensorES4_S4_lNS_14AccumulateTypeIT0_Lb1EE4typeES8_NS0_13TensorArgTypeES9_S9_EUllE_EEvNS0_6detail10TensorInfoIT_T1_EESF_NSC_IKS6_SE_EElS8_S8_SE_T6_
	.p2align	8
	.type	_ZN2at4cuda17kernelHistogram1DIsslLi1ELi2ELin1ELNS0_23CUDAHistogramMemoryTypeE0EZNS0_21CUDA_tensor_histogramIssLb0EEEbNS_6TensorES4_S4_lNS_14AccumulateTypeIT0_Lb1EE4typeES8_NS0_13TensorArgTypeES9_S9_EUllE_EEvNS0_6detail10TensorInfoIT_T1_EESF_NSC_IKS6_SE_EElS8_S8_SE_T6_,@function
_ZN2at4cuda17kernelHistogram1DIsslLi1ELi2ELin1ELNS0_23CUDAHistogramMemoryTypeE0EZNS0_21CUDA_tensor_histogramIssLb0EEEbNS_6TensorES4_S4_lNS_14AccumulateTypeIT0_Lb1EE4typeES8_NS0_13TensorArgTypeES9_S9_EUllE_EEvNS0_6detail10TensorInfoIT_T1_EESF_NSC_IKS6_SE_EElS8_S8_SE_T6_: ; @_ZN2at4cuda17kernelHistogram1DIsslLi1ELi2ELin1ELNS0_23CUDAHistogramMemoryTypeE0EZNS0_21CUDA_tensor_histogramIssLb0EEEbNS_6TensorES4_S4_lNS_14AccumulateTypeIT0_Lb1EE4typeES8_NS0_13TensorArgTypeES9_S9_EUllE_EEvNS0_6detail10TensorInfoIT_T1_EESF_NSC_IKS6_SE_EElS8_S8_SE_T6_
; %bb.0:
	s_load_dwordx4 s[16:19], s[4:5], 0x0
	s_load_dwordx2 s[20:21], s[4:5], 0x500
	s_load_dwordx8 s[8:15], s[4:5], 0x4e0
	v_mov_b32_e32 v1, 0
	s_add_u32 s28, s4, 0x6a0
	s_waitcnt lgkmcnt(0)
	v_cmp_gt_i64_e64 s[0:1], s[18:19], v[0:1]
	v_cmp_le_i64_e32 vcc, s[18:19], v[0:1]
	s_addc_u32 s29, s5, 0
                                        ; implicit-def: $sgpr7
	s_and_saveexec_b64 s[2:3], vcc
	s_xor_b64 s[2:3], exec, s[2:3]
; %bb.1:
	s_load_dword s7, s[28:29], 0xc
; %bb.2:
	s_or_saveexec_b64 s[22:23], s[2:3]
	s_waitcnt lgkmcnt(0)
	v_mov_b32_e32 v2, s7
	s_xor_b64 exec, exec, s[22:23]
	s_cbranch_execz .LBB72_12
; %bb.3:
	v_add_u32_e32 v2, 1, v0
	v_mov_b32_e32 v3, 0
	s_load_dword s7, s[28:29], 0xc
	v_cmp_gt_i64_e32 vcc, s[18:19], v[2:3]
	v_mov_b32_e32 v4, s19
	v_cndmask_b32_e32 v5, 0, v4, vcc
	v_mov_b32_e32 v4, s18
	v_cndmask_b32_e32 v2, v2, v4, vcc
	v_sub_co_u32_e32 v4, vcc, v2, v0
	s_waitcnt lgkmcnt(0)
	s_and_b32 s30, s7, 0xffff
	v_subbrev_co_u32_e32 v5, vcc, 0, v5, vcc
	v_cmp_lt_u64_e32 vcc, 1, v[4:5]
	s_cmp_eq_u32 s30, 1
	s_cselect_b64 s[2:3], -1, 0
	v_mov_b32_e32 v7, v1
	s_and_b64 s[2:3], vcc, s[2:3]
	s_mov_b64 s[26:27], -1
	v_mov_b32_e32 v6, v0
	s_and_saveexec_b64 s[24:25], s[2:3]
	s_cbranch_execz .LBB72_7
; %bb.4:
	v_mov_b32_e32 v7, v5
	v_and_b32_e32 v6, -2, v4
	v_mov_b32_e32 v9, v7
	v_lshl_add_u32 v2, v0, 1, 0
	s_mov_b64 s[2:3], 0
	v_mov_b32_e32 v8, v6
.LBB72_5:                               ; =>This Inner Loop Header: Depth=1
	v_add_co_u32_e32 v8, vcc, -2, v8
	v_addc_co_u32_e32 v9, vcc, -1, v9, vcc
	v_cmp_eq_u64_e32 vcc, 0, v[8:9]
	ds_write_b32 v2, v3
	s_or_b64 s[2:3], vcc, s[2:3]
	v_add_u32_e32 v2, 4, v2
	s_andn2_b64 exec, exec, s[2:3]
	s_cbranch_execnz .LBB72_5
; %bb.6:
	s_or_b64 exec, exec, s[2:3]
	v_cmp_ne_u64_e32 vcc, v[4:5], v[6:7]
	v_add_co_u32_e64 v6, s[2:3], v6, v0
	v_addc_co_u32_e64 v7, s[2:3], 0, v7, s[2:3]
	s_orn2_b64 s[26:27], vcc, exec
.LBB72_7:
	s_or_b64 exec, exec, s[24:25]
	v_mov_b32_e32 v2, 1
	s_and_saveexec_b64 s[2:3], s[26:27]
	s_cbranch_execz .LBB72_11
; %bb.8:
	v_lshl_add_u32 v2, v6, 1, 0
	s_lshl_b32 s26, s30, 1
	s_mov_b64 s[24:25], 0
	v_mov_b32_e32 v3, 0
.LBB72_9:                               ; =>This Inner Loop Header: Depth=1
	v_add_co_u32_e32 v6, vcc, s30, v6
	v_addc_co_u32_e32 v7, vcc, 0, v7, vcc
	v_cmp_le_i64_e32 vcc, s[18:19], v[6:7]
	ds_write_b16 v2, v3
	s_or_b64 s[24:25], vcc, s[24:25]
	v_add_u32_e32 v2, s26, v2
	s_andn2_b64 exec, exec, s[24:25]
	s_cbranch_execnz .LBB72_9
; %bb.10:
	s_or_b64 exec, exec, s[24:25]
	v_mov_b32_e32 v2, s7
.LBB72_11:
	s_or_b64 exec, exec, s[2:3]
.LBB72_12:
	s_or_b64 exec, exec, s[22:23]
	v_and_b32_e32 v12, 0xffff, v2
	v_mad_u64_u32 v[2:3], s[2:3], s6, v12, v[0:1]
	s_load_dwordx2 s[22:23], s[4:5], 0xd0
	v_mov_b32_e32 v4, 0
	v_mov_b32_e32 v3, v4
	v_cmp_gt_i64_e32 vcc, s[14:15], v[2:3]
	s_waitcnt lgkmcnt(0)
	s_barrier
	s_and_saveexec_b64 s[24:25], vcc
	s_cbranch_execz .LBB72_33
; %bb.13:
	s_load_dword s6, s[4:5], 0x4d8
	s_add_u32 s7, s4, 0x340
	s_addc_u32 s35, s5, 0
	s_load_dword s34, s[28:29], 0x0
	s_load_dwordx2 s[26:27], s[4:5], 0x410
	s_nop 0
	s_load_dwordx2 s[28:29], s[4:5], 0x5d0
	s_load_dwordx2 s[30:31], s[4:5], 0x340
	s_waitcnt lgkmcnt(0)
	s_cmp_gt_i32 s6, 1
	s_cselect_b64 s[2:3], -1, 0
	s_sub_u32 s33, s12, s10
	s_subb_u32 s46, s13, s11
	s_mov_b32 s5, 0
	s_add_i32 s4, s6, -1
	s_add_i32 s47, s6, 1
	s_lshl_b64 s[4:5], s[4:5], 3
	v_mul_lo_u32 v13, s34, v12
	s_add_u32 s4, s7, s4
	s_addc_u32 s5, s35, s5
	s_add_u32 s34, s4, 8
	v_cndmask_b32_e64 v5, 0, 1, s[2:3]
	s_addc_u32 s35, s5, 0
	s_mov_b64 s[36:37], 0
	s_mov_b32 s48, 0xffff0000
	v_cmp_ne_u32_e64 s[2:3], 1, v5
	s_branch .LBB72_15
.LBB72_14:                              ;   in Loop: Header=BB72_15 Depth=1
	s_or_b64 exec, exec, s[38:39]
	v_add_co_u32_e32 v2, vcc, v2, v13
	v_addc_co_u32_e32 v3, vcc, 0, v3, vcc
	v_cmp_le_i64_e32 vcc, s[14:15], v[2:3]
	s_or_b64 s[36:37], vcc, s[36:37]
	s_andn2_b64 exec, exec, s[36:37]
	s_cbranch_execz .LBB72_33
.LBB72_15:                              ; =>This Loop Header: Depth=1
                                        ;     Child Loop BB72_16 Depth 2
                                        ;     Child Loop BB72_29 Depth 2
	v_mov_b32_e32 v6, 0
	v_mov_b32_e32 v9, v3
	;; [unrolled: 1-line block ×4, first 2 shown]
	s_and_b64 vcc, exec, s[2:3]
	s_mov_b64 s[6:7], s[34:35]
	s_mov_b32 s49, s47
	v_mov_b32_e32 v8, v2
	v_mov_b32_e32 v10, v2
	s_cbranch_vccnz .LBB72_22
.LBB72_16:                              ;   Parent Loop BB72_15 Depth=1
                                        ; =>  This Inner Loop Header: Depth=2
	s_load_dwordx2 s[38:39], s[6:7], 0x0
                                        ; implicit-def: $vgpr10_vgpr11
	s_waitcnt lgkmcnt(0)
	v_or_b32_e32 v5, s39, v9
	v_cmp_ne_u64_e32 vcc, 0, v[4:5]
	s_and_saveexec_b64 s[4:5], vcc
	s_xor_b64 s[40:41], exec, s[4:5]
	s_cbranch_execz .LBB72_18
; %bb.17:                               ;   in Loop: Header=BB72_16 Depth=2
	s_ashr_i32 s42, s39, 31
	s_add_u32 s4, s38, s42
	s_mov_b32 s43, s42
	s_addc_u32 s5, s39, s42
	s_xor_b64 s[44:45], s[4:5], s[42:43]
	v_cvt_f32_u32_e32 v5, s44
	v_cvt_f32_u32_e32 v10, s45
	s_sub_u32 s43, 0, s44
	s_subb_u32 s50, 0, s45
	v_mac_f32_e32 v5, 0x4f800000, v10
	v_rcp_f32_e32 v5, v5
	v_mul_f32_e32 v5, 0x5f7ffffc, v5
	v_mul_f32_e32 v10, 0x2f800000, v5
	v_trunc_f32_e32 v10, v10
	v_mac_f32_e32 v5, 0xcf800000, v10
	v_cvt_u32_f32_e32 v10, v10
	v_cvt_u32_f32_e32 v5, v5
	v_readfirstlane_b32 s51, v10
	v_readfirstlane_b32 s4, v5
	s_mul_i32 s5, s43, s51
	s_mul_hi_u32 s53, s43, s4
	s_mul_i32 s52, s50, s4
	s_add_i32 s5, s53, s5
	s_add_i32 s5, s5, s52
	s_mul_i32 s54, s43, s4
	s_mul_i32 s53, s4, s5
	s_mul_hi_u32 s55, s4, s54
	s_mul_hi_u32 s52, s4, s5
	s_add_u32 s53, s55, s53
	s_addc_u32 s52, 0, s52
	s_mul_hi_u32 s56, s51, s54
	s_mul_i32 s54, s51, s54
	s_add_u32 s53, s53, s54
	s_mul_hi_u32 s55, s51, s5
	s_addc_u32 s52, s52, s56
	s_addc_u32 s53, s55, 0
	s_mul_i32 s5, s51, s5
	s_add_u32 s5, s52, s5
	s_addc_u32 s52, 0, s53
	s_add_u32 s53, s4, s5
	s_cselect_b64 s[4:5], -1, 0
	s_cmp_lg_u64 s[4:5], 0
	s_addc_u32 s51, s51, s52
	s_mul_i32 s4, s43, s51
	s_mul_hi_u32 s5, s43, s53
	s_add_i32 s4, s5, s4
	s_mul_i32 s50, s50, s53
	s_add_i32 s4, s4, s50
	s_mul_i32 s43, s43, s53
	s_mul_hi_u32 s50, s51, s43
	s_mul_i32 s52, s51, s43
	s_mul_i32 s55, s53, s4
	s_mul_hi_u32 s43, s53, s43
	s_mul_hi_u32 s54, s53, s4
	s_add_u32 s43, s43, s55
	s_addc_u32 s54, 0, s54
	s_add_u32 s43, s43, s52
	s_mul_hi_u32 s5, s51, s4
	s_addc_u32 s43, s54, s50
	s_addc_u32 s5, s5, 0
	s_mul_i32 s4, s51, s4
	s_add_u32 s4, s43, s4
	s_addc_u32 s43, 0, s5
	s_add_u32 s50, s53, s4
	s_cselect_b64 s[4:5], -1, 0
	v_ashrrev_i32_e32 v5, 31, v9
	s_cmp_lg_u64 s[4:5], 0
	v_add_co_u32_e32 v10, vcc, v8, v5
	s_addc_u32 s43, s51, s43
	v_xor_b32_e32 v16, v10, v5
	v_mad_u64_u32 v[10:11], s[4:5], v16, s43, 0
	v_mul_hi_u32 v15, v16, s50
	v_addc_co_u32_e32 v14, vcc, v9, v5, vcc
	v_xor_b32_e32 v17, v14, v5
	v_add_co_u32_e32 v18, vcc, v15, v10
	v_addc_co_u32_e32 v19, vcc, 0, v11, vcc
	v_mad_u64_u32 v[10:11], s[4:5], v17, s50, 0
	v_mad_u64_u32 v[14:15], s[4:5], v17, s43, 0
	v_add_co_u32_e32 v10, vcc, v18, v10
	v_addc_co_u32_e32 v10, vcc, v19, v11, vcc
	v_addc_co_u32_e32 v11, vcc, 0, v15, vcc
	v_add_co_u32_e32 v14, vcc, v10, v14
	v_addc_co_u32_e32 v15, vcc, 0, v11, vcc
	v_mul_lo_u32 v18, s45, v14
	v_mul_lo_u32 v19, s44, v15
	v_mad_u64_u32 v[10:11], s[4:5], s44, v14, 0
	v_xor_b32_e32 v5, s42, v5
	v_add3_u32 v11, v11, v19, v18
	v_sub_u32_e32 v18, v17, v11
	v_mov_b32_e32 v19, s45
	v_sub_co_u32_e32 v10, vcc, v16, v10
	v_subb_co_u32_e64 v16, s[4:5], v18, v19, vcc
	v_subrev_co_u32_e64 v18, s[4:5], s44, v10
	v_subbrev_co_u32_e64 v16, s[4:5], 0, v16, s[4:5]
	v_cmp_le_u32_e64 s[4:5], s45, v16
	v_cndmask_b32_e64 v19, 0, -1, s[4:5]
	v_cmp_le_u32_e64 s[4:5], s44, v18
	v_cndmask_b32_e64 v18, 0, -1, s[4:5]
	v_cmp_eq_u32_e64 s[4:5], s45, v16
	v_cndmask_b32_e64 v16, v19, v18, s[4:5]
	v_add_co_u32_e64 v18, s[4:5], 2, v14
	v_subb_co_u32_e32 v11, vcc, v17, v11, vcc
	v_addc_co_u32_e64 v19, s[4:5], 0, v15, s[4:5]
	v_cmp_le_u32_e32 vcc, s45, v11
	v_add_co_u32_e64 v20, s[4:5], 1, v14
	v_cndmask_b32_e64 v17, 0, -1, vcc
	v_cmp_le_u32_e32 vcc, s44, v10
	v_addc_co_u32_e64 v21, s[4:5], 0, v15, s[4:5]
	v_cndmask_b32_e64 v10, 0, -1, vcc
	v_cmp_eq_u32_e32 vcc, s45, v11
	v_cmp_ne_u32_e64 s[4:5], 0, v16
	v_cndmask_b32_e32 v10, v17, v10, vcc
	v_cndmask_b32_e64 v16, v21, v19, s[4:5]
	v_cmp_ne_u32_e32 vcc, 0, v10
	v_cndmask_b32_e64 v11, v20, v18, s[4:5]
	v_cndmask_b32_e32 v10, v15, v16, vcc
	v_cndmask_b32_e32 v11, v14, v11, vcc
	v_xor_b32_e32 v14, v10, v5
	v_xor_b32_e32 v10, v11, v5
	v_sub_co_u32_e32 v10, vcc, v10, v5
	v_subb_co_u32_e32 v11, vcc, v14, v5, vcc
.LBB72_18:                              ;   in Loop: Header=BB72_16 Depth=2
	s_andn2_saveexec_b64 s[4:5], s[40:41]
	s_cbranch_execz .LBB72_20
; %bb.19:                               ;   in Loop: Header=BB72_16 Depth=2
	v_cvt_f32_u32_e32 v5, s38
	s_sub_i32 s40, 0, s38
	v_rcp_iflag_f32_e32 v5, v5
	v_mul_f32_e32 v5, 0x4f7ffffe, v5
	v_cvt_u32_f32_e32 v5, v5
	v_mul_lo_u32 v10, s40, v5
	v_mul_hi_u32 v10, v5, v10
	v_add_u32_e32 v5, v5, v10
	v_mul_hi_u32 v5, v8, v5
	v_mul_lo_u32 v10, v5, s38
	v_add_u32_e32 v11, 1, v5
	v_sub_u32_e32 v10, v8, v10
	v_subrev_u32_e32 v14, s38, v10
	v_cmp_le_u32_e32 vcc, s38, v10
	v_cndmask_b32_e32 v10, v10, v14, vcc
	v_cndmask_b32_e32 v5, v5, v11, vcc
	v_add_u32_e32 v11, 1, v5
	v_cmp_le_u32_e32 vcc, s38, v10
	v_cndmask_b32_e32 v10, v5, v11, vcc
	v_mov_b32_e32 v11, v4
.LBB72_20:                              ;   in Loop: Header=BB72_16 Depth=2
	s_or_b64 exec, exec, s[4:5]
	v_mul_lo_u32 v5, v11, s38
	v_mul_lo_u32 v16, v10, s39
	v_mad_u64_u32 v[14:15], s[4:5], v10, s38, 0
	s_load_dwordx2 s[4:5], s[6:7], 0xc8
	s_add_i32 s49, s49, -1
	v_add3_u32 v5, v15, v16, v5
	v_sub_co_u32_e32 v8, vcc, v8, v14
	v_subb_co_u32_e32 v5, vcc, v9, v5, vcc
	s_waitcnt lgkmcnt(0)
	v_mul_lo_u32 v5, s4, v5
	v_mul_lo_u32 v9, s5, v8
	v_mad_u64_u32 v[6:7], s[4:5], s4, v8, v[6:7]
	s_add_u32 s6, s6, -8
	s_addc_u32 s7, s7, -1
	s_cmp_gt_u32 s49, 2
	v_add3_u32 v7, v9, v7, v5
	s_cbranch_scc0 .LBB72_22
; %bb.21:                               ;   in Loop: Header=BB72_16 Depth=2
	v_mov_b32_e32 v8, v10
	v_mov_b32_e32 v9, v11
	s_branch .LBB72_16
.LBB72_22:                              ;   in Loop: Header=BB72_15 Depth=1
	v_mul_lo_u32 v5, s27, v10
	v_mul_lo_u32 v11, s26, v11
	v_mad_u64_u32 v[8:9], s[4:5], s26, v10, 0
	v_add3_u32 v9, v9, v11, v5
	v_lshlrev_b64 v[8:9], 1, v[8:9]
	v_mov_b32_e32 v5, s31
	v_add_co_u32_e32 v8, vcc, s30, v8
	v_addc_co_u32_e32 v9, vcc, v5, v9, vcc
	v_lshlrev_b64 v[5:6], 1, v[6:7]
	v_add_co_u32_e32 v5, vcc, v8, v5
	v_addc_co_u32_e32 v6, vcc, v9, v6, vcc
	global_load_ushort v5, v[5:6], off
	s_waitcnt vmcnt(0)
	v_bfe_i32 v5, v5, 0, 16
	v_ashrrev_i32_e32 v6, 31, v5
	v_cmp_le_i64_e32 vcc, s[10:11], v[5:6]
	v_cmp_ge_i64_e64 s[4:5], s[12:13], v[5:6]
	s_and_b64 s[4:5], vcc, s[4:5]
	s_and_saveexec_b64 s[38:39], s[4:5]
	s_cbranch_execz .LBB72_14
; %bb.23:                               ;   in Loop: Header=BB72_15 Depth=1
	v_mov_b32_e32 v7, s11
	v_subrev_co_u32_e32 v5, vcc, s10, v5
	v_subb_co_u32_e32 v6, vcc, v6, v7, vcc
	v_mul_lo_u32 v8, v6, s8
	v_mul_lo_u32 v9, v5, s9
	v_mad_u64_u32 v[6:7], s[4:5], v5, s8, 0
	v_add3_u32 v7, v7, v9, v8
	v_or_b32_e32 v5, s46, v7
	v_cmp_ne_u64_e32 vcc, 0, v[4:5]
                                        ; implicit-def: $vgpr8_vgpr9
	s_and_saveexec_b64 s[4:5], vcc
	s_xor_b64 s[6:7], exec, s[4:5]
	s_cbranch_execz .LBB72_25
; %bb.24:                               ;   in Loop: Header=BB72_15 Depth=1
	s_ashr_i32 s40, s46, 31
	s_add_u32 s4, s33, s40
	s_mov_b32 s41, s40
	s_addc_u32 s5, s46, s40
	s_xor_b64 s[42:43], s[4:5], s[40:41]
	v_cvt_f32_u32_e32 v5, s42
	v_cvt_f32_u32_e32 v8, s43
	s_sub_u32 s41, 0, s42
	s_subb_u32 s44, 0, s43
	v_ashrrev_i32_e32 v9, 31, v7
	v_mac_f32_e32 v5, 0x4f800000, v8
	v_rcp_f32_e32 v5, v5
	v_mul_f32_e32 v5, 0x5f7ffffc, v5
	v_mul_f32_e32 v8, 0x2f800000, v5
	v_trunc_f32_e32 v8, v8
	v_mac_f32_e32 v5, 0xcf800000, v8
	v_cvt_u32_f32_e32 v8, v8
	v_cvt_u32_f32_e32 v5, v5
	v_readfirstlane_b32 s45, v8
	v_readfirstlane_b32 s4, v5
	s_mul_i32 s5, s41, s45
	s_mul_hi_u32 s50, s41, s4
	s_mul_i32 s49, s44, s4
	s_add_i32 s5, s50, s5
	s_add_i32 s5, s5, s49
	s_mul_i32 s51, s41, s4
	s_mul_i32 s50, s4, s5
	s_mul_hi_u32 s52, s4, s51
	s_mul_hi_u32 s49, s4, s5
	s_add_u32 s50, s52, s50
	s_addc_u32 s49, 0, s49
	s_mul_hi_u32 s53, s45, s51
	s_mul_i32 s51, s45, s51
	s_add_u32 s50, s50, s51
	s_mul_hi_u32 s52, s45, s5
	s_addc_u32 s49, s49, s53
	s_addc_u32 s50, s52, 0
	s_mul_i32 s5, s45, s5
	s_add_u32 s5, s49, s5
	s_addc_u32 s49, 0, s50
	s_add_u32 s50, s4, s5
	s_cselect_b64 s[4:5], -1, 0
	s_cmp_lg_u64 s[4:5], 0
	s_addc_u32 s45, s45, s49
	s_mul_i32 s4, s41, s45
	s_mul_hi_u32 s5, s41, s50
	s_add_i32 s4, s5, s4
	s_mul_i32 s44, s44, s50
	s_add_i32 s4, s4, s44
	s_mul_i32 s41, s41, s50
	s_mul_hi_u32 s44, s45, s41
	s_mul_i32 s49, s45, s41
	s_mul_i32 s52, s50, s4
	s_mul_hi_u32 s41, s50, s41
	s_mul_hi_u32 s51, s50, s4
	s_add_u32 s41, s41, s52
	s_addc_u32 s51, 0, s51
	s_add_u32 s41, s41, s49
	s_mul_hi_u32 s5, s45, s4
	s_addc_u32 s41, s51, s44
	s_addc_u32 s5, s5, 0
	s_mul_i32 s4, s45, s4
	s_add_u32 s4, s41, s4
	s_addc_u32 s41, 0, s5
	s_add_u32 s44, s50, s4
	s_cselect_b64 s[4:5], -1, 0
	s_cmp_lg_u64 s[4:5], 0
	v_add_co_u32_e32 v5, vcc, v6, v9
	s_addc_u32 s41, s45, s41
	v_xor_b32_e32 v10, v5, v9
	v_mad_u64_u32 v[5:6], s[4:5], v10, s41, 0
	v_mul_hi_u32 v8, v10, s44
	v_addc_co_u32_e32 v7, vcc, v7, v9, vcc
	v_xor_b32_e32 v11, v7, v9
	v_add_co_u32_e32 v14, vcc, v8, v5
	v_addc_co_u32_e32 v15, vcc, 0, v6, vcc
	v_mad_u64_u32 v[5:6], s[4:5], v11, s44, 0
	v_mad_u64_u32 v[7:8], s[4:5], v11, s41, 0
	v_add_co_u32_e32 v5, vcc, v14, v5
	v_addc_co_u32_e32 v5, vcc, v15, v6, vcc
	v_addc_co_u32_e32 v6, vcc, 0, v8, vcc
	v_add_co_u32_e32 v7, vcc, v5, v7
	v_addc_co_u32_e32 v5, vcc, 0, v6, vcc
	v_mul_lo_u32 v8, s43, v7
	v_mul_lo_u32 v14, s42, v5
	v_mad_u64_u32 v[5:6], s[4:5], s42, v7, 0
	v_add3_u32 v6, v6, v14, v8
	v_sub_u32_e32 v8, v11, v6
	v_mov_b32_e32 v14, s43
	v_sub_co_u32_e32 v5, vcc, v10, v5
	v_subb_co_u32_e64 v8, s[4:5], v8, v14, vcc
	v_subrev_co_u32_e64 v10, s[4:5], s42, v5
	v_subbrev_co_u32_e64 v8, s[4:5], 0, v8, s[4:5]
	v_cmp_le_u32_e64 s[4:5], s43, v8
	v_subb_co_u32_e32 v6, vcc, v11, v6, vcc
	v_cndmask_b32_e64 v14, 0, -1, s[4:5]
	v_cmp_le_u32_e64 s[4:5], s42, v10
	v_cmp_le_u32_e32 vcc, s43, v6
	v_cndmask_b32_e64 v10, 0, -1, s[4:5]
	v_cmp_eq_u32_e64 s[4:5], s43, v8
	v_cndmask_b32_e64 v11, 0, -1, vcc
	v_cmp_le_u32_e32 vcc, s42, v5
	v_cndmask_b32_e64 v8, v14, v10, s[4:5]
	v_cndmask_b32_e64 v5, 0, -1, vcc
	v_cmp_eq_u32_e32 vcc, s43, v6
	v_add_co_u32_e64 v10, s[4:5], 2, v7
	v_add_co_u32_e64 v14, s[4:5], 1, v7
	v_cndmask_b32_e32 v5, v11, v5, vcc
	v_cmp_ne_u32_e32 vcc, 0, v8
	v_cndmask_b32_e32 v6, v14, v10, vcc
	v_cmp_ne_u32_e32 vcc, 0, v5
	v_cndmask_b32_e32 v5, v7, v6, vcc
	v_xor_b32_e32 v6, s40, v9
	v_xor_b32_e32 v5, v5, v6
	v_sub_co_u32_e32 v8, vcc, v5, v6
                                        ; implicit-def: $vgpr6_vgpr7
.LBB72_25:                              ;   in Loop: Header=BB72_15 Depth=1
	s_andn2_saveexec_b64 s[4:5], s[6:7]
	s_cbranch_execz .LBB72_27
; %bb.26:                               ;   in Loop: Header=BB72_15 Depth=1
	v_cvt_f32_u32_e32 v5, s33
	s_sub_i32 s6, 0, s33
	v_rcp_iflag_f32_e32 v5, v5
	v_mul_f32_e32 v5, 0x4f7ffffe, v5
	v_cvt_u32_f32_e32 v5, v5
	v_mul_lo_u32 v7, s6, v5
	v_mul_hi_u32 v7, v5, v7
	v_add_u32_e32 v5, v5, v7
	v_mul_hi_u32 v5, v6, v5
	v_mul_lo_u32 v7, v5, s33
	v_add_u32_e32 v8, 1, v5
	v_sub_u32_e32 v6, v6, v7
	v_subrev_u32_e32 v7, s33, v6
	v_cmp_le_u32_e32 vcc, s33, v6
	v_cndmask_b32_e32 v6, v6, v7, vcc
	v_cndmask_b32_e32 v5, v5, v8, vcc
	v_add_u32_e32 v7, 1, v5
	v_cmp_le_u32_e32 vcc, s33, v6
	v_cndmask_b32_e32 v8, v5, v7, vcc
.LBB72_27:                              ;   in Loop: Header=BB72_15 Depth=1
	s_or_b64 exec, exec, s[4:5]
	v_mul_lo_u32 v7, v3, s28
	v_mul_lo_u32 v9, v2, s29
	v_mad_u64_u32 v[5:6], s[4:5], v2, s28, 0
	s_mov_b64 s[40:41], 0
	v_add3_u32 v6, v6, v9, v7
	v_lshlrev_b64 v[5:6], 1, v[5:6]
	v_mov_b32_e32 v7, s21
	v_add_co_u32_e32 v5, vcc, s20, v5
	v_addc_co_u32_e32 v6, vcc, v7, v6, vcc
	global_load_ushort v5, v[5:6], off
	v_ashrrev_i32_e32 v9, 31, v8
	v_cmp_eq_u64_e32 vcc, s[8:9], v[8:9]
	v_subbrev_co_u32_e32 v6, vcc, 0, v8, vcc
	v_lshl_add_u32 v9, v6, 1, 0
	v_and_b32_e32 v6, -3, v9
	ds_read_b32 v6, v6
	v_and_b32_e32 v7, 2, v9
	v_mov_b32_e32 v8, v4
	v_sub_u32_e32 v10, 0, v7
	v_cmp_eq_u64_e32 vcc, 0, v[7:8]
	v_cmp_ne_u32_e64 s[4:5], 0, v7
	v_add_u32_e32 v7, v9, v10
	s_branch .LBB72_29
.LBB72_28:                              ;   in Loop: Header=BB72_29 Depth=2
	s_or_b64 exec, exec, s[6:7]
	ds_cmpst_rtn_b32 v8, v7, v6, v8
	s_waitcnt lgkmcnt(0)
	v_cmp_eq_u32_e64 s[6:7], v6, v8
	s_or_b64 s[40:41], s[6:7], s[40:41]
	v_mov_b32_e32 v6, v8
	s_andn2_b64 exec, exec, s[40:41]
	s_cbranch_execz .LBB72_14
.LBB72_29:                              ;   Parent Loop BB72_15 Depth=1
                                        ; =>  This Inner Loop Header: Depth=2
	s_waitcnt lgkmcnt(0)
	v_cndmask_b32_sdwa v8, v6, v6, vcc dst_sel:DWORD dst_unused:UNUSED_PAD src0_sel:WORD_1 src1_sel:DWORD
	s_waitcnt vmcnt(0)
	v_add_u16_e32 v9, v5, v8
                                        ; implicit-def: $vgpr8
	s_and_saveexec_b64 s[6:7], s[4:5]
	s_xor_b64 s[6:7], exec, s[6:7]
; %bb.30:                               ;   in Loop: Header=BB72_29 Depth=2
	v_and_b32_e32 v8, 0xffff, v6
	v_lshl_or_b32 v8, v9, 16, v8
                                        ; implicit-def: $vgpr9
; %bb.31:                               ;   in Loop: Header=BB72_29 Depth=2
	s_andn2_saveexec_b64 s[6:7], s[6:7]
	s_cbranch_execz .LBB72_28
; %bb.32:                               ;   in Loop: Header=BB72_29 Depth=2
	v_and_or_b32 v8, v6, s48, v9
	s_branch .LBB72_28
.LBB72_33:
	s_or_b64 exec, exec, s[24:25]
; %bb.34:
	s_barrier
	s_and_saveexec_b64 s[2:3], s[0:1]
	s_cbranch_execz .LBB72_43
; %bb.35:
	v_mov_b32_e32 v3, 0
	s_mov_b64 s[4:5], 0
	v_mov_b32_e32 v8, s17
	s_mov_b32 s8, 0xffff0000
	s_branch .LBB72_37
.LBB72_36:                              ;   in Loop: Header=BB72_37 Depth=1
	s_or_b64 exec, exec, s[6:7]
	v_add_co_u32_e32 v0, vcc, v0, v12
	v_addc_co_u32_e32 v1, vcc, 0, v1, vcc
	v_cmp_le_i64_e32 vcc, s[18:19], v[0:1]
	s_or_b64 s[4:5], vcc, s[4:5]
	s_andn2_b64 exec, exec, s[4:5]
	s_cbranch_execz .LBB72_43
.LBB72_37:                              ; =>This Loop Header: Depth=1
                                        ;     Child Loop BB72_39 Depth 2
	v_mul_lo_u32 v2, v1, s22
	v_mul_lo_u32 v6, v0, s23
	v_mad_u64_u32 v[4:5], s[0:1], v0, s22, 0
	s_mov_b64 s[6:7], 0
	v_add3_u32 v5, v5, v6, v2
	v_lshlrev_b64 v[4:5], 1, v[4:5]
	v_add_co_u32_e32 v4, vcc, s16, v4
	v_addc_co_u32_e32 v5, vcc, v8, v5, vcc
	v_and_b32_e32 v2, 2, v4
	v_sub_co_u32_e32 v6, vcc, 0, v2
	v_subb_co_u32_e64 v7, s[0:1], 0, 0, vcc
	v_add_co_u32_e32 v4, vcc, v4, v6
	v_addc_co_u32_e32 v5, vcc, v5, v7, vcc
	global_load_dword v7, v[4:5], off
	v_lshl_add_u32 v6, v0, 1, 0
	ds_read_u16 v9, v6
	v_cmp_eq_u64_e32 vcc, 0, v[2:3]
	v_cmp_ne_u32_e64 s[0:1], 0, v2
	s_branch .LBB72_39
.LBB72_38:                              ;   in Loop: Header=BB72_39 Depth=2
	s_or_b64 exec, exec, s[2:3]
	global_atomic_cmpswap v2, v[4:5], v[6:7], off glc
	s_waitcnt vmcnt(0)
	v_cmp_eq_u32_e64 s[2:3], v7, v2
	s_or_b64 s[6:7], s[2:3], s[6:7]
	v_mov_b32_e32 v7, v2
	s_andn2_b64 exec, exec, s[6:7]
	s_cbranch_execz .LBB72_36
.LBB72_39:                              ;   Parent Loop BB72_37 Depth=1
                                        ; =>  This Inner Loop Header: Depth=2
	s_waitcnt vmcnt(0)
	v_cndmask_b32_sdwa v2, v7, v7, vcc dst_sel:DWORD dst_unused:UNUSED_PAD src0_sel:WORD_1 src1_sel:DWORD
	s_waitcnt lgkmcnt(0)
	v_add_u16_e32 v2, v9, v2
	s_and_saveexec_b64 s[2:3], s[0:1]
	s_xor_b64 s[2:3], exec, s[2:3]
; %bb.40:                               ;   in Loop: Header=BB72_39 Depth=2
	v_and_b32_e32 v6, 0xffff, v7
	v_lshl_or_b32 v6, v2, 16, v6
                                        ; implicit-def: $vgpr2
; %bb.41:                               ;   in Loop: Header=BB72_39 Depth=2
	s_andn2_saveexec_b64 s[2:3], s[2:3]
	s_cbranch_execz .LBB72_38
; %bb.42:                               ;   in Loop: Header=BB72_39 Depth=2
	v_and_or_b32 v6, v7, s8, v2
	s_branch .LBB72_38
.LBB72_43:
	s_endpgm
	.section	.rodata,"a",@progbits
	.p2align	6, 0x0
	.amdhsa_kernel _ZN2at4cuda17kernelHistogram1DIsslLi1ELi2ELin1ELNS0_23CUDAHistogramMemoryTypeE0EZNS0_21CUDA_tensor_histogramIssLb0EEEbNS_6TensorES4_S4_lNS_14AccumulateTypeIT0_Lb1EE4typeES8_NS0_13TensorArgTypeES9_S9_EUllE_EEvNS0_6detail10TensorInfoIT_T1_EESF_NSC_IKS6_SE_EElS8_S8_SE_T6_
		.amdhsa_group_segment_fixed_size 0
		.amdhsa_private_segment_fixed_size 0
		.amdhsa_kernarg_size 1952
		.amdhsa_user_sgpr_count 6
		.amdhsa_user_sgpr_private_segment_buffer 1
		.amdhsa_user_sgpr_dispatch_ptr 0
		.amdhsa_user_sgpr_queue_ptr 0
		.amdhsa_user_sgpr_kernarg_segment_ptr 1
		.amdhsa_user_sgpr_dispatch_id 0
		.amdhsa_user_sgpr_flat_scratch_init 0
		.amdhsa_user_sgpr_private_segment_size 0
		.amdhsa_uses_dynamic_stack 0
		.amdhsa_system_sgpr_private_segment_wavefront_offset 0
		.amdhsa_system_sgpr_workgroup_id_x 1
		.amdhsa_system_sgpr_workgroup_id_y 0
		.amdhsa_system_sgpr_workgroup_id_z 0
		.amdhsa_system_sgpr_workgroup_info 0
		.amdhsa_system_vgpr_workitem_id 0
		.amdhsa_next_free_vgpr 22
		.amdhsa_next_free_sgpr 57
		.amdhsa_reserve_vcc 1
		.amdhsa_reserve_flat_scratch 0
		.amdhsa_float_round_mode_32 0
		.amdhsa_float_round_mode_16_64 0
		.amdhsa_float_denorm_mode_32 3
		.amdhsa_float_denorm_mode_16_64 3
		.amdhsa_dx10_clamp 1
		.amdhsa_ieee_mode 1
		.amdhsa_fp16_overflow 0
		.amdhsa_exception_fp_ieee_invalid_op 0
		.amdhsa_exception_fp_denorm_src 0
		.amdhsa_exception_fp_ieee_div_zero 0
		.amdhsa_exception_fp_ieee_overflow 0
		.amdhsa_exception_fp_ieee_underflow 0
		.amdhsa_exception_fp_ieee_inexact 0
		.amdhsa_exception_int_div_zero 0
	.end_amdhsa_kernel
	.section	.text._ZN2at4cuda17kernelHistogram1DIsslLi1ELi2ELin1ELNS0_23CUDAHistogramMemoryTypeE0EZNS0_21CUDA_tensor_histogramIssLb0EEEbNS_6TensorES4_S4_lNS_14AccumulateTypeIT0_Lb1EE4typeES8_NS0_13TensorArgTypeES9_S9_EUllE_EEvNS0_6detail10TensorInfoIT_T1_EESF_NSC_IKS6_SE_EElS8_S8_SE_T6_,"axG",@progbits,_ZN2at4cuda17kernelHistogram1DIsslLi1ELi2ELin1ELNS0_23CUDAHistogramMemoryTypeE0EZNS0_21CUDA_tensor_histogramIssLb0EEEbNS_6TensorES4_S4_lNS_14AccumulateTypeIT0_Lb1EE4typeES8_NS0_13TensorArgTypeES9_S9_EUllE_EEvNS0_6detail10TensorInfoIT_T1_EESF_NSC_IKS6_SE_EElS8_S8_SE_T6_,comdat
.Lfunc_end72:
	.size	_ZN2at4cuda17kernelHistogram1DIsslLi1ELi2ELin1ELNS0_23CUDAHistogramMemoryTypeE0EZNS0_21CUDA_tensor_histogramIssLb0EEEbNS_6TensorES4_S4_lNS_14AccumulateTypeIT0_Lb1EE4typeES8_NS0_13TensorArgTypeES9_S9_EUllE_EEvNS0_6detail10TensorInfoIT_T1_EESF_NSC_IKS6_SE_EElS8_S8_SE_T6_, .Lfunc_end72-_ZN2at4cuda17kernelHistogram1DIsslLi1ELi2ELin1ELNS0_23CUDAHistogramMemoryTypeE0EZNS0_21CUDA_tensor_histogramIssLb0EEEbNS_6TensorES4_S4_lNS_14AccumulateTypeIT0_Lb1EE4typeES8_NS0_13TensorArgTypeES9_S9_EUllE_EEvNS0_6detail10TensorInfoIT_T1_EESF_NSC_IKS6_SE_EElS8_S8_SE_T6_
                                        ; -- End function
	.set _ZN2at4cuda17kernelHistogram1DIsslLi1ELi2ELin1ELNS0_23CUDAHistogramMemoryTypeE0EZNS0_21CUDA_tensor_histogramIssLb0EEEbNS_6TensorES4_S4_lNS_14AccumulateTypeIT0_Lb1EE4typeES8_NS0_13TensorArgTypeES9_S9_EUllE_EEvNS0_6detail10TensorInfoIT_T1_EESF_NSC_IKS6_SE_EElS8_S8_SE_T6_.num_vgpr, 22
	.set _ZN2at4cuda17kernelHistogram1DIsslLi1ELi2ELin1ELNS0_23CUDAHistogramMemoryTypeE0EZNS0_21CUDA_tensor_histogramIssLb0EEEbNS_6TensorES4_S4_lNS_14AccumulateTypeIT0_Lb1EE4typeES8_NS0_13TensorArgTypeES9_S9_EUllE_EEvNS0_6detail10TensorInfoIT_T1_EESF_NSC_IKS6_SE_EElS8_S8_SE_T6_.num_agpr, 0
	.set _ZN2at4cuda17kernelHistogram1DIsslLi1ELi2ELin1ELNS0_23CUDAHistogramMemoryTypeE0EZNS0_21CUDA_tensor_histogramIssLb0EEEbNS_6TensorES4_S4_lNS_14AccumulateTypeIT0_Lb1EE4typeES8_NS0_13TensorArgTypeES9_S9_EUllE_EEvNS0_6detail10TensorInfoIT_T1_EESF_NSC_IKS6_SE_EElS8_S8_SE_T6_.numbered_sgpr, 57
	.set _ZN2at4cuda17kernelHistogram1DIsslLi1ELi2ELin1ELNS0_23CUDAHistogramMemoryTypeE0EZNS0_21CUDA_tensor_histogramIssLb0EEEbNS_6TensorES4_S4_lNS_14AccumulateTypeIT0_Lb1EE4typeES8_NS0_13TensorArgTypeES9_S9_EUllE_EEvNS0_6detail10TensorInfoIT_T1_EESF_NSC_IKS6_SE_EElS8_S8_SE_T6_.num_named_barrier, 0
	.set _ZN2at4cuda17kernelHistogram1DIsslLi1ELi2ELin1ELNS0_23CUDAHistogramMemoryTypeE0EZNS0_21CUDA_tensor_histogramIssLb0EEEbNS_6TensorES4_S4_lNS_14AccumulateTypeIT0_Lb1EE4typeES8_NS0_13TensorArgTypeES9_S9_EUllE_EEvNS0_6detail10TensorInfoIT_T1_EESF_NSC_IKS6_SE_EElS8_S8_SE_T6_.private_seg_size, 0
	.set _ZN2at4cuda17kernelHistogram1DIsslLi1ELi2ELin1ELNS0_23CUDAHistogramMemoryTypeE0EZNS0_21CUDA_tensor_histogramIssLb0EEEbNS_6TensorES4_S4_lNS_14AccumulateTypeIT0_Lb1EE4typeES8_NS0_13TensorArgTypeES9_S9_EUllE_EEvNS0_6detail10TensorInfoIT_T1_EESF_NSC_IKS6_SE_EElS8_S8_SE_T6_.uses_vcc, 1
	.set _ZN2at4cuda17kernelHistogram1DIsslLi1ELi2ELin1ELNS0_23CUDAHistogramMemoryTypeE0EZNS0_21CUDA_tensor_histogramIssLb0EEEbNS_6TensorES4_S4_lNS_14AccumulateTypeIT0_Lb1EE4typeES8_NS0_13TensorArgTypeES9_S9_EUllE_EEvNS0_6detail10TensorInfoIT_T1_EESF_NSC_IKS6_SE_EElS8_S8_SE_T6_.uses_flat_scratch, 0
	.set _ZN2at4cuda17kernelHistogram1DIsslLi1ELi2ELin1ELNS0_23CUDAHistogramMemoryTypeE0EZNS0_21CUDA_tensor_histogramIssLb0EEEbNS_6TensorES4_S4_lNS_14AccumulateTypeIT0_Lb1EE4typeES8_NS0_13TensorArgTypeES9_S9_EUllE_EEvNS0_6detail10TensorInfoIT_T1_EESF_NSC_IKS6_SE_EElS8_S8_SE_T6_.has_dyn_sized_stack, 0
	.set _ZN2at4cuda17kernelHistogram1DIsslLi1ELi2ELin1ELNS0_23CUDAHistogramMemoryTypeE0EZNS0_21CUDA_tensor_histogramIssLb0EEEbNS_6TensorES4_S4_lNS_14AccumulateTypeIT0_Lb1EE4typeES8_NS0_13TensorArgTypeES9_S9_EUllE_EEvNS0_6detail10TensorInfoIT_T1_EESF_NSC_IKS6_SE_EElS8_S8_SE_T6_.has_recursion, 0
	.set _ZN2at4cuda17kernelHistogram1DIsslLi1ELi2ELin1ELNS0_23CUDAHistogramMemoryTypeE0EZNS0_21CUDA_tensor_histogramIssLb0EEEbNS_6TensorES4_S4_lNS_14AccumulateTypeIT0_Lb1EE4typeES8_NS0_13TensorArgTypeES9_S9_EUllE_EEvNS0_6detail10TensorInfoIT_T1_EESF_NSC_IKS6_SE_EElS8_S8_SE_T6_.has_indirect_call, 0
	.section	.AMDGPU.csdata,"",@progbits
; Kernel info:
; codeLenInByte = 2868
; TotalNumSgprs: 61
; NumVgprs: 22
; ScratchSize: 0
; MemoryBound: 0
; FloatMode: 240
; IeeeMode: 1
; LDSByteSize: 0 bytes/workgroup (compile time only)
; SGPRBlocks: 7
; VGPRBlocks: 5
; NumSGPRsForWavesPerEU: 61
; NumVGPRsForWavesPerEU: 22
; Occupancy: 10
; WaveLimiterHint : 1
; COMPUTE_PGM_RSRC2:SCRATCH_EN: 0
; COMPUTE_PGM_RSRC2:USER_SGPR: 6
; COMPUTE_PGM_RSRC2:TRAP_HANDLER: 0
; COMPUTE_PGM_RSRC2:TGID_X_EN: 1
; COMPUTE_PGM_RSRC2:TGID_Y_EN: 0
; COMPUTE_PGM_RSRC2:TGID_Z_EN: 0
; COMPUTE_PGM_RSRC2:TIDIG_COMP_CNT: 0
	.section	.text._ZN2at4cuda17kernelHistogram1DIsslLi1ELi2ELin1ELNS0_23CUDAHistogramMemoryTypeE1EZNS0_21CUDA_tensor_histogramIssLb0EEEbNS_6TensorES4_S4_lNS_14AccumulateTypeIT0_Lb1EE4typeES8_NS0_13TensorArgTypeES9_S9_EUllE_EEvNS0_6detail10TensorInfoIT_T1_EESF_NSC_IKS6_SE_EElS8_S8_SE_T6_,"axG",@progbits,_ZN2at4cuda17kernelHistogram1DIsslLi1ELi2ELin1ELNS0_23CUDAHistogramMemoryTypeE1EZNS0_21CUDA_tensor_histogramIssLb0EEEbNS_6TensorES4_S4_lNS_14AccumulateTypeIT0_Lb1EE4typeES8_NS0_13TensorArgTypeES9_S9_EUllE_EEvNS0_6detail10TensorInfoIT_T1_EESF_NSC_IKS6_SE_EElS8_S8_SE_T6_,comdat
	.protected	_ZN2at4cuda17kernelHistogram1DIsslLi1ELi2ELin1ELNS0_23CUDAHistogramMemoryTypeE1EZNS0_21CUDA_tensor_histogramIssLb0EEEbNS_6TensorES4_S4_lNS_14AccumulateTypeIT0_Lb1EE4typeES8_NS0_13TensorArgTypeES9_S9_EUllE_EEvNS0_6detail10TensorInfoIT_T1_EESF_NSC_IKS6_SE_EElS8_S8_SE_T6_ ; -- Begin function _ZN2at4cuda17kernelHistogram1DIsslLi1ELi2ELin1ELNS0_23CUDAHistogramMemoryTypeE1EZNS0_21CUDA_tensor_histogramIssLb0EEEbNS_6TensorES4_S4_lNS_14AccumulateTypeIT0_Lb1EE4typeES8_NS0_13TensorArgTypeES9_S9_EUllE_EEvNS0_6detail10TensorInfoIT_T1_EESF_NSC_IKS6_SE_EElS8_S8_SE_T6_
	.globl	_ZN2at4cuda17kernelHistogram1DIsslLi1ELi2ELin1ELNS0_23CUDAHistogramMemoryTypeE1EZNS0_21CUDA_tensor_histogramIssLb0EEEbNS_6TensorES4_S4_lNS_14AccumulateTypeIT0_Lb1EE4typeES8_NS0_13TensorArgTypeES9_S9_EUllE_EEvNS0_6detail10TensorInfoIT_T1_EESF_NSC_IKS6_SE_EElS8_S8_SE_T6_
	.p2align	8
	.type	_ZN2at4cuda17kernelHistogram1DIsslLi1ELi2ELin1ELNS0_23CUDAHistogramMemoryTypeE1EZNS0_21CUDA_tensor_histogramIssLb0EEEbNS_6TensorES4_S4_lNS_14AccumulateTypeIT0_Lb1EE4typeES8_NS0_13TensorArgTypeES9_S9_EUllE_EEvNS0_6detail10TensorInfoIT_T1_EESF_NSC_IKS6_SE_EElS8_S8_SE_T6_,@function
_ZN2at4cuda17kernelHistogram1DIsslLi1ELi2ELin1ELNS0_23CUDAHistogramMemoryTypeE1EZNS0_21CUDA_tensor_histogramIssLb0EEEbNS_6TensorES4_S4_lNS_14AccumulateTypeIT0_Lb1EE4typeES8_NS0_13TensorArgTypeES9_S9_EUllE_EEvNS0_6detail10TensorInfoIT_T1_EESF_NSC_IKS6_SE_EElS8_S8_SE_T6_: ; @_ZN2at4cuda17kernelHistogram1DIsslLi1ELi2ELin1ELNS0_23CUDAHistogramMemoryTypeE1EZNS0_21CUDA_tensor_histogramIssLb0EEEbNS_6TensorES4_S4_lNS_14AccumulateTypeIT0_Lb1EE4typeES8_NS0_13TensorArgTypeES9_S9_EUllE_EEvNS0_6detail10TensorInfoIT_T1_EESF_NSC_IKS6_SE_EElS8_S8_SE_T6_
; %bb.0:
	s_load_dword s2, s[4:5], 0x6ac
	s_load_dwordx8 s[8:15], s[4:5], 0x4e0
	s_add_u32 s0, s4, 0x6a0
	s_addc_u32 s1, s5, 0
	v_mov_b32_e32 v2, 0
	s_waitcnt lgkmcnt(0)
	s_and_b32 s2, s2, 0xffff
	s_mul_i32 s6, s6, s2
	v_add_u32_e32 v0, s6, v0
	v_mov_b32_e32 v1, v2
	v_cmp_gt_i64_e32 vcc, s[14:15], v[0:1]
	s_and_saveexec_b64 s[6:7], vcc
	s_cbranch_execz .LBB73_21
; %bb.1:
	s_load_dwordx2 s[6:7], s[4:5], 0x5d0
	s_load_dword s26, s[4:5], 0x4d8
	s_load_dwordx2 s[16:17], s[4:5], 0x500
	s_load_dword s3, s[0:1], 0x0
	s_add_u32 s27, s4, 0x340
	s_addc_u32 s28, s5, 0
	s_waitcnt lgkmcnt(0)
	s_cmp_gt_i32 s26, 1
	s_cselect_b64 s[0:1], -1, 0
	s_load_dwordx2 s[18:19], s[4:5], 0x0
	s_load_dwordx2 s[20:21], s[4:5], 0xd0
	;; [unrolled: 1-line block ×4, first 2 shown]
	s_sub_u32 s33, s12, s10
	s_subb_u32 s40, s13, s11
	s_mul_i32 s41, s3, s2
	s_mov_b32 s3, 0
	s_add_i32 s2, s26, -1
	s_add_i32 s42, s26, 1
	s_lshl_b64 s[2:3], s[2:3], 3
	s_add_u32 s2, s27, s2
	s_addc_u32 s3, s28, s3
	s_add_u32 s26, s2, 8
	v_cndmask_b32_e64 v3, 0, 1, s[0:1]
	s_addc_u32 s27, s3, 0
	s_mov_b64 s[28:29], 0
	s_mov_b32 s43, 0xffff0000
	v_cmp_ne_u32_e64 s[0:1], 1, v3
	s_branch .LBB73_3
.LBB73_2:                               ;   in Loop: Header=BB73_3 Depth=1
	s_or_b64 exec, exec, s[30:31]
	v_add_co_u32_e32 v0, vcc, s41, v0
	v_addc_co_u32_e32 v1, vcc, 0, v1, vcc
	v_cmp_le_i64_e32 vcc, s[14:15], v[0:1]
	s_or_b64 s[28:29], vcc, s[28:29]
	s_andn2_b64 exec, exec, s[28:29]
	s_cbranch_execz .LBB73_21
.LBB73_3:                               ; =>This Loop Header: Depth=1
                                        ;     Child Loop BB73_4 Depth 2
                                        ;     Child Loop BB73_17 Depth 2
	v_mov_b32_e32 v4, 0
	v_mov_b32_e32 v7, v1
	;; [unrolled: 1-line block ×4, first 2 shown]
	s_and_b64 vcc, exec, s[0:1]
	s_mov_b64 s[4:5], s[26:27]
	s_mov_b32 s44, s42
	v_mov_b32_e32 v6, v0
	v_mov_b32_e32 v8, v0
	s_cbranch_vccnz .LBB73_10
.LBB73_4:                               ;   Parent Loop BB73_3 Depth=1
                                        ; =>  This Inner Loop Header: Depth=2
	s_load_dwordx2 s[30:31], s[4:5], 0x0
                                        ; implicit-def: $vgpr8_vgpr9
	s_waitcnt lgkmcnt(0)
	v_or_b32_e32 v3, s31, v7
	v_cmp_ne_u64_e32 vcc, 0, v[2:3]
	s_and_saveexec_b64 s[2:3], vcc
	s_xor_b64 s[34:35], exec, s[2:3]
	s_cbranch_execz .LBB73_6
; %bb.5:                                ;   in Loop: Header=BB73_4 Depth=2
	s_ashr_i32 s36, s31, 31
	s_add_u32 s2, s30, s36
	s_mov_b32 s37, s36
	s_addc_u32 s3, s31, s36
	s_xor_b64 s[38:39], s[2:3], s[36:37]
	v_cvt_f32_u32_e32 v3, s38
	v_cvt_f32_u32_e32 v8, s39
	s_sub_u32 s37, 0, s38
	s_subb_u32 s45, 0, s39
	v_mac_f32_e32 v3, 0x4f800000, v8
	v_rcp_f32_e32 v3, v3
	v_mul_f32_e32 v3, 0x5f7ffffc, v3
	v_mul_f32_e32 v8, 0x2f800000, v3
	v_trunc_f32_e32 v8, v8
	v_mac_f32_e32 v3, 0xcf800000, v8
	v_cvt_u32_f32_e32 v8, v8
	v_cvt_u32_f32_e32 v3, v3
	v_readfirstlane_b32 s46, v8
	v_readfirstlane_b32 s2, v3
	s_mul_i32 s3, s37, s46
	s_mul_hi_u32 s48, s37, s2
	s_mul_i32 s47, s45, s2
	s_add_i32 s3, s48, s3
	s_add_i32 s3, s3, s47
	s_mul_i32 s49, s37, s2
	s_mul_i32 s48, s2, s3
	s_mul_hi_u32 s50, s2, s49
	s_mul_hi_u32 s47, s2, s3
	s_add_u32 s48, s50, s48
	s_addc_u32 s47, 0, s47
	s_mul_hi_u32 s51, s46, s49
	s_mul_i32 s49, s46, s49
	s_add_u32 s48, s48, s49
	s_mul_hi_u32 s50, s46, s3
	s_addc_u32 s47, s47, s51
	s_addc_u32 s48, s50, 0
	s_mul_i32 s3, s46, s3
	s_add_u32 s3, s47, s3
	s_addc_u32 s47, 0, s48
	s_add_u32 s48, s2, s3
	s_cselect_b64 s[2:3], -1, 0
	s_cmp_lg_u64 s[2:3], 0
	s_addc_u32 s46, s46, s47
	s_mul_i32 s2, s37, s46
	s_mul_hi_u32 s3, s37, s48
	s_add_i32 s2, s3, s2
	s_mul_i32 s45, s45, s48
	s_add_i32 s2, s2, s45
	s_mul_i32 s37, s37, s48
	s_mul_hi_u32 s45, s46, s37
	s_mul_i32 s47, s46, s37
	s_mul_i32 s50, s48, s2
	s_mul_hi_u32 s37, s48, s37
	s_mul_hi_u32 s49, s48, s2
	s_add_u32 s37, s37, s50
	s_addc_u32 s49, 0, s49
	s_add_u32 s37, s37, s47
	s_mul_hi_u32 s3, s46, s2
	s_addc_u32 s37, s49, s45
	s_addc_u32 s3, s3, 0
	s_mul_i32 s2, s46, s2
	s_add_u32 s2, s37, s2
	s_addc_u32 s37, 0, s3
	s_add_u32 s45, s48, s2
	s_cselect_b64 s[2:3], -1, 0
	v_ashrrev_i32_e32 v3, 31, v7
	s_cmp_lg_u64 s[2:3], 0
	v_add_co_u32_e32 v8, vcc, v6, v3
	s_addc_u32 s37, s46, s37
	v_xor_b32_e32 v12, v8, v3
	v_mad_u64_u32 v[8:9], s[2:3], v12, s37, 0
	v_mul_hi_u32 v11, v12, s45
	v_addc_co_u32_e32 v10, vcc, v7, v3, vcc
	v_xor_b32_e32 v13, v10, v3
	v_add_co_u32_e32 v14, vcc, v11, v8
	v_addc_co_u32_e32 v15, vcc, 0, v9, vcc
	v_mad_u64_u32 v[8:9], s[2:3], v13, s45, 0
	v_mad_u64_u32 v[10:11], s[2:3], v13, s37, 0
	v_add_co_u32_e32 v8, vcc, v14, v8
	v_addc_co_u32_e32 v8, vcc, v15, v9, vcc
	v_addc_co_u32_e32 v9, vcc, 0, v11, vcc
	v_add_co_u32_e32 v10, vcc, v8, v10
	v_addc_co_u32_e32 v11, vcc, 0, v9, vcc
	v_mul_lo_u32 v14, s39, v10
	v_mul_lo_u32 v15, s38, v11
	v_mad_u64_u32 v[8:9], s[2:3], s38, v10, 0
	v_xor_b32_e32 v3, s36, v3
	v_add3_u32 v9, v9, v15, v14
	v_sub_u32_e32 v14, v13, v9
	v_mov_b32_e32 v15, s39
	v_sub_co_u32_e32 v8, vcc, v12, v8
	v_subb_co_u32_e64 v12, s[2:3], v14, v15, vcc
	v_subrev_co_u32_e64 v14, s[2:3], s38, v8
	v_subbrev_co_u32_e64 v12, s[2:3], 0, v12, s[2:3]
	v_cmp_le_u32_e64 s[2:3], s39, v12
	v_cndmask_b32_e64 v15, 0, -1, s[2:3]
	v_cmp_le_u32_e64 s[2:3], s38, v14
	v_cndmask_b32_e64 v14, 0, -1, s[2:3]
	v_cmp_eq_u32_e64 s[2:3], s39, v12
	v_cndmask_b32_e64 v12, v15, v14, s[2:3]
	v_add_co_u32_e64 v14, s[2:3], 2, v10
	v_subb_co_u32_e32 v9, vcc, v13, v9, vcc
	v_addc_co_u32_e64 v15, s[2:3], 0, v11, s[2:3]
	v_cmp_le_u32_e32 vcc, s39, v9
	v_add_co_u32_e64 v16, s[2:3], 1, v10
	v_cndmask_b32_e64 v13, 0, -1, vcc
	v_cmp_le_u32_e32 vcc, s38, v8
	v_addc_co_u32_e64 v17, s[2:3], 0, v11, s[2:3]
	v_cndmask_b32_e64 v8, 0, -1, vcc
	v_cmp_eq_u32_e32 vcc, s39, v9
	v_cmp_ne_u32_e64 s[2:3], 0, v12
	v_cndmask_b32_e32 v8, v13, v8, vcc
	v_cndmask_b32_e64 v12, v17, v15, s[2:3]
	v_cmp_ne_u32_e32 vcc, 0, v8
	v_cndmask_b32_e64 v9, v16, v14, s[2:3]
	v_cndmask_b32_e32 v8, v11, v12, vcc
	v_cndmask_b32_e32 v9, v10, v9, vcc
	v_xor_b32_e32 v10, v8, v3
	v_xor_b32_e32 v8, v9, v3
	v_sub_co_u32_e32 v8, vcc, v8, v3
	v_subb_co_u32_e32 v9, vcc, v10, v3, vcc
.LBB73_6:                               ;   in Loop: Header=BB73_4 Depth=2
	s_andn2_saveexec_b64 s[2:3], s[34:35]
	s_cbranch_execz .LBB73_8
; %bb.7:                                ;   in Loop: Header=BB73_4 Depth=2
	v_cvt_f32_u32_e32 v3, s30
	s_sub_i32 s34, 0, s30
	v_rcp_iflag_f32_e32 v3, v3
	v_mul_f32_e32 v3, 0x4f7ffffe, v3
	v_cvt_u32_f32_e32 v3, v3
	v_mul_lo_u32 v8, s34, v3
	v_mul_hi_u32 v8, v3, v8
	v_add_u32_e32 v3, v3, v8
	v_mul_hi_u32 v3, v6, v3
	v_mul_lo_u32 v8, v3, s30
	v_add_u32_e32 v9, 1, v3
	v_sub_u32_e32 v8, v6, v8
	v_subrev_u32_e32 v10, s30, v8
	v_cmp_le_u32_e32 vcc, s30, v8
	v_cndmask_b32_e32 v8, v8, v10, vcc
	v_cndmask_b32_e32 v3, v3, v9, vcc
	v_add_u32_e32 v9, 1, v3
	v_cmp_le_u32_e32 vcc, s30, v8
	v_cndmask_b32_e32 v8, v3, v9, vcc
	v_mov_b32_e32 v9, v2
.LBB73_8:                               ;   in Loop: Header=BB73_4 Depth=2
	s_or_b64 exec, exec, s[2:3]
	v_mul_lo_u32 v3, v9, s30
	v_mul_lo_u32 v12, v8, s31
	v_mad_u64_u32 v[10:11], s[2:3], v8, s30, 0
	s_load_dwordx2 s[2:3], s[4:5], 0xc8
	s_add_i32 s44, s44, -1
	v_add3_u32 v3, v11, v12, v3
	v_sub_co_u32_e32 v6, vcc, v6, v10
	v_subb_co_u32_e32 v3, vcc, v7, v3, vcc
	s_waitcnt lgkmcnt(0)
	v_mul_lo_u32 v3, s2, v3
	v_mul_lo_u32 v7, s3, v6
	v_mad_u64_u32 v[4:5], s[2:3], s2, v6, v[4:5]
	s_add_u32 s4, s4, -8
	s_addc_u32 s5, s5, -1
	s_cmp_gt_u32 s44, 2
	v_add3_u32 v5, v7, v5, v3
	s_cbranch_scc0 .LBB73_10
; %bb.9:                                ;   in Loop: Header=BB73_4 Depth=2
	v_mov_b32_e32 v6, v8
	v_mov_b32_e32 v7, v9
	s_branch .LBB73_4
.LBB73_10:                              ;   in Loop: Header=BB73_3 Depth=1
	s_waitcnt lgkmcnt(0)
	v_mul_lo_u32 v3, s23, v8
	v_mul_lo_u32 v9, s22, v9
	v_mad_u64_u32 v[6:7], s[2:3], s22, v8, 0
	v_add3_u32 v7, v7, v9, v3
	v_lshlrev_b64 v[6:7], 1, v[6:7]
	v_mov_b32_e32 v3, s25
	v_add_co_u32_e32 v6, vcc, s24, v6
	v_addc_co_u32_e32 v7, vcc, v3, v7, vcc
	v_lshlrev_b64 v[3:4], 1, v[4:5]
	v_add_co_u32_e32 v3, vcc, v6, v3
	v_addc_co_u32_e32 v4, vcc, v7, v4, vcc
	global_load_ushort v3, v[3:4], off
	s_waitcnt vmcnt(0)
	v_bfe_i32 v3, v3, 0, 16
	v_ashrrev_i32_e32 v4, 31, v3
	v_cmp_le_i64_e32 vcc, s[10:11], v[3:4]
	v_cmp_ge_i64_e64 s[2:3], s[12:13], v[3:4]
	s_and_b64 s[2:3], vcc, s[2:3]
	s_and_saveexec_b64 s[30:31], s[2:3]
	s_cbranch_execz .LBB73_2
; %bb.11:                               ;   in Loop: Header=BB73_3 Depth=1
	v_mov_b32_e32 v5, s11
	v_subrev_co_u32_e32 v3, vcc, s10, v3
	v_subb_co_u32_e32 v4, vcc, v4, v5, vcc
	v_mul_lo_u32 v6, v4, s8
	v_mul_lo_u32 v7, v3, s9
	v_mad_u64_u32 v[4:5], s[2:3], v3, s8, 0
	v_add3_u32 v5, v5, v7, v6
	v_or_b32_e32 v3, s40, v5
	v_cmp_ne_u64_e32 vcc, 0, v[2:3]
                                        ; implicit-def: $vgpr6_vgpr7
	s_and_saveexec_b64 s[2:3], vcc
	s_xor_b64 s[4:5], exec, s[2:3]
	s_cbranch_execz .LBB73_13
; %bb.12:                               ;   in Loop: Header=BB73_3 Depth=1
	s_ashr_i32 s34, s40, 31
	s_add_u32 s2, s33, s34
	s_mov_b32 s35, s34
	s_addc_u32 s3, s40, s34
	s_xor_b64 s[36:37], s[2:3], s[34:35]
	v_cvt_f32_u32_e32 v3, s36
	v_cvt_f32_u32_e32 v6, s37
	s_sub_u32 s35, 0, s36
	s_subb_u32 s38, 0, s37
	v_ashrrev_i32_e32 v7, 31, v5
	v_mac_f32_e32 v3, 0x4f800000, v6
	v_rcp_f32_e32 v3, v3
	v_mul_f32_e32 v3, 0x5f7ffffc, v3
	v_mul_f32_e32 v6, 0x2f800000, v3
	v_trunc_f32_e32 v6, v6
	v_mac_f32_e32 v3, 0xcf800000, v6
	v_cvt_u32_f32_e32 v6, v6
	v_cvt_u32_f32_e32 v3, v3
	v_readfirstlane_b32 s39, v6
	v_readfirstlane_b32 s2, v3
	s_mul_i32 s3, s35, s39
	s_mul_hi_u32 s45, s35, s2
	s_mul_i32 s44, s38, s2
	s_add_i32 s3, s45, s3
	s_add_i32 s3, s3, s44
	s_mul_i32 s46, s35, s2
	s_mul_i32 s45, s2, s3
	s_mul_hi_u32 s47, s2, s46
	s_mul_hi_u32 s44, s2, s3
	s_add_u32 s45, s47, s45
	s_addc_u32 s44, 0, s44
	s_mul_hi_u32 s48, s39, s46
	s_mul_i32 s46, s39, s46
	s_add_u32 s45, s45, s46
	s_mul_hi_u32 s47, s39, s3
	s_addc_u32 s44, s44, s48
	s_addc_u32 s45, s47, 0
	s_mul_i32 s3, s39, s3
	s_add_u32 s3, s44, s3
	s_addc_u32 s44, 0, s45
	s_add_u32 s45, s2, s3
	s_cselect_b64 s[2:3], -1, 0
	s_cmp_lg_u64 s[2:3], 0
	s_addc_u32 s39, s39, s44
	s_mul_i32 s2, s35, s39
	s_mul_hi_u32 s3, s35, s45
	s_add_i32 s2, s3, s2
	s_mul_i32 s38, s38, s45
	s_add_i32 s2, s2, s38
	s_mul_i32 s35, s35, s45
	s_mul_hi_u32 s38, s39, s35
	s_mul_i32 s44, s39, s35
	s_mul_i32 s47, s45, s2
	s_mul_hi_u32 s35, s45, s35
	s_mul_hi_u32 s46, s45, s2
	s_add_u32 s35, s35, s47
	s_addc_u32 s46, 0, s46
	s_add_u32 s35, s35, s44
	s_mul_hi_u32 s3, s39, s2
	s_addc_u32 s35, s46, s38
	s_addc_u32 s3, s3, 0
	s_mul_i32 s2, s39, s2
	s_add_u32 s2, s35, s2
	s_addc_u32 s35, 0, s3
	s_add_u32 s38, s45, s2
	s_cselect_b64 s[2:3], -1, 0
	s_cmp_lg_u64 s[2:3], 0
	v_add_co_u32_e32 v3, vcc, v4, v7
	s_addc_u32 s35, s39, s35
	v_xor_b32_e32 v8, v3, v7
	v_mad_u64_u32 v[3:4], s[2:3], v8, s35, 0
	v_mul_hi_u32 v6, v8, s38
	v_addc_co_u32_e32 v5, vcc, v5, v7, vcc
	v_xor_b32_e32 v9, v5, v7
	v_add_co_u32_e32 v10, vcc, v6, v3
	v_addc_co_u32_e32 v11, vcc, 0, v4, vcc
	v_mad_u64_u32 v[3:4], s[2:3], v9, s38, 0
	v_mad_u64_u32 v[5:6], s[2:3], v9, s35, 0
	v_add_co_u32_e32 v3, vcc, v10, v3
	v_addc_co_u32_e32 v3, vcc, v11, v4, vcc
	v_addc_co_u32_e32 v4, vcc, 0, v6, vcc
	v_add_co_u32_e32 v5, vcc, v3, v5
	v_addc_co_u32_e32 v3, vcc, 0, v4, vcc
	v_mul_lo_u32 v6, s37, v5
	v_mul_lo_u32 v10, s36, v3
	v_mad_u64_u32 v[3:4], s[2:3], s36, v5, 0
	v_add3_u32 v4, v4, v10, v6
	v_sub_u32_e32 v6, v9, v4
	v_mov_b32_e32 v10, s37
	v_sub_co_u32_e32 v3, vcc, v8, v3
	v_subb_co_u32_e64 v6, s[2:3], v6, v10, vcc
	v_subrev_co_u32_e64 v8, s[2:3], s36, v3
	v_subbrev_co_u32_e64 v6, s[2:3], 0, v6, s[2:3]
	v_cmp_le_u32_e64 s[2:3], s37, v6
	v_subb_co_u32_e32 v4, vcc, v9, v4, vcc
	v_cndmask_b32_e64 v10, 0, -1, s[2:3]
	v_cmp_le_u32_e64 s[2:3], s36, v8
	v_cmp_le_u32_e32 vcc, s37, v4
	v_cndmask_b32_e64 v8, 0, -1, s[2:3]
	v_cmp_eq_u32_e64 s[2:3], s37, v6
	v_cndmask_b32_e64 v9, 0, -1, vcc
	v_cmp_le_u32_e32 vcc, s36, v3
	v_cndmask_b32_e64 v6, v10, v8, s[2:3]
	v_cndmask_b32_e64 v3, 0, -1, vcc
	v_cmp_eq_u32_e32 vcc, s37, v4
	v_add_co_u32_e64 v8, s[2:3], 2, v5
	v_add_co_u32_e64 v10, s[2:3], 1, v5
	v_cndmask_b32_e32 v3, v9, v3, vcc
	v_cmp_ne_u32_e32 vcc, 0, v6
	v_cndmask_b32_e32 v4, v10, v8, vcc
	v_cmp_ne_u32_e32 vcc, 0, v3
	v_cndmask_b32_e32 v3, v5, v4, vcc
	v_xor_b32_e32 v4, s34, v7
	v_xor_b32_e32 v3, v3, v4
	v_sub_co_u32_e32 v6, vcc, v3, v4
                                        ; implicit-def: $vgpr4_vgpr5
.LBB73_13:                              ;   in Loop: Header=BB73_3 Depth=1
	s_andn2_saveexec_b64 s[2:3], s[4:5]
	s_cbranch_execz .LBB73_15
; %bb.14:                               ;   in Loop: Header=BB73_3 Depth=1
	v_cvt_f32_u32_e32 v3, s33
	s_sub_i32 s4, 0, s33
	v_rcp_iflag_f32_e32 v3, v3
	v_mul_f32_e32 v3, 0x4f7ffffe, v3
	v_cvt_u32_f32_e32 v3, v3
	v_mul_lo_u32 v5, s4, v3
	v_mul_hi_u32 v5, v3, v5
	v_add_u32_e32 v3, v3, v5
	v_mul_hi_u32 v3, v4, v3
	v_mul_lo_u32 v5, v3, s33
	v_add_u32_e32 v6, 1, v3
	v_sub_u32_e32 v4, v4, v5
	v_subrev_u32_e32 v5, s33, v4
	v_cmp_le_u32_e32 vcc, s33, v4
	v_cndmask_b32_e32 v4, v4, v5, vcc
	v_cndmask_b32_e32 v3, v3, v6, vcc
	v_add_u32_e32 v5, 1, v3
	v_cmp_le_u32_e32 vcc, s33, v4
	v_cndmask_b32_e32 v6, v3, v5, vcc
.LBB73_15:                              ;   in Loop: Header=BB73_3 Depth=1
	s_or_b64 exec, exec, s[2:3]
	v_ashrrev_i32_e32 v7, 31, v6
	v_cmp_eq_u64_e32 vcc, s[8:9], v[6:7]
	v_mul_lo_u32 v8, v1, s6
	v_cndmask_b32_e64 v3, 0, 1, vcc
	v_sub_co_u32_e32 v3, vcc, v6, v3
	v_subbrev_co_u32_e32 v4, vcc, 0, v7, vcc
	v_mul_lo_u32 v5, v4, s20
	v_mul_lo_u32 v6, v3, s21
	v_mad_u64_u32 v[3:4], s[2:3], v3, s20, 0
	v_mul_lo_u32 v9, v0, s7
	v_mov_b32_e32 v7, s19
	v_add3_u32 v4, v4, v6, v5
	v_mad_u64_u32 v[5:6], s[2:3], v0, s6, 0
	v_lshlrev_b64 v[3:4], 1, v[3:4]
	s_mov_b64 s[34:35], 0
	v_add_co_u32_e32 v10, vcc, s18, v3
	v_add3_u32 v6, v6, v9, v8
	v_addc_co_u32_e32 v11, vcc, v7, v4, vcc
	v_lshlrev_b64 v[3:4], 1, v[5:6]
	v_mov_b32_e32 v5, s17
	v_add_co_u32_e32 v3, vcc, s16, v3
	v_addc_co_u32_e32 v4, vcc, v5, v4, vcc
	v_and_b32_e32 v8, 2, v10
	global_load_ushort v7, v[3:4], off
	v_sub_co_u32_e32 v3, vcc, 0, v8
	v_subb_co_u32_e64 v4, s[2:3], 0, 0, vcc
	v_add_co_u32_e32 v3, vcc, v10, v3
	v_addc_co_u32_e32 v4, vcc, v11, v4, vcc
	global_load_dword v6, v[3:4], off
	v_mov_b32_e32 v9, v2
	v_cmp_eq_u64_e32 vcc, 0, v[8:9]
	v_cmp_ne_u32_e64 s[2:3], 0, v8
	s_branch .LBB73_17
.LBB73_16:                              ;   in Loop: Header=BB73_17 Depth=2
	s_or_b64 exec, exec, s[4:5]
	global_atomic_cmpswap v5, v[3:4], v[5:6], off glc
	s_waitcnt vmcnt(0)
	v_cmp_eq_u32_e64 s[4:5], v6, v5
	s_or_b64 s[34:35], s[4:5], s[34:35]
	v_mov_b32_e32 v6, v5
	s_andn2_b64 exec, exec, s[34:35]
	s_cbranch_execz .LBB73_2
.LBB73_17:                              ;   Parent Loop BB73_3 Depth=1
                                        ; =>  This Inner Loop Header: Depth=2
	s_waitcnt vmcnt(0)
	v_cndmask_b32_sdwa v5, v6, v6, vcc dst_sel:DWORD dst_unused:UNUSED_PAD src0_sel:WORD_1 src1_sel:DWORD
	v_add_u16_e32 v8, v7, v5
	s_and_saveexec_b64 s[4:5], s[2:3]
	s_xor_b64 s[4:5], exec, s[4:5]
; %bb.18:                               ;   in Loop: Header=BB73_17 Depth=2
	v_and_b32_e32 v5, 0xffff, v6
	v_lshl_or_b32 v5, v8, 16, v5
                                        ; implicit-def: $vgpr8
; %bb.19:                               ;   in Loop: Header=BB73_17 Depth=2
	s_andn2_saveexec_b64 s[4:5], s[4:5]
	s_cbranch_execz .LBB73_16
; %bb.20:                               ;   in Loop: Header=BB73_17 Depth=2
	v_and_or_b32 v5, v6, s43, v8
	s_branch .LBB73_16
.LBB73_21:
	s_endpgm
	.section	.rodata,"a",@progbits
	.p2align	6, 0x0
	.amdhsa_kernel _ZN2at4cuda17kernelHistogram1DIsslLi1ELi2ELin1ELNS0_23CUDAHistogramMemoryTypeE1EZNS0_21CUDA_tensor_histogramIssLb0EEEbNS_6TensorES4_S4_lNS_14AccumulateTypeIT0_Lb1EE4typeES8_NS0_13TensorArgTypeES9_S9_EUllE_EEvNS0_6detail10TensorInfoIT_T1_EESF_NSC_IKS6_SE_EElS8_S8_SE_T6_
		.amdhsa_group_segment_fixed_size 0
		.amdhsa_private_segment_fixed_size 0
		.amdhsa_kernarg_size 1952
		.amdhsa_user_sgpr_count 6
		.amdhsa_user_sgpr_private_segment_buffer 1
		.amdhsa_user_sgpr_dispatch_ptr 0
		.amdhsa_user_sgpr_queue_ptr 0
		.amdhsa_user_sgpr_kernarg_segment_ptr 1
		.amdhsa_user_sgpr_dispatch_id 0
		.amdhsa_user_sgpr_flat_scratch_init 0
		.amdhsa_user_sgpr_private_segment_size 0
		.amdhsa_uses_dynamic_stack 0
		.amdhsa_system_sgpr_private_segment_wavefront_offset 0
		.amdhsa_system_sgpr_workgroup_id_x 1
		.amdhsa_system_sgpr_workgroup_id_y 0
		.amdhsa_system_sgpr_workgroup_id_z 0
		.amdhsa_system_sgpr_workgroup_info 0
		.amdhsa_system_vgpr_workitem_id 0
		.amdhsa_next_free_vgpr 18
		.amdhsa_next_free_sgpr 52
		.amdhsa_reserve_vcc 1
		.amdhsa_reserve_flat_scratch 0
		.amdhsa_float_round_mode_32 0
		.amdhsa_float_round_mode_16_64 0
		.amdhsa_float_denorm_mode_32 3
		.amdhsa_float_denorm_mode_16_64 3
		.amdhsa_dx10_clamp 1
		.amdhsa_ieee_mode 1
		.amdhsa_fp16_overflow 0
		.amdhsa_exception_fp_ieee_invalid_op 0
		.amdhsa_exception_fp_denorm_src 0
		.amdhsa_exception_fp_ieee_div_zero 0
		.amdhsa_exception_fp_ieee_overflow 0
		.amdhsa_exception_fp_ieee_underflow 0
		.amdhsa_exception_fp_ieee_inexact 0
		.amdhsa_exception_int_div_zero 0
	.end_amdhsa_kernel
	.section	.text._ZN2at4cuda17kernelHistogram1DIsslLi1ELi2ELin1ELNS0_23CUDAHistogramMemoryTypeE1EZNS0_21CUDA_tensor_histogramIssLb0EEEbNS_6TensorES4_S4_lNS_14AccumulateTypeIT0_Lb1EE4typeES8_NS0_13TensorArgTypeES9_S9_EUllE_EEvNS0_6detail10TensorInfoIT_T1_EESF_NSC_IKS6_SE_EElS8_S8_SE_T6_,"axG",@progbits,_ZN2at4cuda17kernelHistogram1DIsslLi1ELi2ELin1ELNS0_23CUDAHistogramMemoryTypeE1EZNS0_21CUDA_tensor_histogramIssLb0EEEbNS_6TensorES4_S4_lNS_14AccumulateTypeIT0_Lb1EE4typeES8_NS0_13TensorArgTypeES9_S9_EUllE_EEvNS0_6detail10TensorInfoIT_T1_EESF_NSC_IKS6_SE_EElS8_S8_SE_T6_,comdat
.Lfunc_end73:
	.size	_ZN2at4cuda17kernelHistogram1DIsslLi1ELi2ELin1ELNS0_23CUDAHistogramMemoryTypeE1EZNS0_21CUDA_tensor_histogramIssLb0EEEbNS_6TensorES4_S4_lNS_14AccumulateTypeIT0_Lb1EE4typeES8_NS0_13TensorArgTypeES9_S9_EUllE_EEvNS0_6detail10TensorInfoIT_T1_EESF_NSC_IKS6_SE_EElS8_S8_SE_T6_, .Lfunc_end73-_ZN2at4cuda17kernelHistogram1DIsslLi1ELi2ELin1ELNS0_23CUDAHistogramMemoryTypeE1EZNS0_21CUDA_tensor_histogramIssLb0EEEbNS_6TensorES4_S4_lNS_14AccumulateTypeIT0_Lb1EE4typeES8_NS0_13TensorArgTypeES9_S9_EUllE_EEvNS0_6detail10TensorInfoIT_T1_EESF_NSC_IKS6_SE_EElS8_S8_SE_T6_
                                        ; -- End function
	.set _ZN2at4cuda17kernelHistogram1DIsslLi1ELi2ELin1ELNS0_23CUDAHistogramMemoryTypeE1EZNS0_21CUDA_tensor_histogramIssLb0EEEbNS_6TensorES4_S4_lNS_14AccumulateTypeIT0_Lb1EE4typeES8_NS0_13TensorArgTypeES9_S9_EUllE_EEvNS0_6detail10TensorInfoIT_T1_EESF_NSC_IKS6_SE_EElS8_S8_SE_T6_.num_vgpr, 18
	.set _ZN2at4cuda17kernelHistogram1DIsslLi1ELi2ELin1ELNS0_23CUDAHistogramMemoryTypeE1EZNS0_21CUDA_tensor_histogramIssLb0EEEbNS_6TensorES4_S4_lNS_14AccumulateTypeIT0_Lb1EE4typeES8_NS0_13TensorArgTypeES9_S9_EUllE_EEvNS0_6detail10TensorInfoIT_T1_EESF_NSC_IKS6_SE_EElS8_S8_SE_T6_.num_agpr, 0
	.set _ZN2at4cuda17kernelHistogram1DIsslLi1ELi2ELin1ELNS0_23CUDAHistogramMemoryTypeE1EZNS0_21CUDA_tensor_histogramIssLb0EEEbNS_6TensorES4_S4_lNS_14AccumulateTypeIT0_Lb1EE4typeES8_NS0_13TensorArgTypeES9_S9_EUllE_EEvNS0_6detail10TensorInfoIT_T1_EESF_NSC_IKS6_SE_EElS8_S8_SE_T6_.numbered_sgpr, 52
	.set _ZN2at4cuda17kernelHistogram1DIsslLi1ELi2ELin1ELNS0_23CUDAHistogramMemoryTypeE1EZNS0_21CUDA_tensor_histogramIssLb0EEEbNS_6TensorES4_S4_lNS_14AccumulateTypeIT0_Lb1EE4typeES8_NS0_13TensorArgTypeES9_S9_EUllE_EEvNS0_6detail10TensorInfoIT_T1_EESF_NSC_IKS6_SE_EElS8_S8_SE_T6_.num_named_barrier, 0
	.set _ZN2at4cuda17kernelHistogram1DIsslLi1ELi2ELin1ELNS0_23CUDAHistogramMemoryTypeE1EZNS0_21CUDA_tensor_histogramIssLb0EEEbNS_6TensorES4_S4_lNS_14AccumulateTypeIT0_Lb1EE4typeES8_NS0_13TensorArgTypeES9_S9_EUllE_EEvNS0_6detail10TensorInfoIT_T1_EESF_NSC_IKS6_SE_EElS8_S8_SE_T6_.private_seg_size, 0
	.set _ZN2at4cuda17kernelHistogram1DIsslLi1ELi2ELin1ELNS0_23CUDAHistogramMemoryTypeE1EZNS0_21CUDA_tensor_histogramIssLb0EEEbNS_6TensorES4_S4_lNS_14AccumulateTypeIT0_Lb1EE4typeES8_NS0_13TensorArgTypeES9_S9_EUllE_EEvNS0_6detail10TensorInfoIT_T1_EESF_NSC_IKS6_SE_EElS8_S8_SE_T6_.uses_vcc, 1
	.set _ZN2at4cuda17kernelHistogram1DIsslLi1ELi2ELin1ELNS0_23CUDAHistogramMemoryTypeE1EZNS0_21CUDA_tensor_histogramIssLb0EEEbNS_6TensorES4_S4_lNS_14AccumulateTypeIT0_Lb1EE4typeES8_NS0_13TensorArgTypeES9_S9_EUllE_EEvNS0_6detail10TensorInfoIT_T1_EESF_NSC_IKS6_SE_EElS8_S8_SE_T6_.uses_flat_scratch, 0
	.set _ZN2at4cuda17kernelHistogram1DIsslLi1ELi2ELin1ELNS0_23CUDAHistogramMemoryTypeE1EZNS0_21CUDA_tensor_histogramIssLb0EEEbNS_6TensorES4_S4_lNS_14AccumulateTypeIT0_Lb1EE4typeES8_NS0_13TensorArgTypeES9_S9_EUllE_EEvNS0_6detail10TensorInfoIT_T1_EESF_NSC_IKS6_SE_EElS8_S8_SE_T6_.has_dyn_sized_stack, 0
	.set _ZN2at4cuda17kernelHistogram1DIsslLi1ELi2ELin1ELNS0_23CUDAHistogramMemoryTypeE1EZNS0_21CUDA_tensor_histogramIssLb0EEEbNS_6TensorES4_S4_lNS_14AccumulateTypeIT0_Lb1EE4typeES8_NS0_13TensorArgTypeES9_S9_EUllE_EEvNS0_6detail10TensorInfoIT_T1_EESF_NSC_IKS6_SE_EElS8_S8_SE_T6_.has_recursion, 0
	.set _ZN2at4cuda17kernelHistogram1DIsslLi1ELi2ELin1ELNS0_23CUDAHistogramMemoryTypeE1EZNS0_21CUDA_tensor_histogramIssLb0EEEbNS_6TensorES4_S4_lNS_14AccumulateTypeIT0_Lb1EE4typeES8_NS0_13TensorArgTypeES9_S9_EUllE_EEvNS0_6detail10TensorInfoIT_T1_EESF_NSC_IKS6_SE_EElS8_S8_SE_T6_.has_indirect_call, 0
	.section	.AMDGPU.csdata,"",@progbits
; Kernel info:
; codeLenInByte = 2312
; TotalNumSgprs: 56
; NumVgprs: 18
; ScratchSize: 0
; MemoryBound: 0
; FloatMode: 240
; IeeeMode: 1
; LDSByteSize: 0 bytes/workgroup (compile time only)
; SGPRBlocks: 6
; VGPRBlocks: 4
; NumSGPRsForWavesPerEU: 56
; NumVGPRsForWavesPerEU: 18
; Occupancy: 10
; WaveLimiterHint : 1
; COMPUTE_PGM_RSRC2:SCRATCH_EN: 0
; COMPUTE_PGM_RSRC2:USER_SGPR: 6
; COMPUTE_PGM_RSRC2:TRAP_HANDLER: 0
; COMPUTE_PGM_RSRC2:TGID_X_EN: 1
; COMPUTE_PGM_RSRC2:TGID_Y_EN: 0
; COMPUTE_PGM_RSRC2:TGID_Z_EN: 0
; COMPUTE_PGM_RSRC2:TIDIG_COMP_CNT: 0
	.section	.text._ZN2at4cuda17kernelHistogram1DIsslLi1ELi2ELin1ELNS0_23CUDAHistogramMemoryTypeE0EZNS0_21CUDA_tensor_histogramIssLb0EEEbNS_6TensorES4_S4_lNS_14AccumulateTypeIT0_Lb1EE4typeES8_NS0_13TensorArgTypeES9_S9_EUllE0_EEvNS0_6detail10TensorInfoIT_T1_EESF_NSC_IKS6_SE_EElS8_S8_SE_T6_,"axG",@progbits,_ZN2at4cuda17kernelHistogram1DIsslLi1ELi2ELin1ELNS0_23CUDAHistogramMemoryTypeE0EZNS0_21CUDA_tensor_histogramIssLb0EEEbNS_6TensorES4_S4_lNS_14AccumulateTypeIT0_Lb1EE4typeES8_NS0_13TensorArgTypeES9_S9_EUllE0_EEvNS0_6detail10TensorInfoIT_T1_EESF_NSC_IKS6_SE_EElS8_S8_SE_T6_,comdat
	.protected	_ZN2at4cuda17kernelHistogram1DIsslLi1ELi2ELin1ELNS0_23CUDAHistogramMemoryTypeE0EZNS0_21CUDA_tensor_histogramIssLb0EEEbNS_6TensorES4_S4_lNS_14AccumulateTypeIT0_Lb1EE4typeES8_NS0_13TensorArgTypeES9_S9_EUllE0_EEvNS0_6detail10TensorInfoIT_T1_EESF_NSC_IKS6_SE_EElS8_S8_SE_T6_ ; -- Begin function _ZN2at4cuda17kernelHistogram1DIsslLi1ELi2ELin1ELNS0_23CUDAHistogramMemoryTypeE0EZNS0_21CUDA_tensor_histogramIssLb0EEEbNS_6TensorES4_S4_lNS_14AccumulateTypeIT0_Lb1EE4typeES8_NS0_13TensorArgTypeES9_S9_EUllE0_EEvNS0_6detail10TensorInfoIT_T1_EESF_NSC_IKS6_SE_EElS8_S8_SE_T6_
	.globl	_ZN2at4cuda17kernelHistogram1DIsslLi1ELi2ELin1ELNS0_23CUDAHistogramMemoryTypeE0EZNS0_21CUDA_tensor_histogramIssLb0EEEbNS_6TensorES4_S4_lNS_14AccumulateTypeIT0_Lb1EE4typeES8_NS0_13TensorArgTypeES9_S9_EUllE0_EEvNS0_6detail10TensorInfoIT_T1_EESF_NSC_IKS6_SE_EElS8_S8_SE_T6_
	.p2align	8
	.type	_ZN2at4cuda17kernelHistogram1DIsslLi1ELi2ELin1ELNS0_23CUDAHistogramMemoryTypeE0EZNS0_21CUDA_tensor_histogramIssLb0EEEbNS_6TensorES4_S4_lNS_14AccumulateTypeIT0_Lb1EE4typeES8_NS0_13TensorArgTypeES9_S9_EUllE0_EEvNS0_6detail10TensorInfoIT_T1_EESF_NSC_IKS6_SE_EElS8_S8_SE_T6_,@function
_ZN2at4cuda17kernelHistogram1DIsslLi1ELi2ELin1ELNS0_23CUDAHistogramMemoryTypeE0EZNS0_21CUDA_tensor_histogramIssLb0EEEbNS_6TensorES4_S4_lNS_14AccumulateTypeIT0_Lb1EE4typeES8_NS0_13TensorArgTypeES9_S9_EUllE0_EEvNS0_6detail10TensorInfoIT_T1_EESF_NSC_IKS6_SE_EElS8_S8_SE_T6_: ; @_ZN2at4cuda17kernelHistogram1DIsslLi1ELi2ELin1ELNS0_23CUDAHistogramMemoryTypeE0EZNS0_21CUDA_tensor_histogramIssLb0EEEbNS_6TensorES4_S4_lNS_14AccumulateTypeIT0_Lb1EE4typeES8_NS0_13TensorArgTypeES9_S9_EUllE0_EEvNS0_6detail10TensorInfoIT_T1_EESF_NSC_IKS6_SE_EElS8_S8_SE_T6_
; %bb.0:
	s_load_dwordx4 s[16:19], s[4:5], 0x0
	v_mov_b32_e32 v1, 0
	s_add_u32 s26, s4, 0x508
	s_addc_u32 s27, s5, 0
                                        ; implicit-def: $sgpr7
	s_waitcnt lgkmcnt(0)
	v_cmp_gt_i64_e64 s[0:1], s[18:19], v[0:1]
	v_cmp_le_i64_e32 vcc, s[18:19], v[0:1]
	s_and_saveexec_b64 s[2:3], vcc
	s_xor_b64 s[2:3], exec, s[2:3]
; %bb.1:
	s_load_dword s7, s[26:27], 0xc
; %bb.2:
	s_or_saveexec_b64 s[8:9], s[2:3]
	s_waitcnt lgkmcnt(0)
	v_mov_b32_e32 v2, s7
	s_xor_b64 exec, exec, s[8:9]
	s_cbranch_execz .LBB74_12
; %bb.3:
	v_add_u32_e32 v2, 1, v0
	v_mov_b32_e32 v3, 0
	s_load_dword s7, s[26:27], 0xc
	v_cmp_gt_i64_e32 vcc, s[18:19], v[2:3]
	v_mov_b32_e32 v4, s19
	v_cndmask_b32_e32 v5, 0, v4, vcc
	v_mov_b32_e32 v4, s18
	v_cndmask_b32_e32 v2, v2, v4, vcc
	v_sub_co_u32_e32 v4, vcc, v2, v0
	s_waitcnt lgkmcnt(0)
	s_and_b32 s14, s7, 0xffff
	v_subbrev_co_u32_e32 v5, vcc, 0, v5, vcc
	v_cmp_lt_u64_e32 vcc, 1, v[4:5]
	s_cmp_eq_u32 s14, 1
	s_cselect_b64 s[2:3], -1, 0
	v_mov_b32_e32 v7, v1
	s_and_b64 s[2:3], vcc, s[2:3]
	s_mov_b64 s[12:13], -1
	v_mov_b32_e32 v6, v0
	s_and_saveexec_b64 s[10:11], s[2:3]
	s_cbranch_execz .LBB74_7
; %bb.4:
	v_mov_b32_e32 v7, v5
	v_and_b32_e32 v6, -2, v4
	v_mov_b32_e32 v9, v7
	v_lshl_add_u32 v2, v0, 1, 0
	s_mov_b64 s[2:3], 0
	v_mov_b32_e32 v8, v6
.LBB74_5:                               ; =>This Inner Loop Header: Depth=1
	v_add_co_u32_e32 v8, vcc, -2, v8
	v_addc_co_u32_e32 v9, vcc, -1, v9, vcc
	v_cmp_eq_u64_e32 vcc, 0, v[8:9]
	ds_write_b32 v2, v3
	s_or_b64 s[2:3], vcc, s[2:3]
	v_add_u32_e32 v2, 4, v2
	s_andn2_b64 exec, exec, s[2:3]
	s_cbranch_execnz .LBB74_5
; %bb.6:
	s_or_b64 exec, exec, s[2:3]
	v_cmp_ne_u64_e32 vcc, v[4:5], v[6:7]
	v_add_co_u32_e64 v6, s[2:3], v6, v0
	v_addc_co_u32_e64 v7, s[2:3], 0, v7, s[2:3]
	s_orn2_b64 s[12:13], vcc, exec
.LBB74_7:
	s_or_b64 exec, exec, s[10:11]
	v_mov_b32_e32 v2, 1
	s_and_saveexec_b64 s[2:3], s[12:13]
	s_cbranch_execz .LBB74_11
; %bb.8:
	v_lshl_add_u32 v2, v6, 1, 0
	s_lshl_b32 s12, s14, 1
	s_mov_b64 s[10:11], 0
	v_mov_b32_e32 v3, 0
.LBB74_9:                               ; =>This Inner Loop Header: Depth=1
	v_add_co_u32_e32 v6, vcc, s14, v6
	v_addc_co_u32_e32 v7, vcc, 0, v7, vcc
	v_cmp_le_i64_e32 vcc, s[18:19], v[6:7]
	ds_write_b16 v2, v3
	s_or_b64 s[10:11], vcc, s[10:11]
	v_add_u32_e32 v2, s12, v2
	s_andn2_b64 exec, exec, s[10:11]
	s_cbranch_execnz .LBB74_9
; %bb.10:
	s_or_b64 exec, exec, s[10:11]
	v_mov_b32_e32 v2, s7
.LBB74_11:
	s_or_b64 exec, exec, s[2:3]
.LBB74_12:
	s_or_b64 exec, exec, s[8:9]
	s_load_dwordx2 s[20:21], s[4:5], 0xd0
	s_load_dwordx8 s[8:15], s[4:5], 0x4e0
	v_and_b32_e32 v12, 0xffff, v2
	v_mad_u64_u32 v[2:3], s[2:3], s6, v12, v[0:1]
	v_mov_b32_e32 v4, 0
	v_mov_b32_e32 v3, v4
	s_waitcnt lgkmcnt(0)
	v_cmp_gt_i64_e32 vcc, s[14:15], v[2:3]
	s_barrier
	s_and_saveexec_b64 s[22:23], vcc
	s_cbranch_execz .LBB74_33
; %bb.13:
	s_load_dword s6, s[4:5], 0x4d8
	s_add_u32 s7, s4, 0x340
	s_addc_u32 s29, s5, 0
	s_load_dword s28, s[26:27], 0x0
	s_load_dwordx2 s[24:25], s[4:5], 0x410
	s_mov_b64 s[30:31], 0
	s_load_dwordx2 s[26:27], s[4:5], 0x340
	s_waitcnt lgkmcnt(0)
	s_cmp_gt_i32 s6, 1
	s_cselect_b64 s[2:3], -1, 0
	s_sub_u32 s33, s12, s10
	s_subb_u32 s42, s13, s11
	s_mov_b32 s5, 0
	s_add_i32 s4, s6, -1
	s_add_i32 s43, s6, 1
	s_lshl_b64 s[4:5], s[4:5], 3
	v_mul_lo_u32 v13, s28, v12
	s_add_u32 s4, s7, s4
	s_addc_u32 s5, s29, s5
	s_add_u32 s28, s4, 8
	v_cndmask_b32_e64 v5, 0, 1, s[2:3]
	s_addc_u32 s29, s5, 0
	s_mov_b32 s44, 0xffff0000
	v_cmp_ne_u32_e64 s[2:3], 1, v5
	s_branch .LBB74_15
.LBB74_14:                              ;   in Loop: Header=BB74_15 Depth=1
	s_or_b64 exec, exec, s[34:35]
	v_add_co_u32_e32 v2, vcc, v2, v13
	v_addc_co_u32_e32 v3, vcc, 0, v3, vcc
	v_cmp_le_i64_e32 vcc, s[14:15], v[2:3]
	s_or_b64 s[30:31], vcc, s[30:31]
	s_andn2_b64 exec, exec, s[30:31]
	s_cbranch_execz .LBB74_33
.LBB74_15:                              ; =>This Loop Header: Depth=1
                                        ;     Child Loop BB74_16 Depth 2
                                        ;     Child Loop BB74_29 Depth 2
	v_mov_b32_e32 v6, 0
	v_mov_b32_e32 v9, v3
	;; [unrolled: 1-line block ×4, first 2 shown]
	s_and_b64 vcc, exec, s[2:3]
	s_mov_b64 s[6:7], s[28:29]
	s_mov_b32 s45, s43
	v_mov_b32_e32 v8, v2
	v_mov_b32_e32 v10, v2
	s_cbranch_vccnz .LBB74_22
.LBB74_16:                              ;   Parent Loop BB74_15 Depth=1
                                        ; =>  This Inner Loop Header: Depth=2
	s_load_dwordx2 s[34:35], s[6:7], 0x0
                                        ; implicit-def: $vgpr10_vgpr11
	s_waitcnt lgkmcnt(0)
	v_or_b32_e32 v5, s35, v9
	v_cmp_ne_u64_e32 vcc, 0, v[4:5]
	s_and_saveexec_b64 s[4:5], vcc
	s_xor_b64 s[36:37], exec, s[4:5]
	s_cbranch_execz .LBB74_18
; %bb.17:                               ;   in Loop: Header=BB74_16 Depth=2
	s_ashr_i32 s38, s35, 31
	s_add_u32 s4, s34, s38
	s_mov_b32 s39, s38
	s_addc_u32 s5, s35, s38
	s_xor_b64 s[40:41], s[4:5], s[38:39]
	v_cvt_f32_u32_e32 v5, s40
	v_cvt_f32_u32_e32 v10, s41
	s_sub_u32 s39, 0, s40
	s_subb_u32 s46, 0, s41
	v_mac_f32_e32 v5, 0x4f800000, v10
	v_rcp_f32_e32 v5, v5
	v_mul_f32_e32 v5, 0x5f7ffffc, v5
	v_mul_f32_e32 v10, 0x2f800000, v5
	v_trunc_f32_e32 v10, v10
	v_mac_f32_e32 v5, 0xcf800000, v10
	v_cvt_u32_f32_e32 v10, v10
	v_cvt_u32_f32_e32 v5, v5
	v_readfirstlane_b32 s47, v10
	v_readfirstlane_b32 s4, v5
	s_mul_i32 s5, s39, s47
	s_mul_hi_u32 s49, s39, s4
	s_mul_i32 s48, s46, s4
	s_add_i32 s5, s49, s5
	s_add_i32 s5, s5, s48
	s_mul_i32 s50, s39, s4
	s_mul_i32 s49, s4, s5
	s_mul_hi_u32 s51, s4, s50
	s_mul_hi_u32 s48, s4, s5
	s_add_u32 s49, s51, s49
	s_addc_u32 s48, 0, s48
	s_mul_hi_u32 s52, s47, s50
	s_mul_i32 s50, s47, s50
	s_add_u32 s49, s49, s50
	s_mul_hi_u32 s51, s47, s5
	s_addc_u32 s48, s48, s52
	s_addc_u32 s49, s51, 0
	s_mul_i32 s5, s47, s5
	s_add_u32 s5, s48, s5
	s_addc_u32 s48, 0, s49
	s_add_u32 s49, s4, s5
	s_cselect_b64 s[4:5], -1, 0
	s_cmp_lg_u64 s[4:5], 0
	s_addc_u32 s47, s47, s48
	s_mul_i32 s4, s39, s47
	s_mul_hi_u32 s5, s39, s49
	s_add_i32 s4, s5, s4
	s_mul_i32 s46, s46, s49
	s_add_i32 s4, s4, s46
	s_mul_i32 s39, s39, s49
	s_mul_hi_u32 s46, s47, s39
	s_mul_i32 s48, s47, s39
	s_mul_i32 s51, s49, s4
	s_mul_hi_u32 s39, s49, s39
	s_mul_hi_u32 s50, s49, s4
	s_add_u32 s39, s39, s51
	s_addc_u32 s50, 0, s50
	s_add_u32 s39, s39, s48
	s_mul_hi_u32 s5, s47, s4
	s_addc_u32 s39, s50, s46
	s_addc_u32 s5, s5, 0
	s_mul_i32 s4, s47, s4
	s_add_u32 s4, s39, s4
	s_addc_u32 s39, 0, s5
	s_add_u32 s46, s49, s4
	s_cselect_b64 s[4:5], -1, 0
	v_ashrrev_i32_e32 v5, 31, v9
	s_cmp_lg_u64 s[4:5], 0
	v_add_co_u32_e32 v10, vcc, v8, v5
	s_addc_u32 s39, s47, s39
	v_xor_b32_e32 v16, v10, v5
	v_mad_u64_u32 v[10:11], s[4:5], v16, s39, 0
	v_mul_hi_u32 v15, v16, s46
	v_addc_co_u32_e32 v14, vcc, v9, v5, vcc
	v_xor_b32_e32 v17, v14, v5
	v_add_co_u32_e32 v18, vcc, v15, v10
	v_addc_co_u32_e32 v19, vcc, 0, v11, vcc
	v_mad_u64_u32 v[10:11], s[4:5], v17, s46, 0
	v_mad_u64_u32 v[14:15], s[4:5], v17, s39, 0
	v_add_co_u32_e32 v10, vcc, v18, v10
	v_addc_co_u32_e32 v10, vcc, v19, v11, vcc
	v_addc_co_u32_e32 v11, vcc, 0, v15, vcc
	v_add_co_u32_e32 v14, vcc, v10, v14
	v_addc_co_u32_e32 v15, vcc, 0, v11, vcc
	v_mul_lo_u32 v18, s41, v14
	v_mul_lo_u32 v19, s40, v15
	v_mad_u64_u32 v[10:11], s[4:5], s40, v14, 0
	v_xor_b32_e32 v5, s38, v5
	v_add3_u32 v11, v11, v19, v18
	v_sub_u32_e32 v18, v17, v11
	v_mov_b32_e32 v19, s41
	v_sub_co_u32_e32 v10, vcc, v16, v10
	v_subb_co_u32_e64 v16, s[4:5], v18, v19, vcc
	v_subrev_co_u32_e64 v18, s[4:5], s40, v10
	v_subbrev_co_u32_e64 v16, s[4:5], 0, v16, s[4:5]
	v_cmp_le_u32_e64 s[4:5], s41, v16
	v_cndmask_b32_e64 v19, 0, -1, s[4:5]
	v_cmp_le_u32_e64 s[4:5], s40, v18
	v_cndmask_b32_e64 v18, 0, -1, s[4:5]
	v_cmp_eq_u32_e64 s[4:5], s41, v16
	v_cndmask_b32_e64 v16, v19, v18, s[4:5]
	v_add_co_u32_e64 v18, s[4:5], 2, v14
	v_subb_co_u32_e32 v11, vcc, v17, v11, vcc
	v_addc_co_u32_e64 v19, s[4:5], 0, v15, s[4:5]
	v_cmp_le_u32_e32 vcc, s41, v11
	v_add_co_u32_e64 v20, s[4:5], 1, v14
	v_cndmask_b32_e64 v17, 0, -1, vcc
	v_cmp_le_u32_e32 vcc, s40, v10
	v_addc_co_u32_e64 v21, s[4:5], 0, v15, s[4:5]
	v_cndmask_b32_e64 v10, 0, -1, vcc
	v_cmp_eq_u32_e32 vcc, s41, v11
	v_cmp_ne_u32_e64 s[4:5], 0, v16
	v_cndmask_b32_e32 v10, v17, v10, vcc
	v_cndmask_b32_e64 v16, v21, v19, s[4:5]
	v_cmp_ne_u32_e32 vcc, 0, v10
	v_cndmask_b32_e64 v11, v20, v18, s[4:5]
	v_cndmask_b32_e32 v10, v15, v16, vcc
	v_cndmask_b32_e32 v11, v14, v11, vcc
	v_xor_b32_e32 v14, v10, v5
	v_xor_b32_e32 v10, v11, v5
	v_sub_co_u32_e32 v10, vcc, v10, v5
	v_subb_co_u32_e32 v11, vcc, v14, v5, vcc
.LBB74_18:                              ;   in Loop: Header=BB74_16 Depth=2
	s_andn2_saveexec_b64 s[4:5], s[36:37]
	s_cbranch_execz .LBB74_20
; %bb.19:                               ;   in Loop: Header=BB74_16 Depth=2
	v_cvt_f32_u32_e32 v5, s34
	s_sub_i32 s36, 0, s34
	v_rcp_iflag_f32_e32 v5, v5
	v_mul_f32_e32 v5, 0x4f7ffffe, v5
	v_cvt_u32_f32_e32 v5, v5
	v_mul_lo_u32 v10, s36, v5
	v_mul_hi_u32 v10, v5, v10
	v_add_u32_e32 v5, v5, v10
	v_mul_hi_u32 v5, v8, v5
	v_mul_lo_u32 v10, v5, s34
	v_add_u32_e32 v11, 1, v5
	v_sub_u32_e32 v10, v8, v10
	v_subrev_u32_e32 v14, s34, v10
	v_cmp_le_u32_e32 vcc, s34, v10
	v_cndmask_b32_e32 v10, v10, v14, vcc
	v_cndmask_b32_e32 v5, v5, v11, vcc
	v_add_u32_e32 v11, 1, v5
	v_cmp_le_u32_e32 vcc, s34, v10
	v_cndmask_b32_e32 v10, v5, v11, vcc
	v_mov_b32_e32 v11, v4
.LBB74_20:                              ;   in Loop: Header=BB74_16 Depth=2
	s_or_b64 exec, exec, s[4:5]
	v_mul_lo_u32 v5, v11, s34
	v_mul_lo_u32 v16, v10, s35
	v_mad_u64_u32 v[14:15], s[4:5], v10, s34, 0
	s_load_dwordx2 s[4:5], s[6:7], 0xc8
	s_add_i32 s45, s45, -1
	v_add3_u32 v5, v15, v16, v5
	v_sub_co_u32_e32 v8, vcc, v8, v14
	v_subb_co_u32_e32 v5, vcc, v9, v5, vcc
	s_waitcnt lgkmcnt(0)
	v_mul_lo_u32 v5, s4, v5
	v_mul_lo_u32 v9, s5, v8
	v_mad_u64_u32 v[6:7], s[4:5], s4, v8, v[6:7]
	s_add_u32 s6, s6, -8
	s_addc_u32 s7, s7, -1
	s_cmp_gt_u32 s45, 2
	v_add3_u32 v7, v9, v7, v5
	s_cbranch_scc0 .LBB74_22
; %bb.21:                               ;   in Loop: Header=BB74_16 Depth=2
	v_mov_b32_e32 v8, v10
	v_mov_b32_e32 v9, v11
	s_branch .LBB74_16
.LBB74_22:                              ;   in Loop: Header=BB74_15 Depth=1
	v_mul_lo_u32 v5, s25, v10
	v_mul_lo_u32 v11, s24, v11
	v_mad_u64_u32 v[8:9], s[4:5], s24, v10, 0
	v_add3_u32 v9, v9, v11, v5
	v_lshlrev_b64 v[8:9], 1, v[8:9]
	v_mov_b32_e32 v5, s27
	v_add_co_u32_e32 v8, vcc, s26, v8
	v_addc_co_u32_e32 v9, vcc, v5, v9, vcc
	v_lshlrev_b64 v[5:6], 1, v[6:7]
	v_add_co_u32_e32 v5, vcc, v8, v5
	v_addc_co_u32_e32 v6, vcc, v9, v6, vcc
	global_load_ushort v5, v[5:6], off
	s_waitcnt vmcnt(0)
	v_bfe_i32 v5, v5, 0, 16
	v_ashrrev_i32_e32 v6, 31, v5
	v_cmp_le_i64_e32 vcc, s[10:11], v[5:6]
	v_cmp_ge_i64_e64 s[4:5], s[12:13], v[5:6]
	s_and_b64 s[4:5], vcc, s[4:5]
	s_and_saveexec_b64 s[34:35], s[4:5]
	s_cbranch_execz .LBB74_14
; %bb.23:                               ;   in Loop: Header=BB74_15 Depth=1
	v_mov_b32_e32 v7, s11
	v_subrev_co_u32_e32 v5, vcc, s10, v5
	v_subb_co_u32_e32 v6, vcc, v6, v7, vcc
	v_mul_lo_u32 v8, v6, s8
	v_mul_lo_u32 v9, v5, s9
	v_mad_u64_u32 v[6:7], s[4:5], v5, s8, 0
	v_add3_u32 v7, v7, v9, v8
	v_or_b32_e32 v5, s42, v7
	v_cmp_ne_u64_e32 vcc, 0, v[4:5]
                                        ; implicit-def: $vgpr8_vgpr9
	s_and_saveexec_b64 s[4:5], vcc
	s_xor_b64 s[6:7], exec, s[4:5]
	s_cbranch_execz .LBB74_25
; %bb.24:                               ;   in Loop: Header=BB74_15 Depth=1
	s_ashr_i32 s36, s42, 31
	s_add_u32 s4, s33, s36
	s_mov_b32 s37, s36
	s_addc_u32 s5, s42, s36
	s_xor_b64 s[38:39], s[4:5], s[36:37]
	v_cvt_f32_u32_e32 v5, s38
	v_cvt_f32_u32_e32 v8, s39
	s_sub_u32 s37, 0, s38
	s_subb_u32 s40, 0, s39
	v_ashrrev_i32_e32 v9, 31, v7
	v_mac_f32_e32 v5, 0x4f800000, v8
	v_rcp_f32_e32 v5, v5
	v_mul_f32_e32 v5, 0x5f7ffffc, v5
	v_mul_f32_e32 v8, 0x2f800000, v5
	v_trunc_f32_e32 v8, v8
	v_mac_f32_e32 v5, 0xcf800000, v8
	v_cvt_u32_f32_e32 v8, v8
	v_cvt_u32_f32_e32 v5, v5
	v_readfirstlane_b32 s41, v8
	v_readfirstlane_b32 s4, v5
	s_mul_i32 s5, s37, s41
	s_mul_hi_u32 s46, s37, s4
	s_mul_i32 s45, s40, s4
	s_add_i32 s5, s46, s5
	s_add_i32 s5, s5, s45
	s_mul_i32 s47, s37, s4
	s_mul_i32 s46, s4, s5
	s_mul_hi_u32 s48, s4, s47
	s_mul_hi_u32 s45, s4, s5
	s_add_u32 s46, s48, s46
	s_addc_u32 s45, 0, s45
	s_mul_hi_u32 s49, s41, s47
	s_mul_i32 s47, s41, s47
	s_add_u32 s46, s46, s47
	s_mul_hi_u32 s48, s41, s5
	s_addc_u32 s45, s45, s49
	s_addc_u32 s46, s48, 0
	s_mul_i32 s5, s41, s5
	s_add_u32 s5, s45, s5
	s_addc_u32 s45, 0, s46
	s_add_u32 s46, s4, s5
	s_cselect_b64 s[4:5], -1, 0
	s_cmp_lg_u64 s[4:5], 0
	s_addc_u32 s41, s41, s45
	s_mul_i32 s4, s37, s41
	s_mul_hi_u32 s5, s37, s46
	s_add_i32 s4, s5, s4
	s_mul_i32 s40, s40, s46
	s_add_i32 s4, s4, s40
	s_mul_i32 s37, s37, s46
	s_mul_hi_u32 s40, s41, s37
	s_mul_i32 s45, s41, s37
	s_mul_i32 s48, s46, s4
	s_mul_hi_u32 s37, s46, s37
	s_mul_hi_u32 s47, s46, s4
	s_add_u32 s37, s37, s48
	s_addc_u32 s47, 0, s47
	s_add_u32 s37, s37, s45
	s_mul_hi_u32 s5, s41, s4
	s_addc_u32 s37, s47, s40
	s_addc_u32 s5, s5, 0
	s_mul_i32 s4, s41, s4
	s_add_u32 s4, s37, s4
	s_addc_u32 s37, 0, s5
	s_add_u32 s40, s46, s4
	s_cselect_b64 s[4:5], -1, 0
	s_cmp_lg_u64 s[4:5], 0
	v_add_co_u32_e32 v5, vcc, v6, v9
	s_addc_u32 s37, s41, s37
	v_xor_b32_e32 v10, v5, v9
	v_mad_u64_u32 v[5:6], s[4:5], v10, s37, 0
	v_mul_hi_u32 v8, v10, s40
	v_addc_co_u32_e32 v7, vcc, v7, v9, vcc
	v_xor_b32_e32 v11, v7, v9
	v_add_co_u32_e32 v14, vcc, v8, v5
	v_addc_co_u32_e32 v15, vcc, 0, v6, vcc
	v_mad_u64_u32 v[5:6], s[4:5], v11, s40, 0
	v_mad_u64_u32 v[7:8], s[4:5], v11, s37, 0
	v_add_co_u32_e32 v5, vcc, v14, v5
	v_addc_co_u32_e32 v5, vcc, v15, v6, vcc
	v_addc_co_u32_e32 v6, vcc, 0, v8, vcc
	v_add_co_u32_e32 v7, vcc, v5, v7
	v_addc_co_u32_e32 v5, vcc, 0, v6, vcc
	v_mul_lo_u32 v8, s39, v7
	v_mul_lo_u32 v14, s38, v5
	v_mad_u64_u32 v[5:6], s[4:5], s38, v7, 0
	v_add3_u32 v6, v6, v14, v8
	v_sub_u32_e32 v8, v11, v6
	v_mov_b32_e32 v14, s39
	v_sub_co_u32_e32 v5, vcc, v10, v5
	v_subb_co_u32_e64 v8, s[4:5], v8, v14, vcc
	v_subrev_co_u32_e64 v10, s[4:5], s38, v5
	v_subbrev_co_u32_e64 v8, s[4:5], 0, v8, s[4:5]
	v_cmp_le_u32_e64 s[4:5], s39, v8
	v_subb_co_u32_e32 v6, vcc, v11, v6, vcc
	v_cndmask_b32_e64 v14, 0, -1, s[4:5]
	v_cmp_le_u32_e64 s[4:5], s38, v10
	v_cmp_le_u32_e32 vcc, s39, v6
	v_cndmask_b32_e64 v10, 0, -1, s[4:5]
	v_cmp_eq_u32_e64 s[4:5], s39, v8
	v_cndmask_b32_e64 v11, 0, -1, vcc
	v_cmp_le_u32_e32 vcc, s38, v5
	v_cndmask_b32_e64 v8, v14, v10, s[4:5]
	v_cndmask_b32_e64 v5, 0, -1, vcc
	v_cmp_eq_u32_e32 vcc, s39, v6
	v_add_co_u32_e64 v10, s[4:5], 2, v7
	v_add_co_u32_e64 v14, s[4:5], 1, v7
	v_cndmask_b32_e32 v5, v11, v5, vcc
	v_cmp_ne_u32_e32 vcc, 0, v8
	v_cndmask_b32_e32 v6, v14, v10, vcc
	v_cmp_ne_u32_e32 vcc, 0, v5
	v_cndmask_b32_e32 v5, v7, v6, vcc
	v_xor_b32_e32 v6, s36, v9
	v_xor_b32_e32 v5, v5, v6
	v_sub_co_u32_e32 v8, vcc, v5, v6
                                        ; implicit-def: $vgpr6_vgpr7
.LBB74_25:                              ;   in Loop: Header=BB74_15 Depth=1
	s_andn2_saveexec_b64 s[4:5], s[6:7]
	s_cbranch_execz .LBB74_27
; %bb.26:                               ;   in Loop: Header=BB74_15 Depth=1
	v_cvt_f32_u32_e32 v5, s33
	s_sub_i32 s6, 0, s33
	v_rcp_iflag_f32_e32 v5, v5
	v_mul_f32_e32 v5, 0x4f7ffffe, v5
	v_cvt_u32_f32_e32 v5, v5
	v_mul_lo_u32 v7, s6, v5
	v_mul_hi_u32 v7, v5, v7
	v_add_u32_e32 v5, v5, v7
	v_mul_hi_u32 v5, v6, v5
	v_mul_lo_u32 v7, v5, s33
	v_add_u32_e32 v8, 1, v5
	v_sub_u32_e32 v6, v6, v7
	v_subrev_u32_e32 v7, s33, v6
	v_cmp_le_u32_e32 vcc, s33, v6
	v_cndmask_b32_e32 v6, v6, v7, vcc
	v_cndmask_b32_e32 v5, v5, v8, vcc
	v_add_u32_e32 v7, 1, v5
	v_cmp_le_u32_e32 vcc, s33, v6
	v_cndmask_b32_e32 v8, v5, v7, vcc
.LBB74_27:                              ;   in Loop: Header=BB74_15 Depth=1
	s_or_b64 exec, exec, s[4:5]
	v_ashrrev_i32_e32 v9, 31, v8
	v_cmp_eq_u64_e32 vcc, s[8:9], v[8:9]
	v_mov_b32_e32 v7, v4
	v_subbrev_co_u32_e32 v5, vcc, 0, v8, vcc
	v_lshl_add_u32 v8, v5, 1, 0
	v_and_b32_e32 v5, -3, v8
	ds_read_b32 v5, v5
	v_and_b32_e32 v6, 2, v8
	v_sub_u32_e32 v9, 0, v6
	v_cmp_eq_u64_e32 vcc, 0, v[6:7]
	s_mov_b64 s[36:37], 0
	v_cmp_ne_u32_e64 s[4:5], 0, v6
	v_add_u32_e32 v6, v8, v9
	s_branch .LBB74_29
.LBB74_28:                              ;   in Loop: Header=BB74_29 Depth=2
	s_or_b64 exec, exec, s[6:7]
	ds_cmpst_rtn_b32 v7, v6, v5, v7
	s_waitcnt lgkmcnt(0)
	v_cmp_eq_u32_e64 s[6:7], v5, v7
	s_or_b64 s[36:37], s[6:7], s[36:37]
	v_mov_b32_e32 v5, v7
	s_andn2_b64 exec, exec, s[36:37]
	s_cbranch_execz .LBB74_14
.LBB74_29:                              ;   Parent Loop BB74_15 Depth=1
                                        ; =>  This Inner Loop Header: Depth=2
	s_waitcnt lgkmcnt(0)
	v_cndmask_b32_sdwa v7, v5, v5, vcc dst_sel:DWORD dst_unused:UNUSED_PAD src0_sel:WORD_1 src1_sel:DWORD
	v_add_u32_e32 v7, 1, v7
	v_and_b32_e32 v8, 0xffff, v7
                                        ; implicit-def: $vgpr7
	s_and_saveexec_b64 s[6:7], s[4:5]
	s_xor_b64 s[6:7], exec, s[6:7]
; %bb.30:                               ;   in Loop: Header=BB74_29 Depth=2
	v_and_b32_e32 v7, 0xffff, v5
	v_lshl_or_b32 v7, v8, 16, v7
                                        ; implicit-def: $vgpr8
; %bb.31:                               ;   in Loop: Header=BB74_29 Depth=2
	s_andn2_saveexec_b64 s[6:7], s[6:7]
	s_cbranch_execz .LBB74_28
; %bb.32:                               ;   in Loop: Header=BB74_29 Depth=2
	v_and_or_b32 v7, v5, s44, v8
	s_branch .LBB74_28
.LBB74_33:
	s_or_b64 exec, exec, s[22:23]
; %bb.34:
	s_barrier
	s_and_saveexec_b64 s[2:3], s[0:1]
	s_cbranch_execz .LBB74_43
; %bb.35:
	v_mov_b32_e32 v3, 0
	s_mov_b64 s[4:5], 0
	v_mov_b32_e32 v8, s17
	s_mov_b32 s8, 0xffff0000
	s_branch .LBB74_37
.LBB74_36:                              ;   in Loop: Header=BB74_37 Depth=1
	s_or_b64 exec, exec, s[6:7]
	v_add_co_u32_e32 v0, vcc, v0, v12
	v_addc_co_u32_e32 v1, vcc, 0, v1, vcc
	v_cmp_le_i64_e32 vcc, s[18:19], v[0:1]
	s_or_b64 s[4:5], vcc, s[4:5]
	s_andn2_b64 exec, exec, s[4:5]
	s_cbranch_execz .LBB74_43
.LBB74_37:                              ; =>This Loop Header: Depth=1
                                        ;     Child Loop BB74_39 Depth 2
	v_mul_lo_u32 v2, v1, s20
	v_mul_lo_u32 v6, v0, s21
	v_mad_u64_u32 v[4:5], s[0:1], v0, s20, 0
	s_mov_b64 s[6:7], 0
	v_add3_u32 v5, v5, v6, v2
	v_lshlrev_b64 v[4:5], 1, v[4:5]
	v_add_co_u32_e32 v4, vcc, s16, v4
	v_addc_co_u32_e32 v5, vcc, v8, v5, vcc
	v_and_b32_e32 v2, 2, v4
	v_sub_co_u32_e32 v6, vcc, 0, v2
	v_subb_co_u32_e64 v7, s[0:1], 0, 0, vcc
	v_add_co_u32_e32 v4, vcc, v4, v6
	v_addc_co_u32_e32 v5, vcc, v5, v7, vcc
	global_load_dword v7, v[4:5], off
	v_lshl_add_u32 v6, v0, 1, 0
	ds_read_u16 v9, v6
	v_cmp_eq_u64_e32 vcc, 0, v[2:3]
	v_cmp_ne_u32_e64 s[0:1], 0, v2
	s_branch .LBB74_39
.LBB74_38:                              ;   in Loop: Header=BB74_39 Depth=2
	s_or_b64 exec, exec, s[2:3]
	global_atomic_cmpswap v2, v[4:5], v[6:7], off glc
	s_waitcnt vmcnt(0)
	v_cmp_eq_u32_e64 s[2:3], v7, v2
	s_or_b64 s[6:7], s[2:3], s[6:7]
	v_mov_b32_e32 v7, v2
	s_andn2_b64 exec, exec, s[6:7]
	s_cbranch_execz .LBB74_36
.LBB74_39:                              ;   Parent Loop BB74_37 Depth=1
                                        ; =>  This Inner Loop Header: Depth=2
	s_waitcnt vmcnt(0)
	v_cndmask_b32_sdwa v2, v7, v7, vcc dst_sel:DWORD dst_unused:UNUSED_PAD src0_sel:WORD_1 src1_sel:DWORD
	s_waitcnt lgkmcnt(0)
	v_add_u16_e32 v2, v9, v2
	s_and_saveexec_b64 s[2:3], s[0:1]
	s_xor_b64 s[2:3], exec, s[2:3]
; %bb.40:                               ;   in Loop: Header=BB74_39 Depth=2
	v_and_b32_e32 v6, 0xffff, v7
	v_lshl_or_b32 v6, v2, 16, v6
                                        ; implicit-def: $vgpr2
; %bb.41:                               ;   in Loop: Header=BB74_39 Depth=2
	s_andn2_saveexec_b64 s[2:3], s[2:3]
	s_cbranch_execz .LBB74_38
; %bb.42:                               ;   in Loop: Header=BB74_39 Depth=2
	v_and_or_b32 v6, v7, s8, v2
	s_branch .LBB74_38
.LBB74_43:
	s_endpgm
	.section	.rodata,"a",@progbits
	.p2align	6, 0x0
	.amdhsa_kernel _ZN2at4cuda17kernelHistogram1DIsslLi1ELi2ELin1ELNS0_23CUDAHistogramMemoryTypeE0EZNS0_21CUDA_tensor_histogramIssLb0EEEbNS_6TensorES4_S4_lNS_14AccumulateTypeIT0_Lb1EE4typeES8_NS0_13TensorArgTypeES9_S9_EUllE0_EEvNS0_6detail10TensorInfoIT_T1_EESF_NSC_IKS6_SE_EElS8_S8_SE_T6_
		.amdhsa_group_segment_fixed_size 0
		.amdhsa_private_segment_fixed_size 0
		.amdhsa_kernarg_size 1544
		.amdhsa_user_sgpr_count 6
		.amdhsa_user_sgpr_private_segment_buffer 1
		.amdhsa_user_sgpr_dispatch_ptr 0
		.amdhsa_user_sgpr_queue_ptr 0
		.amdhsa_user_sgpr_kernarg_segment_ptr 1
		.amdhsa_user_sgpr_dispatch_id 0
		.amdhsa_user_sgpr_flat_scratch_init 0
		.amdhsa_user_sgpr_private_segment_size 0
		.amdhsa_uses_dynamic_stack 0
		.amdhsa_system_sgpr_private_segment_wavefront_offset 0
		.amdhsa_system_sgpr_workgroup_id_x 1
		.amdhsa_system_sgpr_workgroup_id_y 0
		.amdhsa_system_sgpr_workgroup_id_z 0
		.amdhsa_system_sgpr_workgroup_info 0
		.amdhsa_system_vgpr_workitem_id 0
		.amdhsa_next_free_vgpr 22
		.amdhsa_next_free_sgpr 53
		.amdhsa_reserve_vcc 1
		.amdhsa_reserve_flat_scratch 0
		.amdhsa_float_round_mode_32 0
		.amdhsa_float_round_mode_16_64 0
		.amdhsa_float_denorm_mode_32 3
		.amdhsa_float_denorm_mode_16_64 3
		.amdhsa_dx10_clamp 1
		.amdhsa_ieee_mode 1
		.amdhsa_fp16_overflow 0
		.amdhsa_exception_fp_ieee_invalid_op 0
		.amdhsa_exception_fp_denorm_src 0
		.amdhsa_exception_fp_ieee_div_zero 0
		.amdhsa_exception_fp_ieee_overflow 0
		.amdhsa_exception_fp_ieee_underflow 0
		.amdhsa_exception_fp_ieee_inexact 0
		.amdhsa_exception_int_div_zero 0
	.end_amdhsa_kernel
	.section	.text._ZN2at4cuda17kernelHistogram1DIsslLi1ELi2ELin1ELNS0_23CUDAHistogramMemoryTypeE0EZNS0_21CUDA_tensor_histogramIssLb0EEEbNS_6TensorES4_S4_lNS_14AccumulateTypeIT0_Lb1EE4typeES8_NS0_13TensorArgTypeES9_S9_EUllE0_EEvNS0_6detail10TensorInfoIT_T1_EESF_NSC_IKS6_SE_EElS8_S8_SE_T6_,"axG",@progbits,_ZN2at4cuda17kernelHistogram1DIsslLi1ELi2ELin1ELNS0_23CUDAHistogramMemoryTypeE0EZNS0_21CUDA_tensor_histogramIssLb0EEEbNS_6TensorES4_S4_lNS_14AccumulateTypeIT0_Lb1EE4typeES8_NS0_13TensorArgTypeES9_S9_EUllE0_EEvNS0_6detail10TensorInfoIT_T1_EESF_NSC_IKS6_SE_EElS8_S8_SE_T6_,comdat
.Lfunc_end74:
	.size	_ZN2at4cuda17kernelHistogram1DIsslLi1ELi2ELin1ELNS0_23CUDAHistogramMemoryTypeE0EZNS0_21CUDA_tensor_histogramIssLb0EEEbNS_6TensorES4_S4_lNS_14AccumulateTypeIT0_Lb1EE4typeES8_NS0_13TensorArgTypeES9_S9_EUllE0_EEvNS0_6detail10TensorInfoIT_T1_EESF_NSC_IKS6_SE_EElS8_S8_SE_T6_, .Lfunc_end74-_ZN2at4cuda17kernelHistogram1DIsslLi1ELi2ELin1ELNS0_23CUDAHistogramMemoryTypeE0EZNS0_21CUDA_tensor_histogramIssLb0EEEbNS_6TensorES4_S4_lNS_14AccumulateTypeIT0_Lb1EE4typeES8_NS0_13TensorArgTypeES9_S9_EUllE0_EEvNS0_6detail10TensorInfoIT_T1_EESF_NSC_IKS6_SE_EElS8_S8_SE_T6_
                                        ; -- End function
	.set _ZN2at4cuda17kernelHistogram1DIsslLi1ELi2ELin1ELNS0_23CUDAHistogramMemoryTypeE0EZNS0_21CUDA_tensor_histogramIssLb0EEEbNS_6TensorES4_S4_lNS_14AccumulateTypeIT0_Lb1EE4typeES8_NS0_13TensorArgTypeES9_S9_EUllE0_EEvNS0_6detail10TensorInfoIT_T1_EESF_NSC_IKS6_SE_EElS8_S8_SE_T6_.num_vgpr, 22
	.set _ZN2at4cuda17kernelHistogram1DIsslLi1ELi2ELin1ELNS0_23CUDAHistogramMemoryTypeE0EZNS0_21CUDA_tensor_histogramIssLb0EEEbNS_6TensorES4_S4_lNS_14AccumulateTypeIT0_Lb1EE4typeES8_NS0_13TensorArgTypeES9_S9_EUllE0_EEvNS0_6detail10TensorInfoIT_T1_EESF_NSC_IKS6_SE_EElS8_S8_SE_T6_.num_agpr, 0
	.set _ZN2at4cuda17kernelHistogram1DIsslLi1ELi2ELin1ELNS0_23CUDAHistogramMemoryTypeE0EZNS0_21CUDA_tensor_histogramIssLb0EEEbNS_6TensorES4_S4_lNS_14AccumulateTypeIT0_Lb1EE4typeES8_NS0_13TensorArgTypeES9_S9_EUllE0_EEvNS0_6detail10TensorInfoIT_T1_EESF_NSC_IKS6_SE_EElS8_S8_SE_T6_.numbered_sgpr, 53
	.set _ZN2at4cuda17kernelHistogram1DIsslLi1ELi2ELin1ELNS0_23CUDAHistogramMemoryTypeE0EZNS0_21CUDA_tensor_histogramIssLb0EEEbNS_6TensorES4_S4_lNS_14AccumulateTypeIT0_Lb1EE4typeES8_NS0_13TensorArgTypeES9_S9_EUllE0_EEvNS0_6detail10TensorInfoIT_T1_EESF_NSC_IKS6_SE_EElS8_S8_SE_T6_.num_named_barrier, 0
	.set _ZN2at4cuda17kernelHistogram1DIsslLi1ELi2ELin1ELNS0_23CUDAHistogramMemoryTypeE0EZNS0_21CUDA_tensor_histogramIssLb0EEEbNS_6TensorES4_S4_lNS_14AccumulateTypeIT0_Lb1EE4typeES8_NS0_13TensorArgTypeES9_S9_EUllE0_EEvNS0_6detail10TensorInfoIT_T1_EESF_NSC_IKS6_SE_EElS8_S8_SE_T6_.private_seg_size, 0
	.set _ZN2at4cuda17kernelHistogram1DIsslLi1ELi2ELin1ELNS0_23CUDAHistogramMemoryTypeE0EZNS0_21CUDA_tensor_histogramIssLb0EEEbNS_6TensorES4_S4_lNS_14AccumulateTypeIT0_Lb1EE4typeES8_NS0_13TensorArgTypeES9_S9_EUllE0_EEvNS0_6detail10TensorInfoIT_T1_EESF_NSC_IKS6_SE_EElS8_S8_SE_T6_.uses_vcc, 1
	.set _ZN2at4cuda17kernelHistogram1DIsslLi1ELi2ELin1ELNS0_23CUDAHistogramMemoryTypeE0EZNS0_21CUDA_tensor_histogramIssLb0EEEbNS_6TensorES4_S4_lNS_14AccumulateTypeIT0_Lb1EE4typeES8_NS0_13TensorArgTypeES9_S9_EUllE0_EEvNS0_6detail10TensorInfoIT_T1_EESF_NSC_IKS6_SE_EElS8_S8_SE_T6_.uses_flat_scratch, 0
	.set _ZN2at4cuda17kernelHistogram1DIsslLi1ELi2ELin1ELNS0_23CUDAHistogramMemoryTypeE0EZNS0_21CUDA_tensor_histogramIssLb0EEEbNS_6TensorES4_S4_lNS_14AccumulateTypeIT0_Lb1EE4typeES8_NS0_13TensorArgTypeES9_S9_EUllE0_EEvNS0_6detail10TensorInfoIT_T1_EESF_NSC_IKS6_SE_EElS8_S8_SE_T6_.has_dyn_sized_stack, 0
	.set _ZN2at4cuda17kernelHistogram1DIsslLi1ELi2ELin1ELNS0_23CUDAHistogramMemoryTypeE0EZNS0_21CUDA_tensor_histogramIssLb0EEEbNS_6TensorES4_S4_lNS_14AccumulateTypeIT0_Lb1EE4typeES8_NS0_13TensorArgTypeES9_S9_EUllE0_EEvNS0_6detail10TensorInfoIT_T1_EESF_NSC_IKS6_SE_EElS8_S8_SE_T6_.has_recursion, 0
	.set _ZN2at4cuda17kernelHistogram1DIsslLi1ELi2ELin1ELNS0_23CUDAHistogramMemoryTypeE0EZNS0_21CUDA_tensor_histogramIssLb0EEEbNS_6TensorES4_S4_lNS_14AccumulateTypeIT0_Lb1EE4typeES8_NS0_13TensorArgTypeES9_S9_EUllE0_EEvNS0_6detail10TensorInfoIT_T1_EESF_NSC_IKS6_SE_EElS8_S8_SE_T6_.has_indirect_call, 0
	.section	.AMDGPU.csdata,"",@progbits
; Kernel info:
; codeLenInByte = 2792
; TotalNumSgprs: 57
; NumVgprs: 22
; ScratchSize: 0
; MemoryBound: 0
; FloatMode: 240
; IeeeMode: 1
; LDSByteSize: 0 bytes/workgroup (compile time only)
; SGPRBlocks: 7
; VGPRBlocks: 5
; NumSGPRsForWavesPerEU: 57
; NumVGPRsForWavesPerEU: 22
; Occupancy: 10
; WaveLimiterHint : 1
; COMPUTE_PGM_RSRC2:SCRATCH_EN: 0
; COMPUTE_PGM_RSRC2:USER_SGPR: 6
; COMPUTE_PGM_RSRC2:TRAP_HANDLER: 0
; COMPUTE_PGM_RSRC2:TGID_X_EN: 1
; COMPUTE_PGM_RSRC2:TGID_Y_EN: 0
; COMPUTE_PGM_RSRC2:TGID_Z_EN: 0
; COMPUTE_PGM_RSRC2:TIDIG_COMP_CNT: 0
	.section	.text._ZN2at4cuda17kernelHistogram1DIsslLi1ELi2ELin1ELNS0_23CUDAHistogramMemoryTypeE1EZNS0_21CUDA_tensor_histogramIssLb0EEEbNS_6TensorES4_S4_lNS_14AccumulateTypeIT0_Lb1EE4typeES8_NS0_13TensorArgTypeES9_S9_EUllE0_EEvNS0_6detail10TensorInfoIT_T1_EESF_NSC_IKS6_SE_EElS8_S8_SE_T6_,"axG",@progbits,_ZN2at4cuda17kernelHistogram1DIsslLi1ELi2ELin1ELNS0_23CUDAHistogramMemoryTypeE1EZNS0_21CUDA_tensor_histogramIssLb0EEEbNS_6TensorES4_S4_lNS_14AccumulateTypeIT0_Lb1EE4typeES8_NS0_13TensorArgTypeES9_S9_EUllE0_EEvNS0_6detail10TensorInfoIT_T1_EESF_NSC_IKS6_SE_EElS8_S8_SE_T6_,comdat
	.protected	_ZN2at4cuda17kernelHistogram1DIsslLi1ELi2ELin1ELNS0_23CUDAHistogramMemoryTypeE1EZNS0_21CUDA_tensor_histogramIssLb0EEEbNS_6TensorES4_S4_lNS_14AccumulateTypeIT0_Lb1EE4typeES8_NS0_13TensorArgTypeES9_S9_EUllE0_EEvNS0_6detail10TensorInfoIT_T1_EESF_NSC_IKS6_SE_EElS8_S8_SE_T6_ ; -- Begin function _ZN2at4cuda17kernelHistogram1DIsslLi1ELi2ELin1ELNS0_23CUDAHistogramMemoryTypeE1EZNS0_21CUDA_tensor_histogramIssLb0EEEbNS_6TensorES4_S4_lNS_14AccumulateTypeIT0_Lb1EE4typeES8_NS0_13TensorArgTypeES9_S9_EUllE0_EEvNS0_6detail10TensorInfoIT_T1_EESF_NSC_IKS6_SE_EElS8_S8_SE_T6_
	.globl	_ZN2at4cuda17kernelHistogram1DIsslLi1ELi2ELin1ELNS0_23CUDAHistogramMemoryTypeE1EZNS0_21CUDA_tensor_histogramIssLb0EEEbNS_6TensorES4_S4_lNS_14AccumulateTypeIT0_Lb1EE4typeES8_NS0_13TensorArgTypeES9_S9_EUllE0_EEvNS0_6detail10TensorInfoIT_T1_EESF_NSC_IKS6_SE_EElS8_S8_SE_T6_
	.p2align	8
	.type	_ZN2at4cuda17kernelHistogram1DIsslLi1ELi2ELin1ELNS0_23CUDAHistogramMemoryTypeE1EZNS0_21CUDA_tensor_histogramIssLb0EEEbNS_6TensorES4_S4_lNS_14AccumulateTypeIT0_Lb1EE4typeES8_NS0_13TensorArgTypeES9_S9_EUllE0_EEvNS0_6detail10TensorInfoIT_T1_EESF_NSC_IKS6_SE_EElS8_S8_SE_T6_,@function
_ZN2at4cuda17kernelHistogram1DIsslLi1ELi2ELin1ELNS0_23CUDAHistogramMemoryTypeE1EZNS0_21CUDA_tensor_histogramIssLb0EEEbNS_6TensorES4_S4_lNS_14AccumulateTypeIT0_Lb1EE4typeES8_NS0_13TensorArgTypeES9_S9_EUllE0_EEvNS0_6detail10TensorInfoIT_T1_EESF_NSC_IKS6_SE_EElS8_S8_SE_T6_: ; @_ZN2at4cuda17kernelHistogram1DIsslLi1ELi2ELin1ELNS0_23CUDAHistogramMemoryTypeE1EZNS0_21CUDA_tensor_histogramIssLb0EEEbNS_6TensorES4_S4_lNS_14AccumulateTypeIT0_Lb1EE4typeES8_NS0_13TensorArgTypeES9_S9_EUllE0_EEvNS0_6detail10TensorInfoIT_T1_EESF_NSC_IKS6_SE_EElS8_S8_SE_T6_
; %bb.0:
	s_load_dword s2, s[4:5], 0x514
	s_load_dwordx8 s[8:15], s[4:5], 0x4e0
	s_add_u32 s0, s4, 0x508
	s_addc_u32 s1, s5, 0
	v_mov_b32_e32 v2, 0
	s_waitcnt lgkmcnt(0)
	s_and_b32 s2, s2, 0xffff
	s_mul_i32 s6, s6, s2
	v_add_u32_e32 v0, s6, v0
	v_mov_b32_e32 v1, v2
	v_cmp_gt_i64_e32 vcc, s[14:15], v[0:1]
	s_and_saveexec_b64 s[6:7], vcc
	s_cbranch_execz .LBB75_21
; %bb.1:
	s_load_dword s22, s[4:5], 0x4d8
	s_load_dword s3, s[0:1], 0x0
	s_add_u32 s23, s4, 0x340
	s_addc_u32 s24, s5, 0
	s_load_dwordx2 s[6:7], s[4:5], 0x0
	s_load_dwordx2 s[16:17], s[4:5], 0xd0
	;; [unrolled: 1-line block ×4, first 2 shown]
	s_waitcnt lgkmcnt(0)
	s_cmp_gt_i32 s22, 1
	s_cselect_b64 s[0:1], -1, 0
	s_sub_u32 s33, s12, s10
	s_subb_u32 s36, s13, s11
	s_mul_i32 s37, s3, s2
	s_mov_b32 s3, 0
	s_add_i32 s2, s22, -1
	s_add_i32 s38, s22, 1
	s_lshl_b64 s[2:3], s[2:3], 3
	s_add_u32 s2, s23, s2
	s_addc_u32 s3, s24, s3
	s_add_u32 s22, s2, 8
	v_cndmask_b32_e64 v3, 0, 1, s[0:1]
	s_addc_u32 s23, s3, 0
	s_mov_b64 s[24:25], 0
	s_mov_b32 s39, 0xffff0000
	v_cmp_ne_u32_e64 s[0:1], 1, v3
	s_branch .LBB75_3
.LBB75_2:                               ;   in Loop: Header=BB75_3 Depth=1
	s_or_b64 exec, exec, s[26:27]
	v_add_co_u32_e32 v0, vcc, s37, v0
	v_addc_co_u32_e32 v1, vcc, 0, v1, vcc
	v_cmp_le_i64_e32 vcc, s[14:15], v[0:1]
	s_or_b64 s[24:25], vcc, s[24:25]
	s_andn2_b64 exec, exec, s[24:25]
	s_cbranch_execz .LBB75_21
.LBB75_3:                               ; =>This Loop Header: Depth=1
                                        ;     Child Loop BB75_4 Depth 2
                                        ;     Child Loop BB75_17 Depth 2
	v_mov_b32_e32 v4, 0
	v_mov_b32_e32 v7, v1
	;; [unrolled: 1-line block ×4, first 2 shown]
	s_and_b64 vcc, exec, s[0:1]
	s_mov_b64 s[4:5], s[22:23]
	s_mov_b32 s40, s38
	v_mov_b32_e32 v6, v0
	v_mov_b32_e32 v8, v0
	s_cbranch_vccnz .LBB75_10
.LBB75_4:                               ;   Parent Loop BB75_3 Depth=1
                                        ; =>  This Inner Loop Header: Depth=2
	s_load_dwordx2 s[26:27], s[4:5], 0x0
                                        ; implicit-def: $vgpr8_vgpr9
	s_waitcnt lgkmcnt(0)
	v_or_b32_e32 v3, s27, v7
	v_cmp_ne_u64_e32 vcc, 0, v[2:3]
	s_and_saveexec_b64 s[2:3], vcc
	s_xor_b64 s[28:29], exec, s[2:3]
	s_cbranch_execz .LBB75_6
; %bb.5:                                ;   in Loop: Header=BB75_4 Depth=2
	s_ashr_i32 s30, s27, 31
	s_add_u32 s2, s26, s30
	s_mov_b32 s31, s30
	s_addc_u32 s3, s27, s30
	s_xor_b64 s[34:35], s[2:3], s[30:31]
	v_cvt_f32_u32_e32 v3, s34
	v_cvt_f32_u32_e32 v8, s35
	s_sub_u32 s31, 0, s34
	s_subb_u32 s41, 0, s35
	v_mac_f32_e32 v3, 0x4f800000, v8
	v_rcp_f32_e32 v3, v3
	v_mul_f32_e32 v3, 0x5f7ffffc, v3
	v_mul_f32_e32 v8, 0x2f800000, v3
	v_trunc_f32_e32 v8, v8
	v_mac_f32_e32 v3, 0xcf800000, v8
	v_cvt_u32_f32_e32 v8, v8
	v_cvt_u32_f32_e32 v3, v3
	v_readfirstlane_b32 s42, v8
	v_readfirstlane_b32 s2, v3
	s_mul_i32 s3, s31, s42
	s_mul_hi_u32 s44, s31, s2
	s_mul_i32 s43, s41, s2
	s_add_i32 s3, s44, s3
	s_add_i32 s3, s3, s43
	s_mul_i32 s45, s31, s2
	s_mul_i32 s44, s2, s3
	s_mul_hi_u32 s46, s2, s45
	s_mul_hi_u32 s43, s2, s3
	s_add_u32 s44, s46, s44
	s_addc_u32 s43, 0, s43
	s_mul_hi_u32 s47, s42, s45
	s_mul_i32 s45, s42, s45
	s_add_u32 s44, s44, s45
	s_mul_hi_u32 s46, s42, s3
	s_addc_u32 s43, s43, s47
	s_addc_u32 s44, s46, 0
	s_mul_i32 s3, s42, s3
	s_add_u32 s3, s43, s3
	s_addc_u32 s43, 0, s44
	s_add_u32 s44, s2, s3
	s_cselect_b64 s[2:3], -1, 0
	s_cmp_lg_u64 s[2:3], 0
	s_addc_u32 s42, s42, s43
	s_mul_i32 s2, s31, s42
	s_mul_hi_u32 s3, s31, s44
	s_add_i32 s2, s3, s2
	s_mul_i32 s41, s41, s44
	s_add_i32 s2, s2, s41
	s_mul_i32 s31, s31, s44
	s_mul_hi_u32 s41, s42, s31
	s_mul_i32 s43, s42, s31
	s_mul_i32 s46, s44, s2
	s_mul_hi_u32 s31, s44, s31
	s_mul_hi_u32 s45, s44, s2
	s_add_u32 s31, s31, s46
	s_addc_u32 s45, 0, s45
	s_add_u32 s31, s31, s43
	s_mul_hi_u32 s3, s42, s2
	s_addc_u32 s31, s45, s41
	s_addc_u32 s3, s3, 0
	s_mul_i32 s2, s42, s2
	s_add_u32 s2, s31, s2
	s_addc_u32 s31, 0, s3
	s_add_u32 s41, s44, s2
	s_cselect_b64 s[2:3], -1, 0
	v_ashrrev_i32_e32 v3, 31, v7
	s_cmp_lg_u64 s[2:3], 0
	v_add_co_u32_e32 v8, vcc, v6, v3
	s_addc_u32 s31, s42, s31
	v_xor_b32_e32 v12, v8, v3
	v_mad_u64_u32 v[8:9], s[2:3], v12, s31, 0
	v_mul_hi_u32 v11, v12, s41
	v_addc_co_u32_e32 v10, vcc, v7, v3, vcc
	v_xor_b32_e32 v13, v10, v3
	v_add_co_u32_e32 v14, vcc, v11, v8
	v_addc_co_u32_e32 v15, vcc, 0, v9, vcc
	v_mad_u64_u32 v[8:9], s[2:3], v13, s41, 0
	v_mad_u64_u32 v[10:11], s[2:3], v13, s31, 0
	v_add_co_u32_e32 v8, vcc, v14, v8
	v_addc_co_u32_e32 v8, vcc, v15, v9, vcc
	v_addc_co_u32_e32 v9, vcc, 0, v11, vcc
	v_add_co_u32_e32 v10, vcc, v8, v10
	v_addc_co_u32_e32 v11, vcc, 0, v9, vcc
	v_mul_lo_u32 v14, s35, v10
	v_mul_lo_u32 v15, s34, v11
	v_mad_u64_u32 v[8:9], s[2:3], s34, v10, 0
	v_xor_b32_e32 v3, s30, v3
	v_add3_u32 v9, v9, v15, v14
	v_sub_u32_e32 v14, v13, v9
	v_mov_b32_e32 v15, s35
	v_sub_co_u32_e32 v8, vcc, v12, v8
	v_subb_co_u32_e64 v12, s[2:3], v14, v15, vcc
	v_subrev_co_u32_e64 v14, s[2:3], s34, v8
	v_subbrev_co_u32_e64 v12, s[2:3], 0, v12, s[2:3]
	v_cmp_le_u32_e64 s[2:3], s35, v12
	v_cndmask_b32_e64 v15, 0, -1, s[2:3]
	v_cmp_le_u32_e64 s[2:3], s34, v14
	v_cndmask_b32_e64 v14, 0, -1, s[2:3]
	v_cmp_eq_u32_e64 s[2:3], s35, v12
	v_cndmask_b32_e64 v12, v15, v14, s[2:3]
	v_add_co_u32_e64 v14, s[2:3], 2, v10
	v_subb_co_u32_e32 v9, vcc, v13, v9, vcc
	v_addc_co_u32_e64 v15, s[2:3], 0, v11, s[2:3]
	v_cmp_le_u32_e32 vcc, s35, v9
	v_add_co_u32_e64 v16, s[2:3], 1, v10
	v_cndmask_b32_e64 v13, 0, -1, vcc
	v_cmp_le_u32_e32 vcc, s34, v8
	v_addc_co_u32_e64 v17, s[2:3], 0, v11, s[2:3]
	v_cndmask_b32_e64 v8, 0, -1, vcc
	v_cmp_eq_u32_e32 vcc, s35, v9
	v_cmp_ne_u32_e64 s[2:3], 0, v12
	v_cndmask_b32_e32 v8, v13, v8, vcc
	v_cndmask_b32_e64 v12, v17, v15, s[2:3]
	v_cmp_ne_u32_e32 vcc, 0, v8
	v_cndmask_b32_e64 v9, v16, v14, s[2:3]
	v_cndmask_b32_e32 v8, v11, v12, vcc
	v_cndmask_b32_e32 v9, v10, v9, vcc
	v_xor_b32_e32 v10, v8, v3
	v_xor_b32_e32 v8, v9, v3
	v_sub_co_u32_e32 v8, vcc, v8, v3
	v_subb_co_u32_e32 v9, vcc, v10, v3, vcc
.LBB75_6:                               ;   in Loop: Header=BB75_4 Depth=2
	s_andn2_saveexec_b64 s[2:3], s[28:29]
	s_cbranch_execz .LBB75_8
; %bb.7:                                ;   in Loop: Header=BB75_4 Depth=2
	v_cvt_f32_u32_e32 v3, s26
	s_sub_i32 s28, 0, s26
	v_rcp_iflag_f32_e32 v3, v3
	v_mul_f32_e32 v3, 0x4f7ffffe, v3
	v_cvt_u32_f32_e32 v3, v3
	v_mul_lo_u32 v8, s28, v3
	v_mul_hi_u32 v8, v3, v8
	v_add_u32_e32 v3, v3, v8
	v_mul_hi_u32 v3, v6, v3
	v_mul_lo_u32 v8, v3, s26
	v_add_u32_e32 v9, 1, v3
	v_sub_u32_e32 v8, v6, v8
	v_subrev_u32_e32 v10, s26, v8
	v_cmp_le_u32_e32 vcc, s26, v8
	v_cndmask_b32_e32 v8, v8, v10, vcc
	v_cndmask_b32_e32 v3, v3, v9, vcc
	v_add_u32_e32 v9, 1, v3
	v_cmp_le_u32_e32 vcc, s26, v8
	v_cndmask_b32_e32 v8, v3, v9, vcc
	v_mov_b32_e32 v9, v2
.LBB75_8:                               ;   in Loop: Header=BB75_4 Depth=2
	s_or_b64 exec, exec, s[2:3]
	v_mul_lo_u32 v3, v9, s26
	v_mul_lo_u32 v12, v8, s27
	v_mad_u64_u32 v[10:11], s[2:3], v8, s26, 0
	s_load_dwordx2 s[2:3], s[4:5], 0xc8
	s_add_i32 s40, s40, -1
	v_add3_u32 v3, v11, v12, v3
	v_sub_co_u32_e32 v6, vcc, v6, v10
	v_subb_co_u32_e32 v3, vcc, v7, v3, vcc
	s_waitcnt lgkmcnt(0)
	v_mul_lo_u32 v3, s2, v3
	v_mul_lo_u32 v7, s3, v6
	v_mad_u64_u32 v[4:5], s[2:3], s2, v6, v[4:5]
	s_add_u32 s4, s4, -8
	s_addc_u32 s5, s5, -1
	s_cmp_gt_u32 s40, 2
	v_add3_u32 v5, v7, v5, v3
	s_cbranch_scc0 .LBB75_10
; %bb.9:                                ;   in Loop: Header=BB75_4 Depth=2
	v_mov_b32_e32 v6, v8
	v_mov_b32_e32 v7, v9
	s_branch .LBB75_4
.LBB75_10:                              ;   in Loop: Header=BB75_3 Depth=1
	v_mul_lo_u32 v3, s19, v8
	v_mul_lo_u32 v9, s18, v9
	v_mad_u64_u32 v[6:7], s[2:3], s18, v8, 0
	v_add3_u32 v7, v7, v9, v3
	v_lshlrev_b64 v[6:7], 1, v[6:7]
	v_mov_b32_e32 v3, s21
	v_add_co_u32_e32 v6, vcc, s20, v6
	v_addc_co_u32_e32 v7, vcc, v3, v7, vcc
	v_lshlrev_b64 v[3:4], 1, v[4:5]
	v_add_co_u32_e32 v3, vcc, v6, v3
	v_addc_co_u32_e32 v4, vcc, v7, v4, vcc
	global_load_ushort v3, v[3:4], off
	s_waitcnt vmcnt(0)
	v_bfe_i32 v3, v3, 0, 16
	v_ashrrev_i32_e32 v4, 31, v3
	v_cmp_le_i64_e32 vcc, s[10:11], v[3:4]
	v_cmp_ge_i64_e64 s[2:3], s[12:13], v[3:4]
	s_and_b64 s[2:3], vcc, s[2:3]
	s_and_saveexec_b64 s[26:27], s[2:3]
	s_cbranch_execz .LBB75_2
; %bb.11:                               ;   in Loop: Header=BB75_3 Depth=1
	v_mov_b32_e32 v5, s11
	v_subrev_co_u32_e32 v3, vcc, s10, v3
	v_subb_co_u32_e32 v4, vcc, v4, v5, vcc
	v_mul_lo_u32 v6, v4, s8
	v_mul_lo_u32 v7, v3, s9
	v_mad_u64_u32 v[4:5], s[2:3], v3, s8, 0
	v_add3_u32 v5, v5, v7, v6
	v_or_b32_e32 v3, s36, v5
	v_cmp_ne_u64_e32 vcc, 0, v[2:3]
                                        ; implicit-def: $vgpr6_vgpr7
	s_and_saveexec_b64 s[2:3], vcc
	s_xor_b64 s[4:5], exec, s[2:3]
	s_cbranch_execz .LBB75_13
; %bb.12:                               ;   in Loop: Header=BB75_3 Depth=1
	s_ashr_i32 s28, s36, 31
	s_add_u32 s2, s33, s28
	s_mov_b32 s29, s28
	s_addc_u32 s3, s36, s28
	s_xor_b64 s[30:31], s[2:3], s[28:29]
	v_cvt_f32_u32_e32 v3, s30
	v_cvt_f32_u32_e32 v6, s31
	s_sub_u32 s29, 0, s30
	s_subb_u32 s34, 0, s31
	v_ashrrev_i32_e32 v7, 31, v5
	v_mac_f32_e32 v3, 0x4f800000, v6
	v_rcp_f32_e32 v3, v3
	v_mul_f32_e32 v3, 0x5f7ffffc, v3
	v_mul_f32_e32 v6, 0x2f800000, v3
	v_trunc_f32_e32 v6, v6
	v_mac_f32_e32 v3, 0xcf800000, v6
	v_cvt_u32_f32_e32 v6, v6
	v_cvt_u32_f32_e32 v3, v3
	v_readfirstlane_b32 s35, v6
	v_readfirstlane_b32 s2, v3
	s_mul_i32 s3, s29, s35
	s_mul_hi_u32 s41, s29, s2
	s_mul_i32 s40, s34, s2
	s_add_i32 s3, s41, s3
	s_add_i32 s3, s3, s40
	s_mul_i32 s42, s29, s2
	s_mul_i32 s41, s2, s3
	s_mul_hi_u32 s43, s2, s42
	s_mul_hi_u32 s40, s2, s3
	s_add_u32 s41, s43, s41
	s_addc_u32 s40, 0, s40
	s_mul_hi_u32 s44, s35, s42
	s_mul_i32 s42, s35, s42
	s_add_u32 s41, s41, s42
	s_mul_hi_u32 s43, s35, s3
	s_addc_u32 s40, s40, s44
	s_addc_u32 s41, s43, 0
	s_mul_i32 s3, s35, s3
	s_add_u32 s3, s40, s3
	s_addc_u32 s40, 0, s41
	s_add_u32 s41, s2, s3
	s_cselect_b64 s[2:3], -1, 0
	s_cmp_lg_u64 s[2:3], 0
	s_addc_u32 s35, s35, s40
	s_mul_i32 s2, s29, s35
	s_mul_hi_u32 s3, s29, s41
	s_add_i32 s2, s3, s2
	s_mul_i32 s34, s34, s41
	s_add_i32 s2, s2, s34
	s_mul_i32 s29, s29, s41
	s_mul_hi_u32 s34, s35, s29
	s_mul_i32 s40, s35, s29
	s_mul_i32 s43, s41, s2
	s_mul_hi_u32 s29, s41, s29
	s_mul_hi_u32 s42, s41, s2
	s_add_u32 s29, s29, s43
	s_addc_u32 s42, 0, s42
	s_add_u32 s29, s29, s40
	s_mul_hi_u32 s3, s35, s2
	s_addc_u32 s29, s42, s34
	s_addc_u32 s3, s3, 0
	s_mul_i32 s2, s35, s2
	s_add_u32 s2, s29, s2
	s_addc_u32 s29, 0, s3
	s_add_u32 s34, s41, s2
	s_cselect_b64 s[2:3], -1, 0
	s_cmp_lg_u64 s[2:3], 0
	v_add_co_u32_e32 v3, vcc, v4, v7
	s_addc_u32 s29, s35, s29
	v_xor_b32_e32 v8, v3, v7
	v_mad_u64_u32 v[3:4], s[2:3], v8, s29, 0
	v_mul_hi_u32 v6, v8, s34
	v_addc_co_u32_e32 v5, vcc, v5, v7, vcc
	v_xor_b32_e32 v9, v5, v7
	v_add_co_u32_e32 v10, vcc, v6, v3
	v_addc_co_u32_e32 v11, vcc, 0, v4, vcc
	v_mad_u64_u32 v[3:4], s[2:3], v9, s34, 0
	v_mad_u64_u32 v[5:6], s[2:3], v9, s29, 0
	v_add_co_u32_e32 v3, vcc, v10, v3
	v_addc_co_u32_e32 v3, vcc, v11, v4, vcc
	v_addc_co_u32_e32 v4, vcc, 0, v6, vcc
	v_add_co_u32_e32 v5, vcc, v3, v5
	v_addc_co_u32_e32 v3, vcc, 0, v4, vcc
	v_mul_lo_u32 v6, s31, v5
	v_mul_lo_u32 v10, s30, v3
	v_mad_u64_u32 v[3:4], s[2:3], s30, v5, 0
	v_add3_u32 v4, v4, v10, v6
	v_sub_u32_e32 v6, v9, v4
	v_mov_b32_e32 v10, s31
	v_sub_co_u32_e32 v3, vcc, v8, v3
	v_subb_co_u32_e64 v6, s[2:3], v6, v10, vcc
	v_subrev_co_u32_e64 v8, s[2:3], s30, v3
	v_subbrev_co_u32_e64 v6, s[2:3], 0, v6, s[2:3]
	v_cmp_le_u32_e64 s[2:3], s31, v6
	v_subb_co_u32_e32 v4, vcc, v9, v4, vcc
	v_cndmask_b32_e64 v10, 0, -1, s[2:3]
	v_cmp_le_u32_e64 s[2:3], s30, v8
	v_cmp_le_u32_e32 vcc, s31, v4
	v_cndmask_b32_e64 v8, 0, -1, s[2:3]
	v_cmp_eq_u32_e64 s[2:3], s31, v6
	v_cndmask_b32_e64 v9, 0, -1, vcc
	v_cmp_le_u32_e32 vcc, s30, v3
	v_cndmask_b32_e64 v6, v10, v8, s[2:3]
	v_cndmask_b32_e64 v3, 0, -1, vcc
	v_cmp_eq_u32_e32 vcc, s31, v4
	v_add_co_u32_e64 v8, s[2:3], 2, v5
	v_add_co_u32_e64 v10, s[2:3], 1, v5
	v_cndmask_b32_e32 v3, v9, v3, vcc
	v_cmp_ne_u32_e32 vcc, 0, v6
	v_cndmask_b32_e32 v4, v10, v8, vcc
	v_cmp_ne_u32_e32 vcc, 0, v3
	v_cndmask_b32_e32 v3, v5, v4, vcc
	v_xor_b32_e32 v4, s28, v7
	v_xor_b32_e32 v3, v3, v4
	v_sub_co_u32_e32 v6, vcc, v3, v4
                                        ; implicit-def: $vgpr4_vgpr5
.LBB75_13:                              ;   in Loop: Header=BB75_3 Depth=1
	s_andn2_saveexec_b64 s[2:3], s[4:5]
	s_cbranch_execz .LBB75_15
; %bb.14:                               ;   in Loop: Header=BB75_3 Depth=1
	v_cvt_f32_u32_e32 v3, s33
	s_sub_i32 s4, 0, s33
	v_rcp_iflag_f32_e32 v3, v3
	v_mul_f32_e32 v3, 0x4f7ffffe, v3
	v_cvt_u32_f32_e32 v3, v3
	v_mul_lo_u32 v5, s4, v3
	v_mul_hi_u32 v5, v3, v5
	v_add_u32_e32 v3, v3, v5
	v_mul_hi_u32 v3, v4, v3
	v_mul_lo_u32 v5, v3, s33
	v_add_u32_e32 v6, 1, v3
	v_sub_u32_e32 v4, v4, v5
	v_subrev_u32_e32 v5, s33, v4
	v_cmp_le_u32_e32 vcc, s33, v4
	v_cndmask_b32_e32 v4, v4, v5, vcc
	v_cndmask_b32_e32 v3, v3, v6, vcc
	v_add_u32_e32 v5, 1, v3
	v_cmp_le_u32_e32 vcc, s33, v4
	v_cndmask_b32_e32 v6, v3, v5, vcc
.LBB75_15:                              ;   in Loop: Header=BB75_3 Depth=1
	s_or_b64 exec, exec, s[2:3]
	v_ashrrev_i32_e32 v7, 31, v6
	v_cmp_eq_u64_e32 vcc, s[8:9], v[6:7]
	v_mov_b32_e32 v8, v2
	v_cndmask_b32_e64 v3, 0, 1, vcc
	v_sub_co_u32_e32 v3, vcc, v6, v3
	v_subbrev_co_u32_e32 v4, vcc, 0, v7, vcc
	v_mul_lo_u32 v5, v4, s16
	v_mul_lo_u32 v6, v3, s17
	v_mad_u64_u32 v[3:4], s[2:3], v3, s16, 0
	s_mov_b64 s[28:29], 0
	v_add3_u32 v4, v4, v6, v5
	v_lshlrev_b64 v[3:4], 1, v[3:4]
	v_mov_b32_e32 v5, s7
	v_add_co_u32_e32 v3, vcc, s6, v3
	v_addc_co_u32_e32 v4, vcc, v5, v4, vcc
	v_and_b32_e32 v7, 2, v3
	v_sub_co_u32_e32 v5, vcc, 0, v7
	v_subb_co_u32_e64 v6, s[2:3], 0, 0, vcc
	v_add_co_u32_e32 v3, vcc, v3, v5
	v_addc_co_u32_e32 v4, vcc, v4, v6, vcc
	global_load_dword v6, v[3:4], off
	v_cmp_eq_u64_e32 vcc, 0, v[7:8]
	v_cmp_ne_u32_e64 s[2:3], 0, v7
	s_branch .LBB75_17
.LBB75_16:                              ;   in Loop: Header=BB75_17 Depth=2
	s_or_b64 exec, exec, s[4:5]
	global_atomic_cmpswap v5, v[3:4], v[5:6], off glc
	s_waitcnt vmcnt(0)
	v_cmp_eq_u32_e64 s[4:5], v6, v5
	s_or_b64 s[28:29], s[4:5], s[28:29]
	v_mov_b32_e32 v6, v5
	s_andn2_b64 exec, exec, s[28:29]
	s_cbranch_execz .LBB75_2
.LBB75_17:                              ;   Parent Loop BB75_3 Depth=1
                                        ; =>  This Inner Loop Header: Depth=2
	s_waitcnt vmcnt(0)
	v_cndmask_b32_sdwa v5, v6, v6, vcc dst_sel:DWORD dst_unused:UNUSED_PAD src0_sel:WORD_1 src1_sel:DWORD
	v_add_u32_e32 v5, 1, v5
	v_and_b32_e32 v7, 0xffff, v5
	s_and_saveexec_b64 s[4:5], s[2:3]
	s_xor_b64 s[4:5], exec, s[4:5]
; %bb.18:                               ;   in Loop: Header=BB75_17 Depth=2
	v_and_b32_e32 v5, 0xffff, v6
	v_lshl_or_b32 v5, v7, 16, v5
                                        ; implicit-def: $vgpr7
; %bb.19:                               ;   in Loop: Header=BB75_17 Depth=2
	s_andn2_saveexec_b64 s[4:5], s[4:5]
	s_cbranch_execz .LBB75_16
; %bb.20:                               ;   in Loop: Header=BB75_17 Depth=2
	v_and_or_b32 v5, v6, s39, v7
	s_branch .LBB75_16
.LBB75_21:
	s_endpgm
	.section	.rodata,"a",@progbits
	.p2align	6, 0x0
	.amdhsa_kernel _ZN2at4cuda17kernelHistogram1DIsslLi1ELi2ELin1ELNS0_23CUDAHistogramMemoryTypeE1EZNS0_21CUDA_tensor_histogramIssLb0EEEbNS_6TensorES4_S4_lNS_14AccumulateTypeIT0_Lb1EE4typeES8_NS0_13TensorArgTypeES9_S9_EUllE0_EEvNS0_6detail10TensorInfoIT_T1_EESF_NSC_IKS6_SE_EElS8_S8_SE_T6_
		.amdhsa_group_segment_fixed_size 0
		.amdhsa_private_segment_fixed_size 0
		.amdhsa_kernarg_size 1544
		.amdhsa_user_sgpr_count 6
		.amdhsa_user_sgpr_private_segment_buffer 1
		.amdhsa_user_sgpr_dispatch_ptr 0
		.amdhsa_user_sgpr_queue_ptr 0
		.amdhsa_user_sgpr_kernarg_segment_ptr 1
		.amdhsa_user_sgpr_dispatch_id 0
		.amdhsa_user_sgpr_flat_scratch_init 0
		.amdhsa_user_sgpr_private_segment_size 0
		.amdhsa_uses_dynamic_stack 0
		.amdhsa_system_sgpr_private_segment_wavefront_offset 0
		.amdhsa_system_sgpr_workgroup_id_x 1
		.amdhsa_system_sgpr_workgroup_id_y 0
		.amdhsa_system_sgpr_workgroup_id_z 0
		.amdhsa_system_sgpr_workgroup_info 0
		.amdhsa_system_vgpr_workitem_id 0
		.amdhsa_next_free_vgpr 18
		.amdhsa_next_free_sgpr 48
		.amdhsa_reserve_vcc 1
		.amdhsa_reserve_flat_scratch 0
		.amdhsa_float_round_mode_32 0
		.amdhsa_float_round_mode_16_64 0
		.amdhsa_float_denorm_mode_32 3
		.amdhsa_float_denorm_mode_16_64 3
		.amdhsa_dx10_clamp 1
		.amdhsa_ieee_mode 1
		.amdhsa_fp16_overflow 0
		.amdhsa_exception_fp_ieee_invalid_op 0
		.amdhsa_exception_fp_denorm_src 0
		.amdhsa_exception_fp_ieee_div_zero 0
		.amdhsa_exception_fp_ieee_overflow 0
		.amdhsa_exception_fp_ieee_underflow 0
		.amdhsa_exception_fp_ieee_inexact 0
		.amdhsa_exception_int_div_zero 0
	.end_amdhsa_kernel
	.section	.text._ZN2at4cuda17kernelHistogram1DIsslLi1ELi2ELin1ELNS0_23CUDAHistogramMemoryTypeE1EZNS0_21CUDA_tensor_histogramIssLb0EEEbNS_6TensorES4_S4_lNS_14AccumulateTypeIT0_Lb1EE4typeES8_NS0_13TensorArgTypeES9_S9_EUllE0_EEvNS0_6detail10TensorInfoIT_T1_EESF_NSC_IKS6_SE_EElS8_S8_SE_T6_,"axG",@progbits,_ZN2at4cuda17kernelHistogram1DIsslLi1ELi2ELin1ELNS0_23CUDAHistogramMemoryTypeE1EZNS0_21CUDA_tensor_histogramIssLb0EEEbNS_6TensorES4_S4_lNS_14AccumulateTypeIT0_Lb1EE4typeES8_NS0_13TensorArgTypeES9_S9_EUllE0_EEvNS0_6detail10TensorInfoIT_T1_EESF_NSC_IKS6_SE_EElS8_S8_SE_T6_,comdat
.Lfunc_end75:
	.size	_ZN2at4cuda17kernelHistogram1DIsslLi1ELi2ELin1ELNS0_23CUDAHistogramMemoryTypeE1EZNS0_21CUDA_tensor_histogramIssLb0EEEbNS_6TensorES4_S4_lNS_14AccumulateTypeIT0_Lb1EE4typeES8_NS0_13TensorArgTypeES9_S9_EUllE0_EEvNS0_6detail10TensorInfoIT_T1_EESF_NSC_IKS6_SE_EElS8_S8_SE_T6_, .Lfunc_end75-_ZN2at4cuda17kernelHistogram1DIsslLi1ELi2ELin1ELNS0_23CUDAHistogramMemoryTypeE1EZNS0_21CUDA_tensor_histogramIssLb0EEEbNS_6TensorES4_S4_lNS_14AccumulateTypeIT0_Lb1EE4typeES8_NS0_13TensorArgTypeES9_S9_EUllE0_EEvNS0_6detail10TensorInfoIT_T1_EESF_NSC_IKS6_SE_EElS8_S8_SE_T6_
                                        ; -- End function
	.set _ZN2at4cuda17kernelHistogram1DIsslLi1ELi2ELin1ELNS0_23CUDAHistogramMemoryTypeE1EZNS0_21CUDA_tensor_histogramIssLb0EEEbNS_6TensorES4_S4_lNS_14AccumulateTypeIT0_Lb1EE4typeES8_NS0_13TensorArgTypeES9_S9_EUllE0_EEvNS0_6detail10TensorInfoIT_T1_EESF_NSC_IKS6_SE_EElS8_S8_SE_T6_.num_vgpr, 18
	.set _ZN2at4cuda17kernelHistogram1DIsslLi1ELi2ELin1ELNS0_23CUDAHistogramMemoryTypeE1EZNS0_21CUDA_tensor_histogramIssLb0EEEbNS_6TensorES4_S4_lNS_14AccumulateTypeIT0_Lb1EE4typeES8_NS0_13TensorArgTypeES9_S9_EUllE0_EEvNS0_6detail10TensorInfoIT_T1_EESF_NSC_IKS6_SE_EElS8_S8_SE_T6_.num_agpr, 0
	.set _ZN2at4cuda17kernelHistogram1DIsslLi1ELi2ELin1ELNS0_23CUDAHistogramMemoryTypeE1EZNS0_21CUDA_tensor_histogramIssLb0EEEbNS_6TensorES4_S4_lNS_14AccumulateTypeIT0_Lb1EE4typeES8_NS0_13TensorArgTypeES9_S9_EUllE0_EEvNS0_6detail10TensorInfoIT_T1_EESF_NSC_IKS6_SE_EElS8_S8_SE_T6_.numbered_sgpr, 48
	.set _ZN2at4cuda17kernelHistogram1DIsslLi1ELi2ELin1ELNS0_23CUDAHistogramMemoryTypeE1EZNS0_21CUDA_tensor_histogramIssLb0EEEbNS_6TensorES4_S4_lNS_14AccumulateTypeIT0_Lb1EE4typeES8_NS0_13TensorArgTypeES9_S9_EUllE0_EEvNS0_6detail10TensorInfoIT_T1_EESF_NSC_IKS6_SE_EElS8_S8_SE_T6_.num_named_barrier, 0
	.set _ZN2at4cuda17kernelHistogram1DIsslLi1ELi2ELin1ELNS0_23CUDAHistogramMemoryTypeE1EZNS0_21CUDA_tensor_histogramIssLb0EEEbNS_6TensorES4_S4_lNS_14AccumulateTypeIT0_Lb1EE4typeES8_NS0_13TensorArgTypeES9_S9_EUllE0_EEvNS0_6detail10TensorInfoIT_T1_EESF_NSC_IKS6_SE_EElS8_S8_SE_T6_.private_seg_size, 0
	.set _ZN2at4cuda17kernelHistogram1DIsslLi1ELi2ELin1ELNS0_23CUDAHistogramMemoryTypeE1EZNS0_21CUDA_tensor_histogramIssLb0EEEbNS_6TensorES4_S4_lNS_14AccumulateTypeIT0_Lb1EE4typeES8_NS0_13TensorArgTypeES9_S9_EUllE0_EEvNS0_6detail10TensorInfoIT_T1_EESF_NSC_IKS6_SE_EElS8_S8_SE_T6_.uses_vcc, 1
	.set _ZN2at4cuda17kernelHistogram1DIsslLi1ELi2ELin1ELNS0_23CUDAHistogramMemoryTypeE1EZNS0_21CUDA_tensor_histogramIssLb0EEEbNS_6TensorES4_S4_lNS_14AccumulateTypeIT0_Lb1EE4typeES8_NS0_13TensorArgTypeES9_S9_EUllE0_EEvNS0_6detail10TensorInfoIT_T1_EESF_NSC_IKS6_SE_EElS8_S8_SE_T6_.uses_flat_scratch, 0
	.set _ZN2at4cuda17kernelHistogram1DIsslLi1ELi2ELin1ELNS0_23CUDAHistogramMemoryTypeE1EZNS0_21CUDA_tensor_histogramIssLb0EEEbNS_6TensorES4_S4_lNS_14AccumulateTypeIT0_Lb1EE4typeES8_NS0_13TensorArgTypeES9_S9_EUllE0_EEvNS0_6detail10TensorInfoIT_T1_EESF_NSC_IKS6_SE_EElS8_S8_SE_T6_.has_dyn_sized_stack, 0
	.set _ZN2at4cuda17kernelHistogram1DIsslLi1ELi2ELin1ELNS0_23CUDAHistogramMemoryTypeE1EZNS0_21CUDA_tensor_histogramIssLb0EEEbNS_6TensorES4_S4_lNS_14AccumulateTypeIT0_Lb1EE4typeES8_NS0_13TensorArgTypeES9_S9_EUllE0_EEvNS0_6detail10TensorInfoIT_T1_EESF_NSC_IKS6_SE_EElS8_S8_SE_T6_.has_recursion, 0
	.set _ZN2at4cuda17kernelHistogram1DIsslLi1ELi2ELin1ELNS0_23CUDAHistogramMemoryTypeE1EZNS0_21CUDA_tensor_histogramIssLb0EEEbNS_6TensorES4_S4_lNS_14AccumulateTypeIT0_Lb1EE4typeES8_NS0_13TensorArgTypeES9_S9_EUllE0_EEvNS0_6detail10TensorInfoIT_T1_EESF_NSC_IKS6_SE_EElS8_S8_SE_T6_.has_indirect_call, 0
	.section	.AMDGPU.csdata,"",@progbits
; Kernel info:
; codeLenInByte = 2240
; TotalNumSgprs: 52
; NumVgprs: 18
; ScratchSize: 0
; MemoryBound: 0
; FloatMode: 240
; IeeeMode: 1
; LDSByteSize: 0 bytes/workgroup (compile time only)
; SGPRBlocks: 6
; VGPRBlocks: 4
; NumSGPRsForWavesPerEU: 52
; NumVGPRsForWavesPerEU: 18
; Occupancy: 10
; WaveLimiterHint : 1
; COMPUTE_PGM_RSRC2:SCRATCH_EN: 0
; COMPUTE_PGM_RSRC2:USER_SGPR: 6
; COMPUTE_PGM_RSRC2:TRAP_HANDLER: 0
; COMPUTE_PGM_RSRC2:TGID_X_EN: 1
; COMPUTE_PGM_RSRC2:TGID_Y_EN: 0
; COMPUTE_PGM_RSRC2:TGID_Z_EN: 0
; COMPUTE_PGM_RSRC2:TIDIG_COMP_CNT: 0
	.section	.text._ZN2at4cuda17kernelHistogram1DIddlLi1ELi2ELin1ELNS0_23CUDAHistogramMemoryTypeE0EZNS0_21CUDA_tensor_histogramIddLb0EEEbNS_6TensorES4_S4_lNS_14AccumulateTypeIT0_Lb1EE4typeES8_NS0_13TensorArgTypeES9_S9_EUllE_EEvNS0_6detail10TensorInfoIT_T1_EESF_NSC_IKS6_SE_EElS8_S8_SE_T6_,"axG",@progbits,_ZN2at4cuda17kernelHistogram1DIddlLi1ELi2ELin1ELNS0_23CUDAHistogramMemoryTypeE0EZNS0_21CUDA_tensor_histogramIddLb0EEEbNS_6TensorES4_S4_lNS_14AccumulateTypeIT0_Lb1EE4typeES8_NS0_13TensorArgTypeES9_S9_EUllE_EEvNS0_6detail10TensorInfoIT_T1_EESF_NSC_IKS6_SE_EElS8_S8_SE_T6_,comdat
	.protected	_ZN2at4cuda17kernelHistogram1DIddlLi1ELi2ELin1ELNS0_23CUDAHistogramMemoryTypeE0EZNS0_21CUDA_tensor_histogramIddLb0EEEbNS_6TensorES4_S4_lNS_14AccumulateTypeIT0_Lb1EE4typeES8_NS0_13TensorArgTypeES9_S9_EUllE_EEvNS0_6detail10TensorInfoIT_T1_EESF_NSC_IKS6_SE_EElS8_S8_SE_T6_ ; -- Begin function _ZN2at4cuda17kernelHistogram1DIddlLi1ELi2ELin1ELNS0_23CUDAHistogramMemoryTypeE0EZNS0_21CUDA_tensor_histogramIddLb0EEEbNS_6TensorES4_S4_lNS_14AccumulateTypeIT0_Lb1EE4typeES8_NS0_13TensorArgTypeES9_S9_EUllE_EEvNS0_6detail10TensorInfoIT_T1_EESF_NSC_IKS6_SE_EElS8_S8_SE_T6_
	.globl	_ZN2at4cuda17kernelHistogram1DIddlLi1ELi2ELin1ELNS0_23CUDAHistogramMemoryTypeE0EZNS0_21CUDA_tensor_histogramIddLb0EEEbNS_6TensorES4_S4_lNS_14AccumulateTypeIT0_Lb1EE4typeES8_NS0_13TensorArgTypeES9_S9_EUllE_EEvNS0_6detail10TensorInfoIT_T1_EESF_NSC_IKS6_SE_EElS8_S8_SE_T6_
	.p2align	8
	.type	_ZN2at4cuda17kernelHistogram1DIddlLi1ELi2ELin1ELNS0_23CUDAHistogramMemoryTypeE0EZNS0_21CUDA_tensor_histogramIddLb0EEEbNS_6TensorES4_S4_lNS_14AccumulateTypeIT0_Lb1EE4typeES8_NS0_13TensorArgTypeES9_S9_EUllE_EEvNS0_6detail10TensorInfoIT_T1_EESF_NSC_IKS6_SE_EElS8_S8_SE_T6_,@function
_ZN2at4cuda17kernelHistogram1DIddlLi1ELi2ELin1ELNS0_23CUDAHistogramMemoryTypeE0EZNS0_21CUDA_tensor_histogramIddLb0EEEbNS_6TensorES4_S4_lNS_14AccumulateTypeIT0_Lb1EE4typeES8_NS0_13TensorArgTypeES9_S9_EUllE_EEvNS0_6detail10TensorInfoIT_T1_EESF_NSC_IKS6_SE_EElS8_S8_SE_T6_: ; @_ZN2at4cuda17kernelHistogram1DIddlLi1ELi2ELin1ELNS0_23CUDAHistogramMemoryTypeE0EZNS0_21CUDA_tensor_histogramIddLb0EEEbNS_6TensorES4_S4_lNS_14AccumulateTypeIT0_Lb1EE4typeES8_NS0_13TensorArgTypeES9_S9_EUllE_EEvNS0_6detail10TensorInfoIT_T1_EESF_NSC_IKS6_SE_EElS8_S8_SE_T6_
; %bb.0:
	s_load_dwordx4 s[16:19], s[4:5], 0x0
	s_load_dwordx2 s[22:23], s[4:5], 0x500
	s_load_dwordx8 s[8:15], s[4:5], 0x4e0
	v_mov_b32_e32 v1, 0
	s_add_u32 s2, s4, 0x6a0
	s_waitcnt lgkmcnt(0)
	v_cmp_gt_i64_e64 s[0:1], s[18:19], v[0:1]
	v_cmp_le_i64_e32 vcc, s[18:19], v[0:1]
	s_addc_u32 s3, s5, 0
                                        ; implicit-def: $sgpr28
                                        ; implicit-def: $sgpr7
	s_and_saveexec_b64 s[20:21], vcc
	s_xor_b64 s[20:21], exec, s[20:21]
	s_cbranch_execz .LBB76_2
; %bb.1:
	s_load_dword s28, s[2:3], 0xc
	s_waitcnt lgkmcnt(0)
	s_and_b32 s7, s28, 0xffff
.LBB76_2:
	s_or_saveexec_b64 s[26:27], s[20:21]
	s_load_dwordx2 s[20:21], s[4:5], 0xd0
	s_load_dwordx2 s[24:25], s[4:5], 0x5d0
	v_mov_b32_e32 v16, s28
	v_mov_b32_e32 v5, s7
	s_xor_b64 exec, exec, s[26:27]
	s_cbranch_execz .LBB76_6
; %bb.3:
	s_load_dword s7, s[2:3], 0xc
	v_mov_b32_e32 v2, 0
	v_mov_b32_e32 v5, v1
	v_lshl_add_u32 v6, v0, 3, 0
	s_mov_b64 s[28:29], 0
	s_waitcnt lgkmcnt(0)
	s_and_b32 s30, s7, 0xffff
	v_mov_b32_e32 v3, v2
	s_lshl_b32 s31, s30, 3
	v_mov_b32_e32 v4, v0
.LBB76_4:                               ; =>This Inner Loop Header: Depth=1
	v_add_co_u32_e32 v4, vcc, s30, v4
	v_addc_co_u32_e32 v5, vcc, 0, v5, vcc
	v_cmp_le_i64_e32 vcc, s[18:19], v[4:5]
	ds_write_b64 v6, v[2:3]
	s_or_b64 s[28:29], vcc, s[28:29]
	v_add_u32_e32 v6, s31, v6
	s_andn2_b64 exec, exec, s[28:29]
	s_cbranch_execnz .LBB76_4
; %bb.5:
	s_or_b64 exec, exec, s[28:29]
	v_mov_b32_e32 v16, s7
	v_mov_b32_e32 v5, s30
.LBB76_6:
	s_or_b64 exec, exec, s[26:27]
	v_mad_u64_u32 v[2:3], s[6:7], s6, v5, v[0:1]
	v_mov_b32_e32 v4, 0
	v_mov_b32_e32 v3, v4
	v_cmp_gt_i64_e32 vcc, s[14:15], v[2:3]
	s_waitcnt lgkmcnt(0)
	s_barrier
	s_and_saveexec_b64 s[6:7], vcc
	s_cbranch_execz .LBB76_19
; %bb.7:
	v_cvt_f64_i32_e32 v[6:7], s9
	v_cvt_f64_u32_e32 v[8:9], s8
	s_load_dword s31, s[2:3], 0x0
	s_load_dword s34, s[4:5], 0x4d8
	s_load_dwordx2 s[26:27], s[4:5], 0x410
	s_load_dwordx2 s[28:29], s[4:5], 0x340
	v_ldexp_f64 v[6:7], v[6:7], 32
	v_mov_b32_e32 v10, s10
	s_add_u32 s30, s4, 0x340
	v_mov_b32_e32 v11, s11
	s_addc_u32 s35, s5, 0
	s_waitcnt lgkmcnt(0)
	s_cmp_gt_i32 s34, 1
	s_cselect_b64 s[2:3], -1, 0
	s_mov_b32 s5, 0
	v_add_f64 v[6:7], v[6:7], v[8:9]
	v_add_f64 v[8:9], s[12:13], -v[10:11]
	s_add_i32 s4, s34, -1
	s_add_i32 s33, s34, 1
	s_lshl_b64 s[4:5], s[4:5], 3
	v_mul_lo_u32 v17, s31, v5
	s_add_u32 s4, s30, s4
	s_addc_u32 s5, s35, s5
	s_add_u32 s30, s4, 8
	v_cndmask_b32_e64 v5, 0, 1, s[2:3]
	s_addc_u32 s31, s5, 0
	s_mov_b64 s[34:35], 0
	v_cmp_ne_u32_e64 s[2:3], 1, v5
	s_branch .LBB76_9
.LBB76_8:                               ;   in Loop: Header=BB76_9 Depth=1
	s_or_b64 exec, exec, s[4:5]
	v_add_co_u32_e32 v2, vcc, v2, v17
	v_addc_co_u32_e32 v3, vcc, 0, v3, vcc
	v_cmp_le_i64_e32 vcc, s[14:15], v[2:3]
	s_or_b64 s[34:35], vcc, s[34:35]
	s_andn2_b64 exec, exec, s[34:35]
	s_cbranch_execz .LBB76_19
.LBB76_9:                               ; =>This Loop Header: Depth=1
                                        ;     Child Loop BB76_10 Depth 2
                                        ;     Child Loop BB76_18 Depth 2
	v_mov_b32_e32 v10, 0
	v_mov_b32_e32 v13, v3
	;; [unrolled: 1-line block ×4, first 2 shown]
	s_and_b64 vcc, exec, s[2:3]
	s_mov_b64 s[36:37], s[30:31]
	s_mov_b32 s46, s33
	v_mov_b32_e32 v12, v2
	v_mov_b32_e32 v14, v2
	s_cbranch_vccnz .LBB76_16
.LBB76_10:                              ;   Parent Loop BB76_9 Depth=1
                                        ; =>  This Inner Loop Header: Depth=2
	s_load_dwordx2 s[38:39], s[36:37], 0x0
                                        ; implicit-def: $vgpr14_vgpr15
	s_waitcnt lgkmcnt(0)
	v_or_b32_e32 v5, s39, v13
	v_cmp_ne_u64_e32 vcc, 0, v[4:5]
	s_and_saveexec_b64 s[4:5], vcc
	s_xor_b64 s[40:41], exec, s[4:5]
	s_cbranch_execz .LBB76_12
; %bb.11:                               ;   in Loop: Header=BB76_10 Depth=2
	s_ashr_i32 s42, s39, 31
	s_add_u32 s4, s38, s42
	s_mov_b32 s43, s42
	s_addc_u32 s5, s39, s42
	s_xor_b64 s[44:45], s[4:5], s[42:43]
	v_cvt_f32_u32_e32 v5, s44
	v_cvt_f32_u32_e32 v14, s45
	s_sub_u32 s43, 0, s44
	s_subb_u32 s47, 0, s45
	v_mac_f32_e32 v5, 0x4f800000, v14
	v_rcp_f32_e32 v5, v5
	v_mul_f32_e32 v5, 0x5f7ffffc, v5
	v_mul_f32_e32 v14, 0x2f800000, v5
	v_trunc_f32_e32 v14, v14
	v_mac_f32_e32 v5, 0xcf800000, v14
	v_cvt_u32_f32_e32 v14, v14
	v_cvt_u32_f32_e32 v5, v5
	v_readfirstlane_b32 s48, v14
	v_readfirstlane_b32 s4, v5
	s_mul_i32 s5, s43, s48
	s_mul_hi_u32 s50, s43, s4
	s_mul_i32 s49, s47, s4
	s_add_i32 s5, s50, s5
	s_add_i32 s5, s5, s49
	s_mul_i32 s51, s43, s4
	s_mul_i32 s50, s4, s5
	s_mul_hi_u32 s52, s4, s51
	s_mul_hi_u32 s49, s4, s5
	s_add_u32 s50, s52, s50
	s_addc_u32 s49, 0, s49
	s_mul_hi_u32 s53, s48, s51
	s_mul_i32 s51, s48, s51
	s_add_u32 s50, s50, s51
	s_mul_hi_u32 s52, s48, s5
	s_addc_u32 s49, s49, s53
	s_addc_u32 s50, s52, 0
	s_mul_i32 s5, s48, s5
	s_add_u32 s5, s49, s5
	s_addc_u32 s49, 0, s50
	s_add_u32 s50, s4, s5
	s_cselect_b64 s[4:5], -1, 0
	s_cmp_lg_u64 s[4:5], 0
	s_addc_u32 s48, s48, s49
	s_mul_i32 s4, s43, s48
	s_mul_hi_u32 s5, s43, s50
	s_add_i32 s4, s5, s4
	s_mul_i32 s47, s47, s50
	s_add_i32 s4, s4, s47
	s_mul_i32 s43, s43, s50
	s_mul_hi_u32 s47, s48, s43
	s_mul_i32 s49, s48, s43
	s_mul_i32 s52, s50, s4
	s_mul_hi_u32 s43, s50, s43
	s_mul_hi_u32 s51, s50, s4
	s_add_u32 s43, s43, s52
	s_addc_u32 s51, 0, s51
	s_add_u32 s43, s43, s49
	s_mul_hi_u32 s5, s48, s4
	s_addc_u32 s43, s51, s47
	s_addc_u32 s5, s5, 0
	s_mul_i32 s4, s48, s4
	s_add_u32 s4, s43, s4
	s_addc_u32 s43, 0, s5
	s_add_u32 s47, s50, s4
	s_cselect_b64 s[4:5], -1, 0
	v_ashrrev_i32_e32 v5, 31, v13
	s_cmp_lg_u64 s[4:5], 0
	v_add_co_u32_e32 v14, vcc, v12, v5
	s_addc_u32 s43, s48, s43
	v_xor_b32_e32 v20, v14, v5
	v_mad_u64_u32 v[14:15], s[4:5], v20, s43, 0
	v_mul_hi_u32 v19, v20, s47
	v_addc_co_u32_e32 v18, vcc, v13, v5, vcc
	v_xor_b32_e32 v21, v18, v5
	v_add_co_u32_e32 v22, vcc, v19, v14
	v_addc_co_u32_e32 v23, vcc, 0, v15, vcc
	v_mad_u64_u32 v[14:15], s[4:5], v21, s47, 0
	v_mad_u64_u32 v[18:19], s[4:5], v21, s43, 0
	v_add_co_u32_e32 v14, vcc, v22, v14
	v_addc_co_u32_e32 v14, vcc, v23, v15, vcc
	v_addc_co_u32_e32 v15, vcc, 0, v19, vcc
	v_add_co_u32_e32 v18, vcc, v14, v18
	v_addc_co_u32_e32 v19, vcc, 0, v15, vcc
	v_mul_lo_u32 v22, s45, v18
	v_mul_lo_u32 v23, s44, v19
	v_mad_u64_u32 v[14:15], s[4:5], s44, v18, 0
	v_xor_b32_e32 v5, s42, v5
	v_add3_u32 v15, v15, v23, v22
	v_sub_u32_e32 v22, v21, v15
	v_mov_b32_e32 v23, s45
	v_sub_co_u32_e32 v14, vcc, v20, v14
	v_subb_co_u32_e64 v20, s[4:5], v22, v23, vcc
	v_subrev_co_u32_e64 v22, s[4:5], s44, v14
	v_subbrev_co_u32_e64 v20, s[4:5], 0, v20, s[4:5]
	v_cmp_le_u32_e64 s[4:5], s45, v20
	v_cndmask_b32_e64 v23, 0, -1, s[4:5]
	v_cmp_le_u32_e64 s[4:5], s44, v22
	v_cndmask_b32_e64 v22, 0, -1, s[4:5]
	v_cmp_eq_u32_e64 s[4:5], s45, v20
	v_cndmask_b32_e64 v20, v23, v22, s[4:5]
	v_add_co_u32_e64 v22, s[4:5], 2, v18
	v_subb_co_u32_e32 v15, vcc, v21, v15, vcc
	v_addc_co_u32_e64 v23, s[4:5], 0, v19, s[4:5]
	v_cmp_le_u32_e32 vcc, s45, v15
	v_add_co_u32_e64 v24, s[4:5], 1, v18
	v_cndmask_b32_e64 v21, 0, -1, vcc
	v_cmp_le_u32_e32 vcc, s44, v14
	v_addc_co_u32_e64 v25, s[4:5], 0, v19, s[4:5]
	v_cndmask_b32_e64 v14, 0, -1, vcc
	v_cmp_eq_u32_e32 vcc, s45, v15
	v_cmp_ne_u32_e64 s[4:5], 0, v20
	v_cndmask_b32_e32 v14, v21, v14, vcc
	v_cndmask_b32_e64 v20, v25, v23, s[4:5]
	v_cmp_ne_u32_e32 vcc, 0, v14
	v_cndmask_b32_e64 v15, v24, v22, s[4:5]
	v_cndmask_b32_e32 v14, v19, v20, vcc
	v_cndmask_b32_e32 v15, v18, v15, vcc
	v_xor_b32_e32 v18, v14, v5
	v_xor_b32_e32 v14, v15, v5
	v_sub_co_u32_e32 v14, vcc, v14, v5
	v_subb_co_u32_e32 v15, vcc, v18, v5, vcc
.LBB76_12:                              ;   in Loop: Header=BB76_10 Depth=2
	s_andn2_saveexec_b64 s[4:5], s[40:41]
	s_cbranch_execz .LBB76_14
; %bb.13:                               ;   in Loop: Header=BB76_10 Depth=2
	v_cvt_f32_u32_e32 v5, s38
	s_sub_i32 s40, 0, s38
	v_rcp_iflag_f32_e32 v5, v5
	v_mul_f32_e32 v5, 0x4f7ffffe, v5
	v_cvt_u32_f32_e32 v5, v5
	v_mul_lo_u32 v14, s40, v5
	v_mul_hi_u32 v14, v5, v14
	v_add_u32_e32 v5, v5, v14
	v_mul_hi_u32 v5, v12, v5
	v_mul_lo_u32 v14, v5, s38
	v_add_u32_e32 v15, 1, v5
	v_sub_u32_e32 v14, v12, v14
	v_subrev_u32_e32 v18, s38, v14
	v_cmp_le_u32_e32 vcc, s38, v14
	v_cndmask_b32_e32 v14, v14, v18, vcc
	v_cndmask_b32_e32 v5, v5, v15, vcc
	v_add_u32_e32 v15, 1, v5
	v_cmp_le_u32_e32 vcc, s38, v14
	v_cndmask_b32_e32 v14, v5, v15, vcc
	v_mov_b32_e32 v15, v4
.LBB76_14:                              ;   in Loop: Header=BB76_10 Depth=2
	s_or_b64 exec, exec, s[4:5]
	v_mul_lo_u32 v5, v15, s38
	v_mul_lo_u32 v20, v14, s39
	v_mad_u64_u32 v[18:19], s[4:5], v14, s38, 0
	s_load_dwordx2 s[4:5], s[36:37], 0xc8
	s_add_i32 s46, s46, -1
	v_add3_u32 v5, v19, v20, v5
	v_sub_co_u32_e32 v12, vcc, v12, v18
	v_subb_co_u32_e32 v5, vcc, v13, v5, vcc
	s_waitcnt lgkmcnt(0)
	v_mul_lo_u32 v5, s4, v5
	v_mul_lo_u32 v13, s5, v12
	v_mad_u64_u32 v[10:11], s[4:5], s4, v12, v[10:11]
	s_add_u32 s36, s36, -8
	s_addc_u32 s37, s37, -1
	s_cmp_gt_u32 s46, 2
	v_add3_u32 v11, v13, v11, v5
	s_cbranch_scc0 .LBB76_16
; %bb.15:                               ;   in Loop: Header=BB76_10 Depth=2
	v_mov_b32_e32 v12, v14
	v_mov_b32_e32 v13, v15
	s_branch .LBB76_10
.LBB76_16:                              ;   in Loop: Header=BB76_9 Depth=1
	v_mul_lo_u32 v5, s27, v14
	v_mul_lo_u32 v15, s26, v15
	v_mad_u64_u32 v[12:13], s[4:5], s26, v14, 0
	v_lshlrev_b64 v[10:11], 3, v[10:11]
	v_add3_u32 v13, v13, v15, v5
	v_lshlrev_b64 v[12:13], 3, v[12:13]
	v_mov_b32_e32 v5, s29
	v_add_co_u32_e32 v12, vcc, s28, v12
	v_addc_co_u32_e32 v5, vcc, v5, v13, vcc
	v_add_co_u32_e32 v10, vcc, v12, v10
	v_addc_co_u32_e32 v11, vcc, v5, v11, vcc
	global_load_dwordx2 v[10:11], v[10:11], off
	s_waitcnt vmcnt(0)
	v_cmp_le_f64_e32 vcc, s[10:11], v[10:11]
	v_cmp_ge_f64_e64 s[4:5], s[12:13], v[10:11]
	s_and_b64 s[36:37], vcc, s[4:5]
	s_and_saveexec_b64 s[4:5], s[36:37]
	s_cbranch_execz .LBB76_8
; %bb.17:                               ;   in Loop: Header=BB76_9 Depth=1
	v_add_f64 v[10:11], v[10:11], -s[10:11]
	v_mul_lo_u32 v5, v3, s24
	v_mul_lo_u32 v22, v2, s25
	v_mov_b32_e32 v23, s23
	v_mul_f64 v[12:13], v[10:11], v[6:7]
	v_mad_u64_u32 v[10:11], s[36:37], v2, s24, 0
	v_add3_u32 v11, v11, v22, v5
	v_lshlrev_b64 v[10:11], 3, v[10:11]
	v_add_co_u32_e32 v10, vcc, s22, v10
	v_div_scale_f64 v[14:15], s[36:37], v[8:9], v[8:9], v[12:13]
	v_addc_co_u32_e32 v11, vcc, v23, v11, vcc
	global_load_dwordx2 v[10:11], v[10:11], off
	s_mov_b64 s[36:37], 0
	v_rcp_f64_e32 v[18:19], v[14:15]
	v_fma_f64 v[20:21], -v[14:15], v[18:19], 1.0
	v_fma_f64 v[18:19], v[18:19], v[20:21], v[18:19]
	v_div_scale_f64 v[20:21], vcc, v[12:13], v[8:9], v[12:13]
	v_fma_f64 v[22:23], -v[14:15], v[18:19], 1.0
	v_fma_f64 v[18:19], v[18:19], v[22:23], v[18:19]
	v_mul_f64 v[22:23], v[20:21], v[18:19]
	v_fma_f64 v[14:15], -v[14:15], v[22:23], v[20:21]
	v_div_fmas_f64 v[14:15], v[14:15], v[18:19], v[22:23]
	v_div_fixup_f64 v[12:13], v[14:15], v[8:9], v[12:13]
	v_cvt_i32_f64_e32 v12, v[12:13]
	v_ashrrev_i32_e32 v13, 31, v12
	v_cmp_eq_u64_e32 vcc, s[8:9], v[12:13]
	v_lshlrev_b32_e32 v12, 3, v12
	v_cndmask_b32_e64 v5, 0, -1, vcc
	v_lshlrev_b32_e32 v5, 3, v5
	v_add3_u32 v5, 0, v5, v12
	ds_read_b64 v[12:13], v5
.LBB76_18:                              ;   Parent Loop BB76_9 Depth=1
                                        ; =>  This Inner Loop Header: Depth=2
	s_waitcnt vmcnt(0) lgkmcnt(0)
	v_add_f64 v[14:15], v[12:13], v[10:11]
	ds_cmpst_rtn_b64 v[14:15], v5, v[12:13], v[14:15]
	s_waitcnt lgkmcnt(0)
	v_cmp_eq_u64_e32 vcc, v[14:15], v[12:13]
	v_mov_b32_e32 v12, v14
	s_or_b64 s[36:37], vcc, s[36:37]
	v_mov_b32_e32 v13, v15
	s_andn2_b64 exec, exec, s[36:37]
	s_cbranch_execnz .LBB76_18
	s_branch .LBB76_8
.LBB76_19:
	s_or_b64 exec, exec, s[6:7]
; %bb.20:
	s_barrier
	s_and_saveexec_b64 s[2:3], s[0:1]
	s_cbranch_execz .LBB76_25
; %bb.21:
	v_and_b32_e32 v10, 0xffff, v16
	s_mov_b64 s[0:1], 0
	v_mov_b32_e32 v11, s17
.LBB76_22:                              ; =>This Loop Header: Depth=1
                                        ;     Child Loop BB76_23 Depth 2
	v_mul_lo_u32 v4, v1, s20
	v_mul_lo_u32 v5, v0, s21
	v_mad_u64_u32 v[2:3], s[2:3], v0, s20, 0
	s_mov_b64 s[2:3], 0
	v_add3_u32 v3, v3, v5, v4
	v_lshlrev_b64 v[2:3], 3, v[2:3]
	v_add_co_u32_e32 v6, vcc, s16, v2
	v_addc_co_u32_e32 v7, vcc, v11, v3, vcc
	global_load_dwordx2 v[4:5], v[6:7], off
	v_lshl_add_u32 v2, v0, 3, 0
	ds_read_b64 v[8:9], v2
.LBB76_23:                              ;   Parent Loop BB76_22 Depth=1
                                        ; =>  This Inner Loop Header: Depth=2
	s_waitcnt vmcnt(0) lgkmcnt(0)
	v_add_f64 v[2:3], v[4:5], v[8:9]
	global_atomic_cmpswap_x2 v[2:3], v[6:7], v[2:5], off glc
	s_waitcnt vmcnt(0)
	v_cmp_eq_u64_e32 vcc, v[2:3], v[4:5]
	v_mov_b32_e32 v5, v3
	s_or_b64 s[2:3], vcc, s[2:3]
	v_mov_b32_e32 v4, v2
	s_andn2_b64 exec, exec, s[2:3]
	s_cbranch_execnz .LBB76_23
; %bb.24:                               ;   in Loop: Header=BB76_22 Depth=1
	s_or_b64 exec, exec, s[2:3]
	v_add_co_u32_e32 v0, vcc, v0, v10
	v_addc_co_u32_e32 v1, vcc, 0, v1, vcc
	v_cmp_le_i64_e32 vcc, s[18:19], v[0:1]
	s_or_b64 s[0:1], vcc, s[0:1]
	s_andn2_b64 exec, exec, s[0:1]
	s_cbranch_execnz .LBB76_22
.LBB76_25:
	s_endpgm
	.section	.rodata,"a",@progbits
	.p2align	6, 0x0
	.amdhsa_kernel _ZN2at4cuda17kernelHistogram1DIddlLi1ELi2ELin1ELNS0_23CUDAHistogramMemoryTypeE0EZNS0_21CUDA_tensor_histogramIddLb0EEEbNS_6TensorES4_S4_lNS_14AccumulateTypeIT0_Lb1EE4typeES8_NS0_13TensorArgTypeES9_S9_EUllE_EEvNS0_6detail10TensorInfoIT_T1_EESF_NSC_IKS6_SE_EElS8_S8_SE_T6_
		.amdhsa_group_segment_fixed_size 0
		.amdhsa_private_segment_fixed_size 0
		.amdhsa_kernarg_size 1952
		.amdhsa_user_sgpr_count 6
		.amdhsa_user_sgpr_private_segment_buffer 1
		.amdhsa_user_sgpr_dispatch_ptr 0
		.amdhsa_user_sgpr_queue_ptr 0
		.amdhsa_user_sgpr_kernarg_segment_ptr 1
		.amdhsa_user_sgpr_dispatch_id 0
		.amdhsa_user_sgpr_flat_scratch_init 0
		.amdhsa_user_sgpr_private_segment_size 0
		.amdhsa_uses_dynamic_stack 0
		.amdhsa_system_sgpr_private_segment_wavefront_offset 0
		.amdhsa_system_sgpr_workgroup_id_x 1
		.amdhsa_system_sgpr_workgroup_id_y 0
		.amdhsa_system_sgpr_workgroup_id_z 0
		.amdhsa_system_sgpr_workgroup_info 0
		.amdhsa_system_vgpr_workitem_id 0
		.amdhsa_next_free_vgpr 26
		.amdhsa_next_free_sgpr 54
		.amdhsa_reserve_vcc 1
		.amdhsa_reserve_flat_scratch 0
		.amdhsa_float_round_mode_32 0
		.amdhsa_float_round_mode_16_64 0
		.amdhsa_float_denorm_mode_32 3
		.amdhsa_float_denorm_mode_16_64 3
		.amdhsa_dx10_clamp 1
		.amdhsa_ieee_mode 1
		.amdhsa_fp16_overflow 0
		.amdhsa_exception_fp_ieee_invalid_op 0
		.amdhsa_exception_fp_denorm_src 0
		.amdhsa_exception_fp_ieee_div_zero 0
		.amdhsa_exception_fp_ieee_overflow 0
		.amdhsa_exception_fp_ieee_underflow 0
		.amdhsa_exception_fp_ieee_inexact 0
		.amdhsa_exception_int_div_zero 0
	.end_amdhsa_kernel
	.section	.text._ZN2at4cuda17kernelHistogram1DIddlLi1ELi2ELin1ELNS0_23CUDAHistogramMemoryTypeE0EZNS0_21CUDA_tensor_histogramIddLb0EEEbNS_6TensorES4_S4_lNS_14AccumulateTypeIT0_Lb1EE4typeES8_NS0_13TensorArgTypeES9_S9_EUllE_EEvNS0_6detail10TensorInfoIT_T1_EESF_NSC_IKS6_SE_EElS8_S8_SE_T6_,"axG",@progbits,_ZN2at4cuda17kernelHistogram1DIddlLi1ELi2ELin1ELNS0_23CUDAHistogramMemoryTypeE0EZNS0_21CUDA_tensor_histogramIddLb0EEEbNS_6TensorES4_S4_lNS_14AccumulateTypeIT0_Lb1EE4typeES8_NS0_13TensorArgTypeES9_S9_EUllE_EEvNS0_6detail10TensorInfoIT_T1_EESF_NSC_IKS6_SE_EElS8_S8_SE_T6_,comdat
.Lfunc_end76:
	.size	_ZN2at4cuda17kernelHistogram1DIddlLi1ELi2ELin1ELNS0_23CUDAHistogramMemoryTypeE0EZNS0_21CUDA_tensor_histogramIddLb0EEEbNS_6TensorES4_S4_lNS_14AccumulateTypeIT0_Lb1EE4typeES8_NS0_13TensorArgTypeES9_S9_EUllE_EEvNS0_6detail10TensorInfoIT_T1_EESF_NSC_IKS6_SE_EElS8_S8_SE_T6_, .Lfunc_end76-_ZN2at4cuda17kernelHistogram1DIddlLi1ELi2ELin1ELNS0_23CUDAHistogramMemoryTypeE0EZNS0_21CUDA_tensor_histogramIddLb0EEEbNS_6TensorES4_S4_lNS_14AccumulateTypeIT0_Lb1EE4typeES8_NS0_13TensorArgTypeES9_S9_EUllE_EEvNS0_6detail10TensorInfoIT_T1_EESF_NSC_IKS6_SE_EElS8_S8_SE_T6_
                                        ; -- End function
	.set _ZN2at4cuda17kernelHistogram1DIddlLi1ELi2ELin1ELNS0_23CUDAHistogramMemoryTypeE0EZNS0_21CUDA_tensor_histogramIddLb0EEEbNS_6TensorES4_S4_lNS_14AccumulateTypeIT0_Lb1EE4typeES8_NS0_13TensorArgTypeES9_S9_EUllE_EEvNS0_6detail10TensorInfoIT_T1_EESF_NSC_IKS6_SE_EElS8_S8_SE_T6_.num_vgpr, 26
	.set _ZN2at4cuda17kernelHistogram1DIddlLi1ELi2ELin1ELNS0_23CUDAHistogramMemoryTypeE0EZNS0_21CUDA_tensor_histogramIddLb0EEEbNS_6TensorES4_S4_lNS_14AccumulateTypeIT0_Lb1EE4typeES8_NS0_13TensorArgTypeES9_S9_EUllE_EEvNS0_6detail10TensorInfoIT_T1_EESF_NSC_IKS6_SE_EElS8_S8_SE_T6_.num_agpr, 0
	.set _ZN2at4cuda17kernelHistogram1DIddlLi1ELi2ELin1ELNS0_23CUDAHistogramMemoryTypeE0EZNS0_21CUDA_tensor_histogramIddLb0EEEbNS_6TensorES4_S4_lNS_14AccumulateTypeIT0_Lb1EE4typeES8_NS0_13TensorArgTypeES9_S9_EUllE_EEvNS0_6detail10TensorInfoIT_T1_EESF_NSC_IKS6_SE_EElS8_S8_SE_T6_.numbered_sgpr, 54
	.set _ZN2at4cuda17kernelHistogram1DIddlLi1ELi2ELin1ELNS0_23CUDAHistogramMemoryTypeE0EZNS0_21CUDA_tensor_histogramIddLb0EEEbNS_6TensorES4_S4_lNS_14AccumulateTypeIT0_Lb1EE4typeES8_NS0_13TensorArgTypeES9_S9_EUllE_EEvNS0_6detail10TensorInfoIT_T1_EESF_NSC_IKS6_SE_EElS8_S8_SE_T6_.num_named_barrier, 0
	.set _ZN2at4cuda17kernelHistogram1DIddlLi1ELi2ELin1ELNS0_23CUDAHistogramMemoryTypeE0EZNS0_21CUDA_tensor_histogramIddLb0EEEbNS_6TensorES4_S4_lNS_14AccumulateTypeIT0_Lb1EE4typeES8_NS0_13TensorArgTypeES9_S9_EUllE_EEvNS0_6detail10TensorInfoIT_T1_EESF_NSC_IKS6_SE_EElS8_S8_SE_T6_.private_seg_size, 0
	.set _ZN2at4cuda17kernelHistogram1DIddlLi1ELi2ELin1ELNS0_23CUDAHistogramMemoryTypeE0EZNS0_21CUDA_tensor_histogramIddLb0EEEbNS_6TensorES4_S4_lNS_14AccumulateTypeIT0_Lb1EE4typeES8_NS0_13TensorArgTypeES9_S9_EUllE_EEvNS0_6detail10TensorInfoIT_T1_EESF_NSC_IKS6_SE_EElS8_S8_SE_T6_.uses_vcc, 1
	.set _ZN2at4cuda17kernelHistogram1DIddlLi1ELi2ELin1ELNS0_23CUDAHistogramMemoryTypeE0EZNS0_21CUDA_tensor_histogramIddLb0EEEbNS_6TensorES4_S4_lNS_14AccumulateTypeIT0_Lb1EE4typeES8_NS0_13TensorArgTypeES9_S9_EUllE_EEvNS0_6detail10TensorInfoIT_T1_EESF_NSC_IKS6_SE_EElS8_S8_SE_T6_.uses_flat_scratch, 0
	.set _ZN2at4cuda17kernelHistogram1DIddlLi1ELi2ELin1ELNS0_23CUDAHistogramMemoryTypeE0EZNS0_21CUDA_tensor_histogramIddLb0EEEbNS_6TensorES4_S4_lNS_14AccumulateTypeIT0_Lb1EE4typeES8_NS0_13TensorArgTypeES9_S9_EUllE_EEvNS0_6detail10TensorInfoIT_T1_EESF_NSC_IKS6_SE_EElS8_S8_SE_T6_.has_dyn_sized_stack, 0
	.set _ZN2at4cuda17kernelHistogram1DIddlLi1ELi2ELin1ELNS0_23CUDAHistogramMemoryTypeE0EZNS0_21CUDA_tensor_histogramIddLb0EEEbNS_6TensorES4_S4_lNS_14AccumulateTypeIT0_Lb1EE4typeES8_NS0_13TensorArgTypeES9_S9_EUllE_EEvNS0_6detail10TensorInfoIT_T1_EESF_NSC_IKS6_SE_EElS8_S8_SE_T6_.has_recursion, 0
	.set _ZN2at4cuda17kernelHistogram1DIddlLi1ELi2ELin1ELNS0_23CUDAHistogramMemoryTypeE0EZNS0_21CUDA_tensor_histogramIddLb0EEEbNS_6TensorES4_S4_lNS_14AccumulateTypeIT0_Lb1EE4typeES8_NS0_13TensorArgTypeES9_S9_EUllE_EEvNS0_6detail10TensorInfoIT_T1_EESF_NSC_IKS6_SE_EElS8_S8_SE_T6_.has_indirect_call, 0
	.section	.AMDGPU.csdata,"",@progbits
; Kernel info:
; codeLenInByte = 1908
; TotalNumSgprs: 58
; NumVgprs: 26
; ScratchSize: 0
; MemoryBound: 0
; FloatMode: 240
; IeeeMode: 1
; LDSByteSize: 0 bytes/workgroup (compile time only)
; SGPRBlocks: 7
; VGPRBlocks: 6
; NumSGPRsForWavesPerEU: 58
; NumVGPRsForWavesPerEU: 26
; Occupancy: 9
; WaveLimiterHint : 1
; COMPUTE_PGM_RSRC2:SCRATCH_EN: 0
; COMPUTE_PGM_RSRC2:USER_SGPR: 6
; COMPUTE_PGM_RSRC2:TRAP_HANDLER: 0
; COMPUTE_PGM_RSRC2:TGID_X_EN: 1
; COMPUTE_PGM_RSRC2:TGID_Y_EN: 0
; COMPUTE_PGM_RSRC2:TGID_Z_EN: 0
; COMPUTE_PGM_RSRC2:TIDIG_COMP_CNT: 0
	.section	.text._ZN2at4cuda17kernelHistogram1DIddlLi1ELi2ELin1ELNS0_23CUDAHistogramMemoryTypeE1EZNS0_21CUDA_tensor_histogramIddLb0EEEbNS_6TensorES4_S4_lNS_14AccumulateTypeIT0_Lb1EE4typeES8_NS0_13TensorArgTypeES9_S9_EUllE_EEvNS0_6detail10TensorInfoIT_T1_EESF_NSC_IKS6_SE_EElS8_S8_SE_T6_,"axG",@progbits,_ZN2at4cuda17kernelHistogram1DIddlLi1ELi2ELin1ELNS0_23CUDAHistogramMemoryTypeE1EZNS0_21CUDA_tensor_histogramIddLb0EEEbNS_6TensorES4_S4_lNS_14AccumulateTypeIT0_Lb1EE4typeES8_NS0_13TensorArgTypeES9_S9_EUllE_EEvNS0_6detail10TensorInfoIT_T1_EESF_NSC_IKS6_SE_EElS8_S8_SE_T6_,comdat
	.protected	_ZN2at4cuda17kernelHistogram1DIddlLi1ELi2ELin1ELNS0_23CUDAHistogramMemoryTypeE1EZNS0_21CUDA_tensor_histogramIddLb0EEEbNS_6TensorES4_S4_lNS_14AccumulateTypeIT0_Lb1EE4typeES8_NS0_13TensorArgTypeES9_S9_EUllE_EEvNS0_6detail10TensorInfoIT_T1_EESF_NSC_IKS6_SE_EElS8_S8_SE_T6_ ; -- Begin function _ZN2at4cuda17kernelHistogram1DIddlLi1ELi2ELin1ELNS0_23CUDAHistogramMemoryTypeE1EZNS0_21CUDA_tensor_histogramIddLb0EEEbNS_6TensorES4_S4_lNS_14AccumulateTypeIT0_Lb1EE4typeES8_NS0_13TensorArgTypeES9_S9_EUllE_EEvNS0_6detail10TensorInfoIT_T1_EESF_NSC_IKS6_SE_EElS8_S8_SE_T6_
	.globl	_ZN2at4cuda17kernelHistogram1DIddlLi1ELi2ELin1ELNS0_23CUDAHistogramMemoryTypeE1EZNS0_21CUDA_tensor_histogramIddLb0EEEbNS_6TensorES4_S4_lNS_14AccumulateTypeIT0_Lb1EE4typeES8_NS0_13TensorArgTypeES9_S9_EUllE_EEvNS0_6detail10TensorInfoIT_T1_EESF_NSC_IKS6_SE_EElS8_S8_SE_T6_
	.p2align	8
	.type	_ZN2at4cuda17kernelHistogram1DIddlLi1ELi2ELin1ELNS0_23CUDAHistogramMemoryTypeE1EZNS0_21CUDA_tensor_histogramIddLb0EEEbNS_6TensorES4_S4_lNS_14AccumulateTypeIT0_Lb1EE4typeES8_NS0_13TensorArgTypeES9_S9_EUllE_EEvNS0_6detail10TensorInfoIT_T1_EESF_NSC_IKS6_SE_EElS8_S8_SE_T6_,@function
_ZN2at4cuda17kernelHistogram1DIddlLi1ELi2ELin1ELNS0_23CUDAHistogramMemoryTypeE1EZNS0_21CUDA_tensor_histogramIddLb0EEEbNS_6TensorES4_S4_lNS_14AccumulateTypeIT0_Lb1EE4typeES8_NS0_13TensorArgTypeES9_S9_EUllE_EEvNS0_6detail10TensorInfoIT_T1_EESF_NSC_IKS6_SE_EElS8_S8_SE_T6_: ; @_ZN2at4cuda17kernelHistogram1DIddlLi1ELi2ELin1ELNS0_23CUDAHistogramMemoryTypeE1EZNS0_21CUDA_tensor_histogramIddLb0EEEbNS_6TensorES4_S4_lNS_14AccumulateTypeIT0_Lb1EE4typeES8_NS0_13TensorArgTypeES9_S9_EUllE_EEvNS0_6detail10TensorInfoIT_T1_EESF_NSC_IKS6_SE_EElS8_S8_SE_T6_
; %bb.0:
	s_load_dword s2, s[4:5], 0x6ac
	s_load_dwordx8 s[8:15], s[4:5], 0x4e0
	s_add_u32 s0, s4, 0x6a0
	s_addc_u32 s1, s5, 0
	v_mov_b32_e32 v6, 0
	s_waitcnt lgkmcnt(0)
	s_and_b32 s2, s2, 0xffff
	s_mul_i32 s6, s6, s2
	v_add_u32_e32 v4, s6, v0
	v_mov_b32_e32 v5, v6
	v_cmp_gt_i64_e32 vcc, s[14:15], v[4:5]
	s_and_saveexec_b64 s[6:7], vcc
	s_cbranch_execz .LBB77_13
; %bb.1:
	v_cvt_f64_i32_e32 v[0:1], s9
	v_cvt_f64_u32_e32 v[2:3], s8
	s_load_dwordx2 s[6:7], s[4:5], 0x500
	s_load_dwordx2 s[16:17], s[4:5], 0x5d0
	s_load_dword s26, s[4:5], 0x4d8
	s_load_dword s3, s[0:1], 0x0
	v_ldexp_f64 v[0:1], v[0:1], 32
	s_add_u32 s27, s4, 0x340
	s_addc_u32 s28, s5, 0
	s_waitcnt lgkmcnt(0)
	s_cmp_gt_i32 s26, 1
	s_load_dwordx2 s[18:19], s[4:5], 0x0
	s_load_dwordx2 s[20:21], s[4:5], 0xd0
	;; [unrolled: 1-line block ×4, first 2 shown]
	s_cselect_b64 s[0:1], -1, 0
	s_mul_i32 s33, s3, s2
	s_mov_b32 s3, 0
	v_add_f64 v[8:9], v[0:1], v[2:3]
	v_mov_b32_e32 v0, s10
	v_mov_b32_e32 v1, s11
	v_add_f64 v[10:11], s[12:13], -v[0:1]
	s_add_i32 s2, s26, -1
	s_add_i32 s40, s26, 1
	s_lshl_b64 s[2:3], s[2:3], 3
	s_add_u32 s2, s27, s2
	s_addc_u32 s3, s28, s3
	s_add_u32 s4, s2, 8
	v_cndmask_b32_e64 v0, 0, 1, s[0:1]
	s_addc_u32 s5, s3, 0
	s_mov_b64 s[26:27], 0
	v_cmp_ne_u32_e64 s[0:1], 1, v0
	s_branch .LBB77_3
.LBB77_2:                               ;   in Loop: Header=BB77_3 Depth=1
	s_or_b64 exec, exec, s[2:3]
	v_add_co_u32_e32 v4, vcc, s33, v4
	v_addc_co_u32_e32 v5, vcc, 0, v5, vcc
	v_cmp_le_i64_e32 vcc, s[14:15], v[4:5]
	s_or_b64 s[26:27], vcc, s[26:27]
	s_andn2_b64 exec, exec, s[26:27]
	s_cbranch_execz .LBB77_13
.LBB77_3:                               ; =>This Loop Header: Depth=1
                                        ;     Child Loop BB77_4 Depth 2
                                        ;     Child Loop BB77_12 Depth 2
	v_mov_b32_e32 v0, 0
	v_mov_b32_e32 v2, v4
	;; [unrolled: 1-line block ×4, first 2 shown]
	s_and_b64 vcc, exec, s[0:1]
	s_mov_b64 s[28:29], s[4:5]
	s_mov_b32 s41, s40
	v_mov_b32_e32 v3, v5
	v_mov_b32_e32 v12, v4
	s_cbranch_vccnz .LBB77_10
.LBB77_4:                               ;   Parent Loop BB77_3 Depth=1
                                        ; =>  This Inner Loop Header: Depth=2
	s_load_dwordx2 s[30:31], s[28:29], 0x0
                                        ; implicit-def: $vgpr12_vgpr13
	s_waitcnt lgkmcnt(0)
	v_or_b32_e32 v7, s31, v3
	v_cmp_ne_u64_e32 vcc, 0, v[6:7]
	s_and_saveexec_b64 s[2:3], vcc
	s_xor_b64 s[34:35], exec, s[2:3]
	s_cbranch_execz .LBB77_6
; %bb.5:                                ;   in Loop: Header=BB77_4 Depth=2
	s_ashr_i32 s36, s31, 31
	s_add_u32 s2, s30, s36
	s_mov_b32 s37, s36
	s_addc_u32 s3, s31, s36
	s_xor_b64 s[38:39], s[2:3], s[36:37]
	v_cvt_f32_u32_e32 v7, s38
	v_cvt_f32_u32_e32 v12, s39
	s_sub_u32 s37, 0, s38
	s_subb_u32 s42, 0, s39
	v_mac_f32_e32 v7, 0x4f800000, v12
	v_rcp_f32_e32 v7, v7
	v_mul_f32_e32 v7, 0x5f7ffffc, v7
	v_mul_f32_e32 v12, 0x2f800000, v7
	v_trunc_f32_e32 v12, v12
	v_mac_f32_e32 v7, 0xcf800000, v12
	v_cvt_u32_f32_e32 v12, v12
	v_cvt_u32_f32_e32 v7, v7
	v_readfirstlane_b32 s43, v12
	v_readfirstlane_b32 s2, v7
	s_mul_i32 s3, s37, s43
	s_mul_hi_u32 s45, s37, s2
	s_mul_i32 s44, s42, s2
	s_add_i32 s3, s45, s3
	s_add_i32 s3, s3, s44
	s_mul_i32 s46, s37, s2
	s_mul_i32 s45, s2, s3
	s_mul_hi_u32 s47, s2, s46
	s_mul_hi_u32 s44, s2, s3
	s_add_u32 s45, s47, s45
	s_addc_u32 s44, 0, s44
	s_mul_hi_u32 s48, s43, s46
	s_mul_i32 s46, s43, s46
	s_add_u32 s45, s45, s46
	s_mul_hi_u32 s47, s43, s3
	s_addc_u32 s44, s44, s48
	s_addc_u32 s45, s47, 0
	s_mul_i32 s3, s43, s3
	s_add_u32 s3, s44, s3
	s_addc_u32 s44, 0, s45
	s_add_u32 s45, s2, s3
	s_cselect_b64 s[2:3], -1, 0
	s_cmp_lg_u64 s[2:3], 0
	s_addc_u32 s43, s43, s44
	s_mul_i32 s2, s37, s43
	s_mul_hi_u32 s3, s37, s45
	s_add_i32 s2, s3, s2
	s_mul_i32 s42, s42, s45
	s_add_i32 s2, s2, s42
	s_mul_i32 s37, s37, s45
	s_mul_hi_u32 s42, s43, s37
	s_mul_i32 s44, s43, s37
	s_mul_i32 s47, s45, s2
	s_mul_hi_u32 s37, s45, s37
	s_mul_hi_u32 s46, s45, s2
	s_add_u32 s37, s37, s47
	s_addc_u32 s46, 0, s46
	s_add_u32 s37, s37, s44
	s_mul_hi_u32 s3, s43, s2
	s_addc_u32 s37, s46, s42
	s_addc_u32 s3, s3, 0
	s_mul_i32 s2, s43, s2
	s_add_u32 s2, s37, s2
	s_addc_u32 s37, 0, s3
	s_add_u32 s42, s45, s2
	s_cselect_b64 s[2:3], -1, 0
	v_ashrrev_i32_e32 v7, 31, v3
	s_cmp_lg_u64 s[2:3], 0
	v_add_co_u32_e32 v12, vcc, v2, v7
	s_addc_u32 s37, s43, s37
	v_xor_b32_e32 v16, v12, v7
	v_mad_u64_u32 v[12:13], s[2:3], v16, s37, 0
	v_mul_hi_u32 v15, v16, s42
	v_addc_co_u32_e32 v14, vcc, v3, v7, vcc
	v_xor_b32_e32 v17, v14, v7
	v_add_co_u32_e32 v18, vcc, v15, v12
	v_addc_co_u32_e32 v19, vcc, 0, v13, vcc
	v_mad_u64_u32 v[12:13], s[2:3], v17, s42, 0
	v_mad_u64_u32 v[14:15], s[2:3], v17, s37, 0
	v_add_co_u32_e32 v12, vcc, v18, v12
	v_addc_co_u32_e32 v12, vcc, v19, v13, vcc
	v_addc_co_u32_e32 v13, vcc, 0, v15, vcc
	v_add_co_u32_e32 v14, vcc, v12, v14
	v_addc_co_u32_e32 v15, vcc, 0, v13, vcc
	v_mul_lo_u32 v18, s39, v14
	v_mul_lo_u32 v19, s38, v15
	v_mad_u64_u32 v[12:13], s[2:3], s38, v14, 0
	v_xor_b32_e32 v7, s36, v7
	v_add3_u32 v13, v13, v19, v18
	v_sub_u32_e32 v18, v17, v13
	v_mov_b32_e32 v19, s39
	v_sub_co_u32_e32 v12, vcc, v16, v12
	v_subb_co_u32_e64 v16, s[2:3], v18, v19, vcc
	v_subrev_co_u32_e64 v18, s[2:3], s38, v12
	v_subbrev_co_u32_e64 v16, s[2:3], 0, v16, s[2:3]
	v_cmp_le_u32_e64 s[2:3], s39, v16
	v_cndmask_b32_e64 v19, 0, -1, s[2:3]
	v_cmp_le_u32_e64 s[2:3], s38, v18
	v_cndmask_b32_e64 v18, 0, -1, s[2:3]
	v_cmp_eq_u32_e64 s[2:3], s39, v16
	v_cndmask_b32_e64 v16, v19, v18, s[2:3]
	v_add_co_u32_e64 v18, s[2:3], 2, v14
	v_subb_co_u32_e32 v13, vcc, v17, v13, vcc
	v_addc_co_u32_e64 v19, s[2:3], 0, v15, s[2:3]
	v_cmp_le_u32_e32 vcc, s39, v13
	v_add_co_u32_e64 v20, s[2:3], 1, v14
	v_cndmask_b32_e64 v17, 0, -1, vcc
	v_cmp_le_u32_e32 vcc, s38, v12
	v_addc_co_u32_e64 v21, s[2:3], 0, v15, s[2:3]
	v_cndmask_b32_e64 v12, 0, -1, vcc
	v_cmp_eq_u32_e32 vcc, s39, v13
	v_cmp_ne_u32_e64 s[2:3], 0, v16
	v_cndmask_b32_e32 v12, v17, v12, vcc
	v_cndmask_b32_e64 v16, v21, v19, s[2:3]
	v_cmp_ne_u32_e32 vcc, 0, v12
	v_cndmask_b32_e64 v13, v20, v18, s[2:3]
	v_cndmask_b32_e32 v12, v15, v16, vcc
	v_cndmask_b32_e32 v13, v14, v13, vcc
	v_xor_b32_e32 v14, v12, v7
	v_xor_b32_e32 v12, v13, v7
	v_sub_co_u32_e32 v12, vcc, v12, v7
	v_subb_co_u32_e32 v13, vcc, v14, v7, vcc
.LBB77_6:                               ;   in Loop: Header=BB77_4 Depth=2
	s_andn2_saveexec_b64 s[2:3], s[34:35]
	s_cbranch_execz .LBB77_8
; %bb.7:                                ;   in Loop: Header=BB77_4 Depth=2
	v_cvt_f32_u32_e32 v7, s30
	s_sub_i32 s34, 0, s30
	v_rcp_iflag_f32_e32 v7, v7
	v_mul_f32_e32 v7, 0x4f7ffffe, v7
	v_cvt_u32_f32_e32 v7, v7
	v_mul_lo_u32 v12, s34, v7
	v_mul_hi_u32 v12, v7, v12
	v_add_u32_e32 v7, v7, v12
	v_mul_hi_u32 v7, v2, v7
	v_mul_lo_u32 v12, v7, s30
	v_add_u32_e32 v13, 1, v7
	v_sub_u32_e32 v12, v2, v12
	v_subrev_u32_e32 v14, s30, v12
	v_cmp_le_u32_e32 vcc, s30, v12
	v_cndmask_b32_e32 v12, v12, v14, vcc
	v_cndmask_b32_e32 v7, v7, v13, vcc
	v_add_u32_e32 v13, 1, v7
	v_cmp_le_u32_e32 vcc, s30, v12
	v_cndmask_b32_e32 v12, v7, v13, vcc
	v_mov_b32_e32 v13, v6
.LBB77_8:                               ;   in Loop: Header=BB77_4 Depth=2
	s_or_b64 exec, exec, s[2:3]
	v_mul_lo_u32 v7, v13, s30
	v_mul_lo_u32 v16, v12, s31
	v_mad_u64_u32 v[14:15], s[2:3], v12, s30, 0
	s_load_dwordx2 s[2:3], s[28:29], 0xc8
	s_add_i32 s41, s41, -1
	v_add3_u32 v7, v15, v16, v7
	v_sub_co_u32_e32 v2, vcc, v2, v14
	v_subb_co_u32_e32 v3, vcc, v3, v7, vcc
	s_waitcnt lgkmcnt(0)
	v_mul_lo_u32 v3, s2, v3
	v_mul_lo_u32 v7, s3, v2
	v_mad_u64_u32 v[0:1], s[2:3], s2, v2, v[0:1]
	s_add_u32 s28, s28, -8
	s_addc_u32 s29, s29, -1
	s_cmp_gt_u32 s41, 2
	v_add3_u32 v1, v7, v1, v3
	s_cbranch_scc0 .LBB77_10
; %bb.9:                                ;   in Loop: Header=BB77_4 Depth=2
	v_mov_b32_e32 v2, v12
	v_mov_b32_e32 v3, v13
	s_branch .LBB77_4
.LBB77_10:                              ;   in Loop: Header=BB77_3 Depth=1
	s_waitcnt lgkmcnt(0)
	v_mul_lo_u32 v7, s23, v12
	v_mul_lo_u32 v13, s22, v13
	v_mad_u64_u32 v[2:3], s[2:3], s22, v12, 0
	v_lshlrev_b64 v[0:1], 3, v[0:1]
	v_add3_u32 v3, v3, v13, v7
	v_lshlrev_b64 v[2:3], 3, v[2:3]
	v_mov_b32_e32 v7, s25
	v_add_co_u32_e32 v2, vcc, s24, v2
	v_addc_co_u32_e32 v3, vcc, v7, v3, vcc
	v_add_co_u32_e32 v0, vcc, v2, v0
	v_addc_co_u32_e32 v1, vcc, v3, v1, vcc
	global_load_dwordx2 v[0:1], v[0:1], off
	s_waitcnt vmcnt(0)
	v_cmp_le_f64_e32 vcc, s[10:11], v[0:1]
	v_cmp_ge_f64_e64 s[2:3], s[12:13], v[0:1]
	s_and_b64 s[28:29], vcc, s[2:3]
	s_and_saveexec_b64 s[2:3], s[28:29]
	s_cbranch_execz .LBB77_2
; %bb.11:                               ;   in Loop: Header=BB77_3 Depth=1
	v_add_f64 v[0:1], v[0:1], -s[10:11]
	v_mul_lo_u32 v7, v5, s16
	v_mul_f64 v[0:1], v[0:1], v[8:9]
	v_div_scale_f64 v[2:3], s[28:29], v[10:11], v[10:11], v[0:1]
	v_rcp_f64_e32 v[12:13], v[2:3]
	v_fma_f64 v[14:15], -v[2:3], v[12:13], 1.0
	v_fma_f64 v[12:13], v[12:13], v[14:15], v[12:13]
	v_div_scale_f64 v[14:15], vcc, v[0:1], v[10:11], v[0:1]
	v_fma_f64 v[16:17], -v[2:3], v[12:13], 1.0
	v_fma_f64 v[12:13], v[12:13], v[16:17], v[12:13]
	v_mul_f64 v[16:17], v[14:15], v[12:13]
	v_fma_f64 v[2:3], -v[2:3], v[16:17], v[14:15]
	v_mov_b32_e32 v14, s7
	v_div_fmas_f64 v[2:3], v[2:3], v[12:13], v[16:17]
	v_mul_lo_u32 v12, v4, s17
	v_mov_b32_e32 v13, s19
	v_div_fixup_f64 v[0:1], v[2:3], v[10:11], v[0:1]
	v_mad_u64_u32 v[2:3], s[28:29], v4, s16, 0
	v_add3_u32 v3, v3, v12, v7
	v_lshlrev_b64 v[2:3], 3, v[2:3]
	v_cvt_i32_f64_e32 v0, v[0:1]
	v_ashrrev_i32_e32 v1, 31, v0
	v_cmp_eq_u64_e32 vcc, s[8:9], v[0:1]
	v_cndmask_b32_e64 v7, 0, 1, vcc
	v_sub_co_u32_e32 v0, vcc, v0, v7
	v_subbrev_co_u32_e32 v1, vcc, 0, v1, vcc
	v_mul_lo_u32 v7, v1, s20
	v_mul_lo_u32 v12, v0, s21
	v_mad_u64_u32 v[0:1], s[28:29], v0, s20, 0
	v_add_co_u32_e32 v16, vcc, s6, v2
	v_add3_u32 v1, v1, v12, v7
	v_lshlrev_b64 v[0:1], 3, v[0:1]
	v_addc_co_u32_e32 v17, vcc, v14, v3, vcc
	v_add_co_u32_e32 v12, vcc, s18, v0
	v_addc_co_u32_e32 v13, vcc, v13, v1, vcc
	global_load_dwordx2 v[14:15], v[16:17], off
	global_load_dwordx2 v[2:3], v[12:13], off
	s_mov_b64 s[28:29], 0
.LBB77_12:                              ;   Parent Loop BB77_3 Depth=1
                                        ; =>  This Inner Loop Header: Depth=2
	s_waitcnt vmcnt(0)
	v_add_f64 v[0:1], v[2:3], v[14:15]
	global_atomic_cmpswap_x2 v[0:1], v[12:13], v[0:3], off glc
	s_waitcnt vmcnt(0)
	v_cmp_eq_u64_e32 vcc, v[0:1], v[2:3]
	v_mov_b32_e32 v3, v1
	s_or_b64 s[28:29], vcc, s[28:29]
	v_mov_b32_e32 v2, v0
	s_andn2_b64 exec, exec, s[28:29]
	s_cbranch_execnz .LBB77_12
	s_branch .LBB77_2
.LBB77_13:
	s_endpgm
	.section	.rodata,"a",@progbits
	.p2align	6, 0x0
	.amdhsa_kernel _ZN2at4cuda17kernelHistogram1DIddlLi1ELi2ELin1ELNS0_23CUDAHistogramMemoryTypeE1EZNS0_21CUDA_tensor_histogramIddLb0EEEbNS_6TensorES4_S4_lNS_14AccumulateTypeIT0_Lb1EE4typeES8_NS0_13TensorArgTypeES9_S9_EUllE_EEvNS0_6detail10TensorInfoIT_T1_EESF_NSC_IKS6_SE_EElS8_S8_SE_T6_
		.amdhsa_group_segment_fixed_size 0
		.amdhsa_private_segment_fixed_size 0
		.amdhsa_kernarg_size 1952
		.amdhsa_user_sgpr_count 6
		.amdhsa_user_sgpr_private_segment_buffer 1
		.amdhsa_user_sgpr_dispatch_ptr 0
		.amdhsa_user_sgpr_queue_ptr 0
		.amdhsa_user_sgpr_kernarg_segment_ptr 1
		.amdhsa_user_sgpr_dispatch_id 0
		.amdhsa_user_sgpr_flat_scratch_init 0
		.amdhsa_user_sgpr_private_segment_size 0
		.amdhsa_uses_dynamic_stack 0
		.amdhsa_system_sgpr_private_segment_wavefront_offset 0
		.amdhsa_system_sgpr_workgroup_id_x 1
		.amdhsa_system_sgpr_workgroup_id_y 0
		.amdhsa_system_sgpr_workgroup_id_z 0
		.amdhsa_system_sgpr_workgroup_info 0
		.amdhsa_system_vgpr_workitem_id 0
		.amdhsa_next_free_vgpr 22
		.amdhsa_next_free_sgpr 49
		.amdhsa_reserve_vcc 1
		.amdhsa_reserve_flat_scratch 0
		.amdhsa_float_round_mode_32 0
		.amdhsa_float_round_mode_16_64 0
		.amdhsa_float_denorm_mode_32 3
		.amdhsa_float_denorm_mode_16_64 3
		.amdhsa_dx10_clamp 1
		.amdhsa_ieee_mode 1
		.amdhsa_fp16_overflow 0
		.amdhsa_exception_fp_ieee_invalid_op 0
		.amdhsa_exception_fp_denorm_src 0
		.amdhsa_exception_fp_ieee_div_zero 0
		.amdhsa_exception_fp_ieee_overflow 0
		.amdhsa_exception_fp_ieee_underflow 0
		.amdhsa_exception_fp_ieee_inexact 0
		.amdhsa_exception_int_div_zero 0
	.end_amdhsa_kernel
	.section	.text._ZN2at4cuda17kernelHistogram1DIddlLi1ELi2ELin1ELNS0_23CUDAHistogramMemoryTypeE1EZNS0_21CUDA_tensor_histogramIddLb0EEEbNS_6TensorES4_S4_lNS_14AccumulateTypeIT0_Lb1EE4typeES8_NS0_13TensorArgTypeES9_S9_EUllE_EEvNS0_6detail10TensorInfoIT_T1_EESF_NSC_IKS6_SE_EElS8_S8_SE_T6_,"axG",@progbits,_ZN2at4cuda17kernelHistogram1DIddlLi1ELi2ELin1ELNS0_23CUDAHistogramMemoryTypeE1EZNS0_21CUDA_tensor_histogramIddLb0EEEbNS_6TensorES4_S4_lNS_14AccumulateTypeIT0_Lb1EE4typeES8_NS0_13TensorArgTypeES9_S9_EUllE_EEvNS0_6detail10TensorInfoIT_T1_EESF_NSC_IKS6_SE_EElS8_S8_SE_T6_,comdat
.Lfunc_end77:
	.size	_ZN2at4cuda17kernelHistogram1DIddlLi1ELi2ELin1ELNS0_23CUDAHistogramMemoryTypeE1EZNS0_21CUDA_tensor_histogramIddLb0EEEbNS_6TensorES4_S4_lNS_14AccumulateTypeIT0_Lb1EE4typeES8_NS0_13TensorArgTypeES9_S9_EUllE_EEvNS0_6detail10TensorInfoIT_T1_EESF_NSC_IKS6_SE_EElS8_S8_SE_T6_, .Lfunc_end77-_ZN2at4cuda17kernelHistogram1DIddlLi1ELi2ELin1ELNS0_23CUDAHistogramMemoryTypeE1EZNS0_21CUDA_tensor_histogramIddLb0EEEbNS_6TensorES4_S4_lNS_14AccumulateTypeIT0_Lb1EE4typeES8_NS0_13TensorArgTypeES9_S9_EUllE_EEvNS0_6detail10TensorInfoIT_T1_EESF_NSC_IKS6_SE_EElS8_S8_SE_T6_
                                        ; -- End function
	.set _ZN2at4cuda17kernelHistogram1DIddlLi1ELi2ELin1ELNS0_23CUDAHistogramMemoryTypeE1EZNS0_21CUDA_tensor_histogramIddLb0EEEbNS_6TensorES4_S4_lNS_14AccumulateTypeIT0_Lb1EE4typeES8_NS0_13TensorArgTypeES9_S9_EUllE_EEvNS0_6detail10TensorInfoIT_T1_EESF_NSC_IKS6_SE_EElS8_S8_SE_T6_.num_vgpr, 22
	.set _ZN2at4cuda17kernelHistogram1DIddlLi1ELi2ELin1ELNS0_23CUDAHistogramMemoryTypeE1EZNS0_21CUDA_tensor_histogramIddLb0EEEbNS_6TensorES4_S4_lNS_14AccumulateTypeIT0_Lb1EE4typeES8_NS0_13TensorArgTypeES9_S9_EUllE_EEvNS0_6detail10TensorInfoIT_T1_EESF_NSC_IKS6_SE_EElS8_S8_SE_T6_.num_agpr, 0
	.set _ZN2at4cuda17kernelHistogram1DIddlLi1ELi2ELin1ELNS0_23CUDAHistogramMemoryTypeE1EZNS0_21CUDA_tensor_histogramIddLb0EEEbNS_6TensorES4_S4_lNS_14AccumulateTypeIT0_Lb1EE4typeES8_NS0_13TensorArgTypeES9_S9_EUllE_EEvNS0_6detail10TensorInfoIT_T1_EESF_NSC_IKS6_SE_EElS8_S8_SE_T6_.numbered_sgpr, 49
	.set _ZN2at4cuda17kernelHistogram1DIddlLi1ELi2ELin1ELNS0_23CUDAHistogramMemoryTypeE1EZNS0_21CUDA_tensor_histogramIddLb0EEEbNS_6TensorES4_S4_lNS_14AccumulateTypeIT0_Lb1EE4typeES8_NS0_13TensorArgTypeES9_S9_EUllE_EEvNS0_6detail10TensorInfoIT_T1_EESF_NSC_IKS6_SE_EElS8_S8_SE_T6_.num_named_barrier, 0
	.set _ZN2at4cuda17kernelHistogram1DIddlLi1ELi2ELin1ELNS0_23CUDAHistogramMemoryTypeE1EZNS0_21CUDA_tensor_histogramIddLb0EEEbNS_6TensorES4_S4_lNS_14AccumulateTypeIT0_Lb1EE4typeES8_NS0_13TensorArgTypeES9_S9_EUllE_EEvNS0_6detail10TensorInfoIT_T1_EESF_NSC_IKS6_SE_EElS8_S8_SE_T6_.private_seg_size, 0
	.set _ZN2at4cuda17kernelHistogram1DIddlLi1ELi2ELin1ELNS0_23CUDAHistogramMemoryTypeE1EZNS0_21CUDA_tensor_histogramIddLb0EEEbNS_6TensorES4_S4_lNS_14AccumulateTypeIT0_Lb1EE4typeES8_NS0_13TensorArgTypeES9_S9_EUllE_EEvNS0_6detail10TensorInfoIT_T1_EESF_NSC_IKS6_SE_EElS8_S8_SE_T6_.uses_vcc, 1
	.set _ZN2at4cuda17kernelHistogram1DIddlLi1ELi2ELin1ELNS0_23CUDAHistogramMemoryTypeE1EZNS0_21CUDA_tensor_histogramIddLb0EEEbNS_6TensorES4_S4_lNS_14AccumulateTypeIT0_Lb1EE4typeES8_NS0_13TensorArgTypeES9_S9_EUllE_EEvNS0_6detail10TensorInfoIT_T1_EESF_NSC_IKS6_SE_EElS8_S8_SE_T6_.uses_flat_scratch, 0
	.set _ZN2at4cuda17kernelHistogram1DIddlLi1ELi2ELin1ELNS0_23CUDAHistogramMemoryTypeE1EZNS0_21CUDA_tensor_histogramIddLb0EEEbNS_6TensorES4_S4_lNS_14AccumulateTypeIT0_Lb1EE4typeES8_NS0_13TensorArgTypeES9_S9_EUllE_EEvNS0_6detail10TensorInfoIT_T1_EESF_NSC_IKS6_SE_EElS8_S8_SE_T6_.has_dyn_sized_stack, 0
	.set _ZN2at4cuda17kernelHistogram1DIddlLi1ELi2ELin1ELNS0_23CUDAHistogramMemoryTypeE1EZNS0_21CUDA_tensor_histogramIddLb0EEEbNS_6TensorES4_S4_lNS_14AccumulateTypeIT0_Lb1EE4typeES8_NS0_13TensorArgTypeES9_S9_EUllE_EEvNS0_6detail10TensorInfoIT_T1_EESF_NSC_IKS6_SE_EElS8_S8_SE_T6_.has_recursion, 0
	.set _ZN2at4cuda17kernelHistogram1DIddlLi1ELi2ELin1ELNS0_23CUDAHistogramMemoryTypeE1EZNS0_21CUDA_tensor_histogramIddLb0EEEbNS_6TensorES4_S4_lNS_14AccumulateTypeIT0_Lb1EE4typeES8_NS0_13TensorArgTypeES9_S9_EUllE_EEvNS0_6detail10TensorInfoIT_T1_EESF_NSC_IKS6_SE_EElS8_S8_SE_T6_.has_indirect_call, 0
	.section	.AMDGPU.csdata,"",@progbits
; Kernel info:
; codeLenInByte = 1604
; TotalNumSgprs: 53
; NumVgprs: 22
; ScratchSize: 0
; MemoryBound: 0
; FloatMode: 240
; IeeeMode: 1
; LDSByteSize: 0 bytes/workgroup (compile time only)
; SGPRBlocks: 6
; VGPRBlocks: 5
; NumSGPRsForWavesPerEU: 53
; NumVGPRsForWavesPerEU: 22
; Occupancy: 10
; WaveLimiterHint : 1
; COMPUTE_PGM_RSRC2:SCRATCH_EN: 0
; COMPUTE_PGM_RSRC2:USER_SGPR: 6
; COMPUTE_PGM_RSRC2:TRAP_HANDLER: 0
; COMPUTE_PGM_RSRC2:TGID_X_EN: 1
; COMPUTE_PGM_RSRC2:TGID_Y_EN: 0
; COMPUTE_PGM_RSRC2:TGID_Z_EN: 0
; COMPUTE_PGM_RSRC2:TIDIG_COMP_CNT: 0
	.section	.text._ZN2at4cuda17kernelHistogram1DIddlLi1ELi2ELin1ELNS0_23CUDAHistogramMemoryTypeE0EZNS0_21CUDA_tensor_histogramIddLb0EEEbNS_6TensorES4_S4_lNS_14AccumulateTypeIT0_Lb1EE4typeES8_NS0_13TensorArgTypeES9_S9_EUllE0_EEvNS0_6detail10TensorInfoIT_T1_EESF_NSC_IKS6_SE_EElS8_S8_SE_T6_,"axG",@progbits,_ZN2at4cuda17kernelHistogram1DIddlLi1ELi2ELin1ELNS0_23CUDAHistogramMemoryTypeE0EZNS0_21CUDA_tensor_histogramIddLb0EEEbNS_6TensorES4_S4_lNS_14AccumulateTypeIT0_Lb1EE4typeES8_NS0_13TensorArgTypeES9_S9_EUllE0_EEvNS0_6detail10TensorInfoIT_T1_EESF_NSC_IKS6_SE_EElS8_S8_SE_T6_,comdat
	.protected	_ZN2at4cuda17kernelHistogram1DIddlLi1ELi2ELin1ELNS0_23CUDAHistogramMemoryTypeE0EZNS0_21CUDA_tensor_histogramIddLb0EEEbNS_6TensorES4_S4_lNS_14AccumulateTypeIT0_Lb1EE4typeES8_NS0_13TensorArgTypeES9_S9_EUllE0_EEvNS0_6detail10TensorInfoIT_T1_EESF_NSC_IKS6_SE_EElS8_S8_SE_T6_ ; -- Begin function _ZN2at4cuda17kernelHistogram1DIddlLi1ELi2ELin1ELNS0_23CUDAHistogramMemoryTypeE0EZNS0_21CUDA_tensor_histogramIddLb0EEEbNS_6TensorES4_S4_lNS_14AccumulateTypeIT0_Lb1EE4typeES8_NS0_13TensorArgTypeES9_S9_EUllE0_EEvNS0_6detail10TensorInfoIT_T1_EESF_NSC_IKS6_SE_EElS8_S8_SE_T6_
	.globl	_ZN2at4cuda17kernelHistogram1DIddlLi1ELi2ELin1ELNS0_23CUDAHistogramMemoryTypeE0EZNS0_21CUDA_tensor_histogramIddLb0EEEbNS_6TensorES4_S4_lNS_14AccumulateTypeIT0_Lb1EE4typeES8_NS0_13TensorArgTypeES9_S9_EUllE0_EEvNS0_6detail10TensorInfoIT_T1_EESF_NSC_IKS6_SE_EElS8_S8_SE_T6_
	.p2align	8
	.type	_ZN2at4cuda17kernelHistogram1DIddlLi1ELi2ELin1ELNS0_23CUDAHistogramMemoryTypeE0EZNS0_21CUDA_tensor_histogramIddLb0EEEbNS_6TensorES4_S4_lNS_14AccumulateTypeIT0_Lb1EE4typeES8_NS0_13TensorArgTypeES9_S9_EUllE0_EEvNS0_6detail10TensorInfoIT_T1_EESF_NSC_IKS6_SE_EElS8_S8_SE_T6_,@function
_ZN2at4cuda17kernelHistogram1DIddlLi1ELi2ELin1ELNS0_23CUDAHistogramMemoryTypeE0EZNS0_21CUDA_tensor_histogramIddLb0EEEbNS_6TensorES4_S4_lNS_14AccumulateTypeIT0_Lb1EE4typeES8_NS0_13TensorArgTypeES9_S9_EUllE0_EEvNS0_6detail10TensorInfoIT_T1_EESF_NSC_IKS6_SE_EElS8_S8_SE_T6_: ; @_ZN2at4cuda17kernelHistogram1DIddlLi1ELi2ELin1ELNS0_23CUDAHistogramMemoryTypeE0EZNS0_21CUDA_tensor_histogramIddLb0EEEbNS_6TensorES4_S4_lNS_14AccumulateTypeIT0_Lb1EE4typeES8_NS0_13TensorArgTypeES9_S9_EUllE0_EEvNS0_6detail10TensorInfoIT_T1_EESF_NSC_IKS6_SE_EElS8_S8_SE_T6_
; %bb.0:
	s_load_dwordx4 s[16:19], s[4:5], 0x0
	v_mov_b32_e32 v1, 0
	s_add_u32 s2, s4, 0x508
	s_addc_u32 s3, s5, 0
                                        ; implicit-def: $sgpr10
                                        ; implicit-def: $sgpr7
	s_waitcnt lgkmcnt(0)
	v_cmp_gt_i64_e64 s[0:1], s[18:19], v[0:1]
	v_cmp_le_i64_e32 vcc, s[18:19], v[0:1]
	s_and_saveexec_b64 s[8:9], vcc
	s_xor_b64 s[8:9], exec, s[8:9]
	s_cbranch_execz .LBB78_2
; %bb.1:
	s_load_dword s10, s[2:3], 0xc
	s_waitcnt lgkmcnt(0)
	s_and_b32 s7, s10, 0xffff
.LBB78_2:
	s_or_saveexec_b64 s[8:9], s[8:9]
	s_load_dwordx2 s[20:21], s[4:5], 0xd0
	v_mov_b32_e32 v16, s10
	v_mov_b32_e32 v5, s7
	s_xor_b64 exec, exec, s[8:9]
	s_cbranch_execz .LBB78_6
; %bb.3:
	s_load_dword s7, s[2:3], 0xc
	v_mov_b32_e32 v2, 0
	v_mov_b32_e32 v5, v1
	v_lshl_add_u32 v6, v0, 3, 0
	s_mov_b64 s[10:11], 0
	s_waitcnt lgkmcnt(0)
	s_and_b32 s12, s7, 0xffff
	v_mov_b32_e32 v3, v2
	s_lshl_b32 s13, s12, 3
	v_mov_b32_e32 v4, v0
.LBB78_4:                               ; =>This Inner Loop Header: Depth=1
	v_add_co_u32_e32 v4, vcc, s12, v4
	v_addc_co_u32_e32 v5, vcc, 0, v5, vcc
	v_cmp_le_i64_e32 vcc, s[18:19], v[4:5]
	ds_write_b64 v6, v[2:3]
	s_or_b64 s[10:11], vcc, s[10:11]
	v_add_u32_e32 v6, s13, v6
	s_andn2_b64 exec, exec, s[10:11]
	s_cbranch_execnz .LBB78_4
; %bb.5:
	s_or_b64 exec, exec, s[10:11]
	v_mov_b32_e32 v16, s7
	v_mov_b32_e32 v5, s12
.LBB78_6:
	s_or_b64 exec, exec, s[8:9]
	s_load_dwordx8 s[8:15], s[4:5], 0x4e0
	v_mad_u64_u32 v[2:3], s[6:7], s6, v5, v[0:1]
	v_mov_b32_e32 v4, 0
	v_mov_b32_e32 v3, v4
	s_waitcnt lgkmcnt(0)
	v_cmp_gt_i64_e32 vcc, s[14:15], v[2:3]
	s_barrier
	s_and_saveexec_b64 s[6:7], vcc
	s_cbranch_execz .LBB78_19
; %bb.7:
	v_cvt_f64_i32_e32 v[6:7], s9
	v_cvt_f64_u32_e32 v[8:9], s8
	s_load_dword s27, s[2:3], 0x0
	s_load_dword s28, s[4:5], 0x4d8
	s_load_dwordx2 s[22:23], s[4:5], 0x410
	s_load_dwordx2 s[24:25], s[4:5], 0x340
	v_ldexp_f64 v[6:7], v[6:7], 32
	v_mov_b32_e32 v10, s10
	s_add_u32 s26, s4, 0x340
	v_mov_b32_e32 v11, s11
	s_addc_u32 s29, s5, 0
	s_waitcnt lgkmcnt(0)
	s_cmp_gt_i32 s28, 1
	s_cselect_b64 s[2:3], -1, 0
	s_mov_b32 s5, 0
	v_add_f64 v[6:7], v[6:7], v[8:9]
	v_add_f64 v[8:9], s[12:13], -v[10:11]
	s_add_i32 s4, s28, -1
	s_add_i32 s33, s28, 1
	s_lshl_b64 s[4:5], s[4:5], 3
	v_mul_lo_u32 v17, s27, v5
	s_add_u32 s4, s26, s4
	s_addc_u32 s5, s29, s5
	s_add_u32 s26, s4, 8
	v_cndmask_b32_e64 v5, 0, 1, s[2:3]
	s_addc_u32 s27, s5, 0
	s_mov_b64 s[28:29], 0
	v_cmp_ne_u32_e64 s[2:3], 1, v5
	s_branch .LBB78_9
.LBB78_8:                               ;   in Loop: Header=BB78_9 Depth=1
	s_or_b64 exec, exec, s[4:5]
	v_add_co_u32_e32 v2, vcc, v2, v17
	v_addc_co_u32_e32 v3, vcc, 0, v3, vcc
	v_cmp_le_i64_e32 vcc, s[14:15], v[2:3]
	s_or_b64 s[28:29], vcc, s[28:29]
	s_andn2_b64 exec, exec, s[28:29]
	s_cbranch_execz .LBB78_19
.LBB78_9:                               ; =>This Loop Header: Depth=1
                                        ;     Child Loop BB78_10 Depth 2
                                        ;     Child Loop BB78_18 Depth 2
	v_mov_b32_e32 v10, 0
	v_mov_b32_e32 v13, v3
	;; [unrolled: 1-line block ×4, first 2 shown]
	s_and_b64 vcc, exec, s[2:3]
	s_mov_b64 s[30:31], s[26:27]
	s_mov_b32 s42, s33
	v_mov_b32_e32 v12, v2
	v_mov_b32_e32 v14, v2
	s_cbranch_vccnz .LBB78_16
.LBB78_10:                              ;   Parent Loop BB78_9 Depth=1
                                        ; =>  This Inner Loop Header: Depth=2
	s_load_dwordx2 s[34:35], s[30:31], 0x0
                                        ; implicit-def: $vgpr14_vgpr15
	s_waitcnt lgkmcnt(0)
	v_or_b32_e32 v5, s35, v13
	v_cmp_ne_u64_e32 vcc, 0, v[4:5]
	s_and_saveexec_b64 s[4:5], vcc
	s_xor_b64 s[36:37], exec, s[4:5]
	s_cbranch_execz .LBB78_12
; %bb.11:                               ;   in Loop: Header=BB78_10 Depth=2
	s_ashr_i32 s38, s35, 31
	s_add_u32 s4, s34, s38
	s_mov_b32 s39, s38
	s_addc_u32 s5, s35, s38
	s_xor_b64 s[40:41], s[4:5], s[38:39]
	v_cvt_f32_u32_e32 v5, s40
	v_cvt_f32_u32_e32 v14, s41
	s_sub_u32 s39, 0, s40
	s_subb_u32 s43, 0, s41
	v_mac_f32_e32 v5, 0x4f800000, v14
	v_rcp_f32_e32 v5, v5
	v_mul_f32_e32 v5, 0x5f7ffffc, v5
	v_mul_f32_e32 v14, 0x2f800000, v5
	v_trunc_f32_e32 v14, v14
	v_mac_f32_e32 v5, 0xcf800000, v14
	v_cvt_u32_f32_e32 v14, v14
	v_cvt_u32_f32_e32 v5, v5
	v_readfirstlane_b32 s44, v14
	v_readfirstlane_b32 s4, v5
	s_mul_i32 s5, s39, s44
	s_mul_hi_u32 s46, s39, s4
	s_mul_i32 s45, s43, s4
	s_add_i32 s5, s46, s5
	s_add_i32 s5, s5, s45
	s_mul_i32 s47, s39, s4
	s_mul_i32 s46, s4, s5
	s_mul_hi_u32 s48, s4, s47
	s_mul_hi_u32 s45, s4, s5
	s_add_u32 s46, s48, s46
	s_addc_u32 s45, 0, s45
	s_mul_hi_u32 s49, s44, s47
	s_mul_i32 s47, s44, s47
	s_add_u32 s46, s46, s47
	s_mul_hi_u32 s48, s44, s5
	s_addc_u32 s45, s45, s49
	s_addc_u32 s46, s48, 0
	s_mul_i32 s5, s44, s5
	s_add_u32 s5, s45, s5
	s_addc_u32 s45, 0, s46
	s_add_u32 s46, s4, s5
	s_cselect_b64 s[4:5], -1, 0
	s_cmp_lg_u64 s[4:5], 0
	s_addc_u32 s44, s44, s45
	s_mul_i32 s4, s39, s44
	s_mul_hi_u32 s5, s39, s46
	s_add_i32 s4, s5, s4
	s_mul_i32 s43, s43, s46
	s_add_i32 s4, s4, s43
	s_mul_i32 s39, s39, s46
	s_mul_hi_u32 s43, s44, s39
	s_mul_i32 s45, s44, s39
	s_mul_i32 s48, s46, s4
	s_mul_hi_u32 s39, s46, s39
	s_mul_hi_u32 s47, s46, s4
	s_add_u32 s39, s39, s48
	s_addc_u32 s47, 0, s47
	s_add_u32 s39, s39, s45
	s_mul_hi_u32 s5, s44, s4
	s_addc_u32 s39, s47, s43
	s_addc_u32 s5, s5, 0
	s_mul_i32 s4, s44, s4
	s_add_u32 s4, s39, s4
	s_addc_u32 s39, 0, s5
	s_add_u32 s43, s46, s4
	s_cselect_b64 s[4:5], -1, 0
	v_ashrrev_i32_e32 v5, 31, v13
	s_cmp_lg_u64 s[4:5], 0
	v_add_co_u32_e32 v14, vcc, v12, v5
	s_addc_u32 s39, s44, s39
	v_xor_b32_e32 v20, v14, v5
	v_mad_u64_u32 v[14:15], s[4:5], v20, s39, 0
	v_mul_hi_u32 v19, v20, s43
	v_addc_co_u32_e32 v18, vcc, v13, v5, vcc
	v_xor_b32_e32 v21, v18, v5
	v_add_co_u32_e32 v22, vcc, v19, v14
	v_addc_co_u32_e32 v23, vcc, 0, v15, vcc
	v_mad_u64_u32 v[14:15], s[4:5], v21, s43, 0
	v_mad_u64_u32 v[18:19], s[4:5], v21, s39, 0
	v_add_co_u32_e32 v14, vcc, v22, v14
	v_addc_co_u32_e32 v14, vcc, v23, v15, vcc
	v_addc_co_u32_e32 v15, vcc, 0, v19, vcc
	v_add_co_u32_e32 v18, vcc, v14, v18
	v_addc_co_u32_e32 v19, vcc, 0, v15, vcc
	v_mul_lo_u32 v22, s41, v18
	v_mul_lo_u32 v23, s40, v19
	v_mad_u64_u32 v[14:15], s[4:5], s40, v18, 0
	v_xor_b32_e32 v5, s38, v5
	v_add3_u32 v15, v15, v23, v22
	v_sub_u32_e32 v22, v21, v15
	v_mov_b32_e32 v23, s41
	v_sub_co_u32_e32 v14, vcc, v20, v14
	v_subb_co_u32_e64 v20, s[4:5], v22, v23, vcc
	v_subrev_co_u32_e64 v22, s[4:5], s40, v14
	v_subbrev_co_u32_e64 v20, s[4:5], 0, v20, s[4:5]
	v_cmp_le_u32_e64 s[4:5], s41, v20
	v_cndmask_b32_e64 v23, 0, -1, s[4:5]
	v_cmp_le_u32_e64 s[4:5], s40, v22
	v_cndmask_b32_e64 v22, 0, -1, s[4:5]
	v_cmp_eq_u32_e64 s[4:5], s41, v20
	v_cndmask_b32_e64 v20, v23, v22, s[4:5]
	v_add_co_u32_e64 v22, s[4:5], 2, v18
	v_subb_co_u32_e32 v15, vcc, v21, v15, vcc
	v_addc_co_u32_e64 v23, s[4:5], 0, v19, s[4:5]
	v_cmp_le_u32_e32 vcc, s41, v15
	v_add_co_u32_e64 v24, s[4:5], 1, v18
	v_cndmask_b32_e64 v21, 0, -1, vcc
	v_cmp_le_u32_e32 vcc, s40, v14
	v_addc_co_u32_e64 v25, s[4:5], 0, v19, s[4:5]
	v_cndmask_b32_e64 v14, 0, -1, vcc
	v_cmp_eq_u32_e32 vcc, s41, v15
	v_cmp_ne_u32_e64 s[4:5], 0, v20
	v_cndmask_b32_e32 v14, v21, v14, vcc
	v_cndmask_b32_e64 v20, v25, v23, s[4:5]
	v_cmp_ne_u32_e32 vcc, 0, v14
	v_cndmask_b32_e64 v15, v24, v22, s[4:5]
	v_cndmask_b32_e32 v14, v19, v20, vcc
	v_cndmask_b32_e32 v15, v18, v15, vcc
	v_xor_b32_e32 v18, v14, v5
	v_xor_b32_e32 v14, v15, v5
	v_sub_co_u32_e32 v14, vcc, v14, v5
	v_subb_co_u32_e32 v15, vcc, v18, v5, vcc
.LBB78_12:                              ;   in Loop: Header=BB78_10 Depth=2
	s_andn2_saveexec_b64 s[4:5], s[36:37]
	s_cbranch_execz .LBB78_14
; %bb.13:                               ;   in Loop: Header=BB78_10 Depth=2
	v_cvt_f32_u32_e32 v5, s34
	s_sub_i32 s36, 0, s34
	v_rcp_iflag_f32_e32 v5, v5
	v_mul_f32_e32 v5, 0x4f7ffffe, v5
	v_cvt_u32_f32_e32 v5, v5
	v_mul_lo_u32 v14, s36, v5
	v_mul_hi_u32 v14, v5, v14
	v_add_u32_e32 v5, v5, v14
	v_mul_hi_u32 v5, v12, v5
	v_mul_lo_u32 v14, v5, s34
	v_add_u32_e32 v15, 1, v5
	v_sub_u32_e32 v14, v12, v14
	v_subrev_u32_e32 v18, s34, v14
	v_cmp_le_u32_e32 vcc, s34, v14
	v_cndmask_b32_e32 v14, v14, v18, vcc
	v_cndmask_b32_e32 v5, v5, v15, vcc
	v_add_u32_e32 v15, 1, v5
	v_cmp_le_u32_e32 vcc, s34, v14
	v_cndmask_b32_e32 v14, v5, v15, vcc
	v_mov_b32_e32 v15, v4
.LBB78_14:                              ;   in Loop: Header=BB78_10 Depth=2
	s_or_b64 exec, exec, s[4:5]
	v_mul_lo_u32 v5, v15, s34
	v_mul_lo_u32 v20, v14, s35
	v_mad_u64_u32 v[18:19], s[4:5], v14, s34, 0
	s_load_dwordx2 s[4:5], s[30:31], 0xc8
	s_add_i32 s42, s42, -1
	v_add3_u32 v5, v19, v20, v5
	v_sub_co_u32_e32 v12, vcc, v12, v18
	v_subb_co_u32_e32 v5, vcc, v13, v5, vcc
	s_waitcnt lgkmcnt(0)
	v_mul_lo_u32 v5, s4, v5
	v_mul_lo_u32 v13, s5, v12
	v_mad_u64_u32 v[10:11], s[4:5], s4, v12, v[10:11]
	s_add_u32 s30, s30, -8
	s_addc_u32 s31, s31, -1
	s_cmp_gt_u32 s42, 2
	v_add3_u32 v11, v13, v11, v5
	s_cbranch_scc0 .LBB78_16
; %bb.15:                               ;   in Loop: Header=BB78_10 Depth=2
	v_mov_b32_e32 v12, v14
	v_mov_b32_e32 v13, v15
	s_branch .LBB78_10
.LBB78_16:                              ;   in Loop: Header=BB78_9 Depth=1
	v_mul_lo_u32 v5, s23, v14
	v_mul_lo_u32 v15, s22, v15
	v_mad_u64_u32 v[12:13], s[4:5], s22, v14, 0
	v_lshlrev_b64 v[10:11], 3, v[10:11]
	v_add3_u32 v13, v13, v15, v5
	v_lshlrev_b64 v[12:13], 3, v[12:13]
	v_mov_b32_e32 v5, s25
	v_add_co_u32_e32 v12, vcc, s24, v12
	v_addc_co_u32_e32 v5, vcc, v5, v13, vcc
	v_add_co_u32_e32 v10, vcc, v12, v10
	v_addc_co_u32_e32 v11, vcc, v5, v11, vcc
	global_load_dwordx2 v[10:11], v[10:11], off
	s_waitcnt vmcnt(0)
	v_cmp_le_f64_e32 vcc, s[10:11], v[10:11]
	v_cmp_ge_f64_e64 s[4:5], s[12:13], v[10:11]
	s_and_b64 s[30:31], vcc, s[4:5]
	s_and_saveexec_b64 s[4:5], s[30:31]
	s_cbranch_execz .LBB78_8
; %bb.17:                               ;   in Loop: Header=BB78_9 Depth=1
	v_add_f64 v[10:11], v[10:11], -s[10:11]
	v_mul_f64 v[10:11], v[10:11], v[6:7]
	v_div_scale_f64 v[12:13], s[30:31], v[8:9], v[8:9], v[10:11]
	s_mov_b64 s[30:31], 0
	v_rcp_f64_e32 v[14:15], v[12:13]
	v_fma_f64 v[18:19], -v[12:13], v[14:15], 1.0
	v_fma_f64 v[14:15], v[14:15], v[18:19], v[14:15]
	v_div_scale_f64 v[18:19], vcc, v[10:11], v[8:9], v[10:11]
	v_fma_f64 v[20:21], -v[12:13], v[14:15], 1.0
	v_fma_f64 v[14:15], v[14:15], v[20:21], v[14:15]
	v_mul_f64 v[20:21], v[18:19], v[14:15]
	v_fma_f64 v[12:13], -v[12:13], v[20:21], v[18:19]
	v_div_fmas_f64 v[12:13], v[12:13], v[14:15], v[20:21]
	v_div_fixup_f64 v[10:11], v[12:13], v[8:9], v[10:11]
	v_cvt_i32_f64_e32 v10, v[10:11]
	v_ashrrev_i32_e32 v11, 31, v10
	v_cmp_eq_u64_e32 vcc, s[8:9], v[10:11]
	v_lshlrev_b32_e32 v10, 3, v10
	v_cndmask_b32_e64 v5, 0, -1, vcc
	v_lshlrev_b32_e32 v5, 3, v5
	v_add3_u32 v5, 0, v5, v10
	ds_read_b64 v[10:11], v5
.LBB78_18:                              ;   Parent Loop BB78_9 Depth=1
                                        ; =>  This Inner Loop Header: Depth=2
	s_waitcnt lgkmcnt(0)
	v_add_f64 v[12:13], v[10:11], 1.0
	ds_cmpst_rtn_b64 v[12:13], v5, v[10:11], v[12:13]
	s_waitcnt lgkmcnt(0)
	v_cmp_eq_u64_e32 vcc, v[12:13], v[10:11]
	v_mov_b32_e32 v10, v12
	s_or_b64 s[30:31], vcc, s[30:31]
	v_mov_b32_e32 v11, v13
	s_andn2_b64 exec, exec, s[30:31]
	s_cbranch_execnz .LBB78_18
	s_branch .LBB78_8
.LBB78_19:
	s_or_b64 exec, exec, s[6:7]
; %bb.20:
	s_barrier
	s_and_saveexec_b64 s[2:3], s[0:1]
	s_cbranch_execz .LBB78_25
; %bb.21:
	v_and_b32_e32 v10, 0xffff, v16
	s_mov_b64 s[0:1], 0
	v_mov_b32_e32 v11, s17
.LBB78_22:                              ; =>This Loop Header: Depth=1
                                        ;     Child Loop BB78_23 Depth 2
	v_mul_lo_u32 v4, v1, s20
	v_mul_lo_u32 v5, v0, s21
	v_mad_u64_u32 v[2:3], s[2:3], v0, s20, 0
	s_mov_b64 s[2:3], 0
	v_add3_u32 v3, v3, v5, v4
	v_lshlrev_b64 v[2:3], 3, v[2:3]
	v_add_co_u32_e32 v6, vcc, s16, v2
	v_addc_co_u32_e32 v7, vcc, v11, v3, vcc
	global_load_dwordx2 v[4:5], v[6:7], off
	v_lshl_add_u32 v2, v0, 3, 0
	ds_read_b64 v[8:9], v2
.LBB78_23:                              ;   Parent Loop BB78_22 Depth=1
                                        ; =>  This Inner Loop Header: Depth=2
	s_waitcnt vmcnt(0) lgkmcnt(0)
	v_add_f64 v[2:3], v[4:5], v[8:9]
	global_atomic_cmpswap_x2 v[2:3], v[6:7], v[2:5], off glc
	s_waitcnt vmcnt(0)
	v_cmp_eq_u64_e32 vcc, v[2:3], v[4:5]
	v_mov_b32_e32 v5, v3
	s_or_b64 s[2:3], vcc, s[2:3]
	v_mov_b32_e32 v4, v2
	s_andn2_b64 exec, exec, s[2:3]
	s_cbranch_execnz .LBB78_23
; %bb.24:                               ;   in Loop: Header=BB78_22 Depth=1
	s_or_b64 exec, exec, s[2:3]
	v_add_co_u32_e32 v0, vcc, v0, v10
	v_addc_co_u32_e32 v1, vcc, 0, v1, vcc
	v_cmp_le_i64_e32 vcc, s[18:19], v[0:1]
	s_or_b64 s[0:1], vcc, s[0:1]
	s_andn2_b64 exec, exec, s[0:1]
	s_cbranch_execnz .LBB78_22
.LBB78_25:
	s_endpgm
	.section	.rodata,"a",@progbits
	.p2align	6, 0x0
	.amdhsa_kernel _ZN2at4cuda17kernelHistogram1DIddlLi1ELi2ELin1ELNS0_23CUDAHistogramMemoryTypeE0EZNS0_21CUDA_tensor_histogramIddLb0EEEbNS_6TensorES4_S4_lNS_14AccumulateTypeIT0_Lb1EE4typeES8_NS0_13TensorArgTypeES9_S9_EUllE0_EEvNS0_6detail10TensorInfoIT_T1_EESF_NSC_IKS6_SE_EElS8_S8_SE_T6_
		.amdhsa_group_segment_fixed_size 0
		.amdhsa_private_segment_fixed_size 0
		.amdhsa_kernarg_size 1544
		.amdhsa_user_sgpr_count 6
		.amdhsa_user_sgpr_private_segment_buffer 1
		.amdhsa_user_sgpr_dispatch_ptr 0
		.amdhsa_user_sgpr_queue_ptr 0
		.amdhsa_user_sgpr_kernarg_segment_ptr 1
		.amdhsa_user_sgpr_dispatch_id 0
		.amdhsa_user_sgpr_flat_scratch_init 0
		.amdhsa_user_sgpr_private_segment_size 0
		.amdhsa_uses_dynamic_stack 0
		.amdhsa_system_sgpr_private_segment_wavefront_offset 0
		.amdhsa_system_sgpr_workgroup_id_x 1
		.amdhsa_system_sgpr_workgroup_id_y 0
		.amdhsa_system_sgpr_workgroup_id_z 0
		.amdhsa_system_sgpr_workgroup_info 0
		.amdhsa_system_vgpr_workitem_id 0
		.amdhsa_next_free_vgpr 26
		.amdhsa_next_free_sgpr 50
		.amdhsa_reserve_vcc 1
		.amdhsa_reserve_flat_scratch 0
		.amdhsa_float_round_mode_32 0
		.amdhsa_float_round_mode_16_64 0
		.amdhsa_float_denorm_mode_32 3
		.amdhsa_float_denorm_mode_16_64 3
		.amdhsa_dx10_clamp 1
		.amdhsa_ieee_mode 1
		.amdhsa_fp16_overflow 0
		.amdhsa_exception_fp_ieee_invalid_op 0
		.amdhsa_exception_fp_denorm_src 0
		.amdhsa_exception_fp_ieee_div_zero 0
		.amdhsa_exception_fp_ieee_overflow 0
		.amdhsa_exception_fp_ieee_underflow 0
		.amdhsa_exception_fp_ieee_inexact 0
		.amdhsa_exception_int_div_zero 0
	.end_amdhsa_kernel
	.section	.text._ZN2at4cuda17kernelHistogram1DIddlLi1ELi2ELin1ELNS0_23CUDAHistogramMemoryTypeE0EZNS0_21CUDA_tensor_histogramIddLb0EEEbNS_6TensorES4_S4_lNS_14AccumulateTypeIT0_Lb1EE4typeES8_NS0_13TensorArgTypeES9_S9_EUllE0_EEvNS0_6detail10TensorInfoIT_T1_EESF_NSC_IKS6_SE_EElS8_S8_SE_T6_,"axG",@progbits,_ZN2at4cuda17kernelHistogram1DIddlLi1ELi2ELin1ELNS0_23CUDAHistogramMemoryTypeE0EZNS0_21CUDA_tensor_histogramIddLb0EEEbNS_6TensorES4_S4_lNS_14AccumulateTypeIT0_Lb1EE4typeES8_NS0_13TensorArgTypeES9_S9_EUllE0_EEvNS0_6detail10TensorInfoIT_T1_EESF_NSC_IKS6_SE_EElS8_S8_SE_T6_,comdat
.Lfunc_end78:
	.size	_ZN2at4cuda17kernelHistogram1DIddlLi1ELi2ELin1ELNS0_23CUDAHistogramMemoryTypeE0EZNS0_21CUDA_tensor_histogramIddLb0EEEbNS_6TensorES4_S4_lNS_14AccumulateTypeIT0_Lb1EE4typeES8_NS0_13TensorArgTypeES9_S9_EUllE0_EEvNS0_6detail10TensorInfoIT_T1_EESF_NSC_IKS6_SE_EElS8_S8_SE_T6_, .Lfunc_end78-_ZN2at4cuda17kernelHistogram1DIddlLi1ELi2ELin1ELNS0_23CUDAHistogramMemoryTypeE0EZNS0_21CUDA_tensor_histogramIddLb0EEEbNS_6TensorES4_S4_lNS_14AccumulateTypeIT0_Lb1EE4typeES8_NS0_13TensorArgTypeES9_S9_EUllE0_EEvNS0_6detail10TensorInfoIT_T1_EESF_NSC_IKS6_SE_EElS8_S8_SE_T6_
                                        ; -- End function
	.set _ZN2at4cuda17kernelHistogram1DIddlLi1ELi2ELin1ELNS0_23CUDAHistogramMemoryTypeE0EZNS0_21CUDA_tensor_histogramIddLb0EEEbNS_6TensorES4_S4_lNS_14AccumulateTypeIT0_Lb1EE4typeES8_NS0_13TensorArgTypeES9_S9_EUllE0_EEvNS0_6detail10TensorInfoIT_T1_EESF_NSC_IKS6_SE_EElS8_S8_SE_T6_.num_vgpr, 26
	.set _ZN2at4cuda17kernelHistogram1DIddlLi1ELi2ELin1ELNS0_23CUDAHistogramMemoryTypeE0EZNS0_21CUDA_tensor_histogramIddLb0EEEbNS_6TensorES4_S4_lNS_14AccumulateTypeIT0_Lb1EE4typeES8_NS0_13TensorArgTypeES9_S9_EUllE0_EEvNS0_6detail10TensorInfoIT_T1_EESF_NSC_IKS6_SE_EElS8_S8_SE_T6_.num_agpr, 0
	.set _ZN2at4cuda17kernelHistogram1DIddlLi1ELi2ELin1ELNS0_23CUDAHistogramMemoryTypeE0EZNS0_21CUDA_tensor_histogramIddLb0EEEbNS_6TensorES4_S4_lNS_14AccumulateTypeIT0_Lb1EE4typeES8_NS0_13TensorArgTypeES9_S9_EUllE0_EEvNS0_6detail10TensorInfoIT_T1_EESF_NSC_IKS6_SE_EElS8_S8_SE_T6_.numbered_sgpr, 50
	.set _ZN2at4cuda17kernelHistogram1DIddlLi1ELi2ELin1ELNS0_23CUDAHistogramMemoryTypeE0EZNS0_21CUDA_tensor_histogramIddLb0EEEbNS_6TensorES4_S4_lNS_14AccumulateTypeIT0_Lb1EE4typeES8_NS0_13TensorArgTypeES9_S9_EUllE0_EEvNS0_6detail10TensorInfoIT_T1_EESF_NSC_IKS6_SE_EElS8_S8_SE_T6_.num_named_barrier, 0
	.set _ZN2at4cuda17kernelHistogram1DIddlLi1ELi2ELin1ELNS0_23CUDAHistogramMemoryTypeE0EZNS0_21CUDA_tensor_histogramIddLb0EEEbNS_6TensorES4_S4_lNS_14AccumulateTypeIT0_Lb1EE4typeES8_NS0_13TensorArgTypeES9_S9_EUllE0_EEvNS0_6detail10TensorInfoIT_T1_EESF_NSC_IKS6_SE_EElS8_S8_SE_T6_.private_seg_size, 0
	.set _ZN2at4cuda17kernelHistogram1DIddlLi1ELi2ELin1ELNS0_23CUDAHistogramMemoryTypeE0EZNS0_21CUDA_tensor_histogramIddLb0EEEbNS_6TensorES4_S4_lNS_14AccumulateTypeIT0_Lb1EE4typeES8_NS0_13TensorArgTypeES9_S9_EUllE0_EEvNS0_6detail10TensorInfoIT_T1_EESF_NSC_IKS6_SE_EElS8_S8_SE_T6_.uses_vcc, 1
	.set _ZN2at4cuda17kernelHistogram1DIddlLi1ELi2ELin1ELNS0_23CUDAHistogramMemoryTypeE0EZNS0_21CUDA_tensor_histogramIddLb0EEEbNS_6TensorES4_S4_lNS_14AccumulateTypeIT0_Lb1EE4typeES8_NS0_13TensorArgTypeES9_S9_EUllE0_EEvNS0_6detail10TensorInfoIT_T1_EESF_NSC_IKS6_SE_EElS8_S8_SE_T6_.uses_flat_scratch, 0
	.set _ZN2at4cuda17kernelHistogram1DIddlLi1ELi2ELin1ELNS0_23CUDAHistogramMemoryTypeE0EZNS0_21CUDA_tensor_histogramIddLb0EEEbNS_6TensorES4_S4_lNS_14AccumulateTypeIT0_Lb1EE4typeES8_NS0_13TensorArgTypeES9_S9_EUllE0_EEvNS0_6detail10TensorInfoIT_T1_EESF_NSC_IKS6_SE_EElS8_S8_SE_T6_.has_dyn_sized_stack, 0
	.set _ZN2at4cuda17kernelHistogram1DIddlLi1ELi2ELin1ELNS0_23CUDAHistogramMemoryTypeE0EZNS0_21CUDA_tensor_histogramIddLb0EEEbNS_6TensorES4_S4_lNS_14AccumulateTypeIT0_Lb1EE4typeES8_NS0_13TensorArgTypeES9_S9_EUllE0_EEvNS0_6detail10TensorInfoIT_T1_EESF_NSC_IKS6_SE_EElS8_S8_SE_T6_.has_recursion, 0
	.set _ZN2at4cuda17kernelHistogram1DIddlLi1ELi2ELin1ELNS0_23CUDAHistogramMemoryTypeE0EZNS0_21CUDA_tensor_histogramIddLb0EEEbNS_6TensorES4_S4_lNS_14AccumulateTypeIT0_Lb1EE4typeES8_NS0_13TensorArgTypeES9_S9_EUllE0_EEvNS0_6detail10TensorInfoIT_T1_EESF_NSC_IKS6_SE_EElS8_S8_SE_T6_.has_indirect_call, 0
	.section	.AMDGPU.csdata,"",@progbits
; Kernel info:
; codeLenInByte = 1832
; TotalNumSgprs: 54
; NumVgprs: 26
; ScratchSize: 0
; MemoryBound: 0
; FloatMode: 240
; IeeeMode: 1
; LDSByteSize: 0 bytes/workgroup (compile time only)
; SGPRBlocks: 6
; VGPRBlocks: 6
; NumSGPRsForWavesPerEU: 54
; NumVGPRsForWavesPerEU: 26
; Occupancy: 9
; WaveLimiterHint : 1
; COMPUTE_PGM_RSRC2:SCRATCH_EN: 0
; COMPUTE_PGM_RSRC2:USER_SGPR: 6
; COMPUTE_PGM_RSRC2:TRAP_HANDLER: 0
; COMPUTE_PGM_RSRC2:TGID_X_EN: 1
; COMPUTE_PGM_RSRC2:TGID_Y_EN: 0
; COMPUTE_PGM_RSRC2:TGID_Z_EN: 0
; COMPUTE_PGM_RSRC2:TIDIG_COMP_CNT: 0
	.section	.text._ZN2at4cuda17kernelHistogram1DIddlLi1ELi2ELin1ELNS0_23CUDAHistogramMemoryTypeE1EZNS0_21CUDA_tensor_histogramIddLb0EEEbNS_6TensorES4_S4_lNS_14AccumulateTypeIT0_Lb1EE4typeES8_NS0_13TensorArgTypeES9_S9_EUllE0_EEvNS0_6detail10TensorInfoIT_T1_EESF_NSC_IKS6_SE_EElS8_S8_SE_T6_,"axG",@progbits,_ZN2at4cuda17kernelHistogram1DIddlLi1ELi2ELin1ELNS0_23CUDAHistogramMemoryTypeE1EZNS0_21CUDA_tensor_histogramIddLb0EEEbNS_6TensorES4_S4_lNS_14AccumulateTypeIT0_Lb1EE4typeES8_NS0_13TensorArgTypeES9_S9_EUllE0_EEvNS0_6detail10TensorInfoIT_T1_EESF_NSC_IKS6_SE_EElS8_S8_SE_T6_,comdat
	.protected	_ZN2at4cuda17kernelHistogram1DIddlLi1ELi2ELin1ELNS0_23CUDAHistogramMemoryTypeE1EZNS0_21CUDA_tensor_histogramIddLb0EEEbNS_6TensorES4_S4_lNS_14AccumulateTypeIT0_Lb1EE4typeES8_NS0_13TensorArgTypeES9_S9_EUllE0_EEvNS0_6detail10TensorInfoIT_T1_EESF_NSC_IKS6_SE_EElS8_S8_SE_T6_ ; -- Begin function _ZN2at4cuda17kernelHistogram1DIddlLi1ELi2ELin1ELNS0_23CUDAHistogramMemoryTypeE1EZNS0_21CUDA_tensor_histogramIddLb0EEEbNS_6TensorES4_S4_lNS_14AccumulateTypeIT0_Lb1EE4typeES8_NS0_13TensorArgTypeES9_S9_EUllE0_EEvNS0_6detail10TensorInfoIT_T1_EESF_NSC_IKS6_SE_EElS8_S8_SE_T6_
	.globl	_ZN2at4cuda17kernelHistogram1DIddlLi1ELi2ELin1ELNS0_23CUDAHistogramMemoryTypeE1EZNS0_21CUDA_tensor_histogramIddLb0EEEbNS_6TensorES4_S4_lNS_14AccumulateTypeIT0_Lb1EE4typeES8_NS0_13TensorArgTypeES9_S9_EUllE0_EEvNS0_6detail10TensorInfoIT_T1_EESF_NSC_IKS6_SE_EElS8_S8_SE_T6_
	.p2align	8
	.type	_ZN2at4cuda17kernelHistogram1DIddlLi1ELi2ELin1ELNS0_23CUDAHistogramMemoryTypeE1EZNS0_21CUDA_tensor_histogramIddLb0EEEbNS_6TensorES4_S4_lNS_14AccumulateTypeIT0_Lb1EE4typeES8_NS0_13TensorArgTypeES9_S9_EUllE0_EEvNS0_6detail10TensorInfoIT_T1_EESF_NSC_IKS6_SE_EElS8_S8_SE_T6_,@function
_ZN2at4cuda17kernelHistogram1DIddlLi1ELi2ELin1ELNS0_23CUDAHistogramMemoryTypeE1EZNS0_21CUDA_tensor_histogramIddLb0EEEbNS_6TensorES4_S4_lNS_14AccumulateTypeIT0_Lb1EE4typeES8_NS0_13TensorArgTypeES9_S9_EUllE0_EEvNS0_6detail10TensorInfoIT_T1_EESF_NSC_IKS6_SE_EElS8_S8_SE_T6_: ; @_ZN2at4cuda17kernelHistogram1DIddlLi1ELi2ELin1ELNS0_23CUDAHistogramMemoryTypeE1EZNS0_21CUDA_tensor_histogramIddLb0EEEbNS_6TensorES4_S4_lNS_14AccumulateTypeIT0_Lb1EE4typeES8_NS0_13TensorArgTypeES9_S9_EUllE0_EEvNS0_6detail10TensorInfoIT_T1_EESF_NSC_IKS6_SE_EElS8_S8_SE_T6_
; %bb.0:
	s_load_dword s2, s[4:5], 0x514
	s_load_dwordx8 s[8:15], s[4:5], 0x4e0
	s_add_u32 s0, s4, 0x508
	s_addc_u32 s1, s5, 0
	v_mov_b32_e32 v6, 0
	s_waitcnt lgkmcnt(0)
	s_and_b32 s2, s2, 0xffff
	s_mul_i32 s6, s6, s2
	v_add_u32_e32 v4, s6, v0
	v_mov_b32_e32 v5, v6
	v_cmp_gt_i64_e32 vcc, s[14:15], v[4:5]
	s_and_saveexec_b64 s[6:7], vcc
	s_cbranch_execz .LBB79_13
; %bb.1:
	v_cvt_f64_i32_e32 v[0:1], s9
	v_cvt_f64_u32_e32 v[2:3], s8
	s_load_dword s22, s[4:5], 0x4d8
	s_load_dword s3, s[0:1], 0x0
	v_ldexp_f64 v[0:1], v[0:1], 32
	s_add_u32 s23, s4, 0x340
	s_addc_u32 s24, s5, 0
	s_waitcnt lgkmcnt(0)
	s_cmp_gt_i32 s22, 1
	s_load_dwordx2 s[6:7], s[4:5], 0x0
	s_load_dwordx2 s[16:17], s[4:5], 0xd0
	;; [unrolled: 1-line block ×4, first 2 shown]
	s_cselect_b64 s[0:1], -1, 0
	s_mul_i32 s33, s3, s2
	s_mov_b32 s3, 0
	v_add_f64 v[8:9], v[0:1], v[2:3]
	v_mov_b32_e32 v0, s10
	v_mov_b32_e32 v1, s11
	v_add_f64 v[10:11], s[12:13], -v[0:1]
	s_add_i32 s2, s22, -1
	s_add_i32 s36, s22, 1
	s_lshl_b64 s[2:3], s[2:3], 3
	s_add_u32 s2, s23, s2
	s_addc_u32 s3, s24, s3
	s_add_u32 s4, s2, 8
	v_cndmask_b32_e64 v0, 0, 1, s[0:1]
	s_addc_u32 s5, s3, 0
	s_mov_b64 s[22:23], 0
	v_cmp_ne_u32_e64 s[0:1], 1, v0
	s_branch .LBB79_3
.LBB79_2:                               ;   in Loop: Header=BB79_3 Depth=1
	s_or_b64 exec, exec, s[2:3]
	v_add_co_u32_e32 v4, vcc, s33, v4
	v_addc_co_u32_e32 v5, vcc, 0, v5, vcc
	v_cmp_le_i64_e32 vcc, s[14:15], v[4:5]
	s_or_b64 s[22:23], vcc, s[22:23]
	s_andn2_b64 exec, exec, s[22:23]
	s_cbranch_execz .LBB79_13
.LBB79_3:                               ; =>This Loop Header: Depth=1
                                        ;     Child Loop BB79_4 Depth 2
                                        ;     Child Loop BB79_12 Depth 2
	v_mov_b32_e32 v0, 0
	v_mov_b32_e32 v2, v4
	;; [unrolled: 1-line block ×4, first 2 shown]
	s_and_b64 vcc, exec, s[0:1]
	s_mov_b64 s[24:25], s[4:5]
	s_mov_b32 s37, s36
	v_mov_b32_e32 v3, v5
	v_mov_b32_e32 v12, v4
	s_cbranch_vccnz .LBB79_10
.LBB79_4:                               ;   Parent Loop BB79_3 Depth=1
                                        ; =>  This Inner Loop Header: Depth=2
	s_load_dwordx2 s[26:27], s[24:25], 0x0
                                        ; implicit-def: $vgpr12_vgpr13
	s_waitcnt lgkmcnt(0)
	v_or_b32_e32 v7, s27, v3
	v_cmp_ne_u64_e32 vcc, 0, v[6:7]
	s_and_saveexec_b64 s[2:3], vcc
	s_xor_b64 s[28:29], exec, s[2:3]
	s_cbranch_execz .LBB79_6
; %bb.5:                                ;   in Loop: Header=BB79_4 Depth=2
	s_ashr_i32 s30, s27, 31
	s_add_u32 s2, s26, s30
	s_mov_b32 s31, s30
	s_addc_u32 s3, s27, s30
	s_xor_b64 s[34:35], s[2:3], s[30:31]
	v_cvt_f32_u32_e32 v7, s34
	v_cvt_f32_u32_e32 v12, s35
	s_sub_u32 s31, 0, s34
	s_subb_u32 s38, 0, s35
	v_mac_f32_e32 v7, 0x4f800000, v12
	v_rcp_f32_e32 v7, v7
	v_mul_f32_e32 v7, 0x5f7ffffc, v7
	v_mul_f32_e32 v12, 0x2f800000, v7
	v_trunc_f32_e32 v12, v12
	v_mac_f32_e32 v7, 0xcf800000, v12
	v_cvt_u32_f32_e32 v12, v12
	v_cvt_u32_f32_e32 v7, v7
	v_readfirstlane_b32 s39, v12
	v_readfirstlane_b32 s2, v7
	s_mul_i32 s3, s31, s39
	s_mul_hi_u32 s41, s31, s2
	s_mul_i32 s40, s38, s2
	s_add_i32 s3, s41, s3
	s_add_i32 s3, s3, s40
	s_mul_i32 s42, s31, s2
	s_mul_i32 s41, s2, s3
	s_mul_hi_u32 s43, s2, s42
	s_mul_hi_u32 s40, s2, s3
	s_add_u32 s41, s43, s41
	s_addc_u32 s40, 0, s40
	s_mul_hi_u32 s44, s39, s42
	s_mul_i32 s42, s39, s42
	s_add_u32 s41, s41, s42
	s_mul_hi_u32 s43, s39, s3
	s_addc_u32 s40, s40, s44
	s_addc_u32 s41, s43, 0
	s_mul_i32 s3, s39, s3
	s_add_u32 s3, s40, s3
	s_addc_u32 s40, 0, s41
	s_add_u32 s41, s2, s3
	s_cselect_b64 s[2:3], -1, 0
	s_cmp_lg_u64 s[2:3], 0
	s_addc_u32 s39, s39, s40
	s_mul_i32 s2, s31, s39
	s_mul_hi_u32 s3, s31, s41
	s_add_i32 s2, s3, s2
	s_mul_i32 s38, s38, s41
	s_add_i32 s2, s2, s38
	s_mul_i32 s31, s31, s41
	s_mul_hi_u32 s38, s39, s31
	s_mul_i32 s40, s39, s31
	s_mul_i32 s43, s41, s2
	s_mul_hi_u32 s31, s41, s31
	s_mul_hi_u32 s42, s41, s2
	s_add_u32 s31, s31, s43
	s_addc_u32 s42, 0, s42
	s_add_u32 s31, s31, s40
	s_mul_hi_u32 s3, s39, s2
	s_addc_u32 s31, s42, s38
	s_addc_u32 s3, s3, 0
	s_mul_i32 s2, s39, s2
	s_add_u32 s2, s31, s2
	s_addc_u32 s31, 0, s3
	s_add_u32 s38, s41, s2
	s_cselect_b64 s[2:3], -1, 0
	v_ashrrev_i32_e32 v7, 31, v3
	s_cmp_lg_u64 s[2:3], 0
	v_add_co_u32_e32 v12, vcc, v2, v7
	s_addc_u32 s31, s39, s31
	v_xor_b32_e32 v16, v12, v7
	v_mad_u64_u32 v[12:13], s[2:3], v16, s31, 0
	v_mul_hi_u32 v15, v16, s38
	v_addc_co_u32_e32 v14, vcc, v3, v7, vcc
	v_xor_b32_e32 v17, v14, v7
	v_add_co_u32_e32 v18, vcc, v15, v12
	v_addc_co_u32_e32 v19, vcc, 0, v13, vcc
	v_mad_u64_u32 v[12:13], s[2:3], v17, s38, 0
	v_mad_u64_u32 v[14:15], s[2:3], v17, s31, 0
	v_add_co_u32_e32 v12, vcc, v18, v12
	v_addc_co_u32_e32 v12, vcc, v19, v13, vcc
	v_addc_co_u32_e32 v13, vcc, 0, v15, vcc
	v_add_co_u32_e32 v14, vcc, v12, v14
	v_addc_co_u32_e32 v15, vcc, 0, v13, vcc
	v_mul_lo_u32 v18, s35, v14
	v_mul_lo_u32 v19, s34, v15
	v_mad_u64_u32 v[12:13], s[2:3], s34, v14, 0
	v_xor_b32_e32 v7, s30, v7
	v_add3_u32 v13, v13, v19, v18
	v_sub_u32_e32 v18, v17, v13
	v_mov_b32_e32 v19, s35
	v_sub_co_u32_e32 v12, vcc, v16, v12
	v_subb_co_u32_e64 v16, s[2:3], v18, v19, vcc
	v_subrev_co_u32_e64 v18, s[2:3], s34, v12
	v_subbrev_co_u32_e64 v16, s[2:3], 0, v16, s[2:3]
	v_cmp_le_u32_e64 s[2:3], s35, v16
	v_cndmask_b32_e64 v19, 0, -1, s[2:3]
	v_cmp_le_u32_e64 s[2:3], s34, v18
	v_cndmask_b32_e64 v18, 0, -1, s[2:3]
	v_cmp_eq_u32_e64 s[2:3], s35, v16
	v_cndmask_b32_e64 v16, v19, v18, s[2:3]
	v_add_co_u32_e64 v18, s[2:3], 2, v14
	v_subb_co_u32_e32 v13, vcc, v17, v13, vcc
	v_addc_co_u32_e64 v19, s[2:3], 0, v15, s[2:3]
	v_cmp_le_u32_e32 vcc, s35, v13
	v_add_co_u32_e64 v20, s[2:3], 1, v14
	v_cndmask_b32_e64 v17, 0, -1, vcc
	v_cmp_le_u32_e32 vcc, s34, v12
	v_addc_co_u32_e64 v21, s[2:3], 0, v15, s[2:3]
	v_cndmask_b32_e64 v12, 0, -1, vcc
	v_cmp_eq_u32_e32 vcc, s35, v13
	v_cmp_ne_u32_e64 s[2:3], 0, v16
	v_cndmask_b32_e32 v12, v17, v12, vcc
	v_cndmask_b32_e64 v16, v21, v19, s[2:3]
	v_cmp_ne_u32_e32 vcc, 0, v12
	v_cndmask_b32_e64 v13, v20, v18, s[2:3]
	v_cndmask_b32_e32 v12, v15, v16, vcc
	v_cndmask_b32_e32 v13, v14, v13, vcc
	v_xor_b32_e32 v14, v12, v7
	v_xor_b32_e32 v12, v13, v7
	v_sub_co_u32_e32 v12, vcc, v12, v7
	v_subb_co_u32_e32 v13, vcc, v14, v7, vcc
.LBB79_6:                               ;   in Loop: Header=BB79_4 Depth=2
	s_andn2_saveexec_b64 s[2:3], s[28:29]
	s_cbranch_execz .LBB79_8
; %bb.7:                                ;   in Loop: Header=BB79_4 Depth=2
	v_cvt_f32_u32_e32 v7, s26
	s_sub_i32 s28, 0, s26
	v_rcp_iflag_f32_e32 v7, v7
	v_mul_f32_e32 v7, 0x4f7ffffe, v7
	v_cvt_u32_f32_e32 v7, v7
	v_mul_lo_u32 v12, s28, v7
	v_mul_hi_u32 v12, v7, v12
	v_add_u32_e32 v7, v7, v12
	v_mul_hi_u32 v7, v2, v7
	v_mul_lo_u32 v12, v7, s26
	v_add_u32_e32 v13, 1, v7
	v_sub_u32_e32 v12, v2, v12
	v_subrev_u32_e32 v14, s26, v12
	v_cmp_le_u32_e32 vcc, s26, v12
	v_cndmask_b32_e32 v12, v12, v14, vcc
	v_cndmask_b32_e32 v7, v7, v13, vcc
	v_add_u32_e32 v13, 1, v7
	v_cmp_le_u32_e32 vcc, s26, v12
	v_cndmask_b32_e32 v12, v7, v13, vcc
	v_mov_b32_e32 v13, v6
.LBB79_8:                               ;   in Loop: Header=BB79_4 Depth=2
	s_or_b64 exec, exec, s[2:3]
	v_mul_lo_u32 v7, v13, s26
	v_mul_lo_u32 v16, v12, s27
	v_mad_u64_u32 v[14:15], s[2:3], v12, s26, 0
	s_load_dwordx2 s[2:3], s[24:25], 0xc8
	s_add_i32 s37, s37, -1
	v_add3_u32 v7, v15, v16, v7
	v_sub_co_u32_e32 v2, vcc, v2, v14
	v_subb_co_u32_e32 v3, vcc, v3, v7, vcc
	s_waitcnt lgkmcnt(0)
	v_mul_lo_u32 v3, s2, v3
	v_mul_lo_u32 v7, s3, v2
	v_mad_u64_u32 v[0:1], s[2:3], s2, v2, v[0:1]
	s_add_u32 s24, s24, -8
	s_addc_u32 s25, s25, -1
	s_cmp_gt_u32 s37, 2
	v_add3_u32 v1, v7, v1, v3
	s_cbranch_scc0 .LBB79_10
; %bb.9:                                ;   in Loop: Header=BB79_4 Depth=2
	v_mov_b32_e32 v2, v12
	v_mov_b32_e32 v3, v13
	s_branch .LBB79_4
.LBB79_10:                              ;   in Loop: Header=BB79_3 Depth=1
	s_waitcnt lgkmcnt(0)
	v_mul_lo_u32 v7, s19, v12
	v_mul_lo_u32 v13, s18, v13
	v_mad_u64_u32 v[2:3], s[2:3], s18, v12, 0
	v_lshlrev_b64 v[0:1], 3, v[0:1]
	v_add3_u32 v3, v3, v13, v7
	v_lshlrev_b64 v[2:3], 3, v[2:3]
	v_mov_b32_e32 v7, s21
	v_add_co_u32_e32 v2, vcc, s20, v2
	v_addc_co_u32_e32 v3, vcc, v7, v3, vcc
	v_add_co_u32_e32 v0, vcc, v2, v0
	v_addc_co_u32_e32 v1, vcc, v3, v1, vcc
	global_load_dwordx2 v[0:1], v[0:1], off
	s_waitcnt vmcnt(0)
	v_cmp_le_f64_e32 vcc, s[10:11], v[0:1]
	v_cmp_ge_f64_e64 s[2:3], s[12:13], v[0:1]
	s_and_b64 s[24:25], vcc, s[2:3]
	s_and_saveexec_b64 s[2:3], s[24:25]
	s_cbranch_execz .LBB79_2
; %bb.11:                               ;   in Loop: Header=BB79_3 Depth=1
	v_add_f64 v[0:1], v[0:1], -s[10:11]
	v_mov_b32_e32 v7, s7
	v_mul_f64 v[0:1], v[0:1], v[8:9]
	v_div_scale_f64 v[2:3], s[24:25], v[10:11], v[10:11], v[0:1]
	v_rcp_f64_e32 v[12:13], v[2:3]
	v_fma_f64 v[14:15], -v[2:3], v[12:13], 1.0
	v_fma_f64 v[12:13], v[12:13], v[14:15], v[12:13]
	v_div_scale_f64 v[14:15], vcc, v[0:1], v[10:11], v[0:1]
	v_fma_f64 v[16:17], -v[2:3], v[12:13], 1.0
	v_fma_f64 v[12:13], v[12:13], v[16:17], v[12:13]
	v_mul_f64 v[16:17], v[14:15], v[12:13]
	v_fma_f64 v[2:3], -v[2:3], v[16:17], v[14:15]
	v_div_fmas_f64 v[2:3], v[2:3], v[12:13], v[16:17]
	v_div_fixup_f64 v[0:1], v[2:3], v[10:11], v[0:1]
	v_cvt_i32_f64_e32 v0, v[0:1]
	v_ashrrev_i32_e32 v1, 31, v0
	v_cmp_eq_u64_e32 vcc, s[8:9], v[0:1]
	v_cndmask_b32_e64 v2, 0, 1, vcc
	v_sub_co_u32_e32 v0, vcc, v0, v2
	v_subbrev_co_u32_e32 v1, vcc, 0, v1, vcc
	v_mul_lo_u32 v2, v1, s16
	v_mul_lo_u32 v3, v0, s17
	v_mad_u64_u32 v[0:1], s[24:25], v0, s16, 0
	s_mov_b64 s[24:25], 0
	v_add3_u32 v1, v1, v3, v2
	v_lshlrev_b64 v[0:1], 3, v[0:1]
	v_add_co_u32_e32 v12, vcc, s6, v0
	v_addc_co_u32_e32 v13, vcc, v7, v1, vcc
	global_load_dwordx2 v[2:3], v[12:13], off
.LBB79_12:                              ;   Parent Loop BB79_3 Depth=1
                                        ; =>  This Inner Loop Header: Depth=2
	s_waitcnt vmcnt(0)
	v_add_f64 v[0:1], v[2:3], 1.0
	global_atomic_cmpswap_x2 v[0:1], v[12:13], v[0:3], off glc
	s_waitcnt vmcnt(0)
	v_cmp_eq_u64_e32 vcc, v[0:1], v[2:3]
	v_mov_b32_e32 v3, v1
	s_or_b64 s[24:25], vcc, s[24:25]
	v_mov_b32_e32 v2, v0
	s_andn2_b64 exec, exec, s[24:25]
	s_cbranch_execnz .LBB79_12
	s_branch .LBB79_2
.LBB79_13:
	s_endpgm
	.section	.rodata,"a",@progbits
	.p2align	6, 0x0
	.amdhsa_kernel _ZN2at4cuda17kernelHistogram1DIddlLi1ELi2ELin1ELNS0_23CUDAHistogramMemoryTypeE1EZNS0_21CUDA_tensor_histogramIddLb0EEEbNS_6TensorES4_S4_lNS_14AccumulateTypeIT0_Lb1EE4typeES8_NS0_13TensorArgTypeES9_S9_EUllE0_EEvNS0_6detail10TensorInfoIT_T1_EESF_NSC_IKS6_SE_EElS8_S8_SE_T6_
		.amdhsa_group_segment_fixed_size 0
		.amdhsa_private_segment_fixed_size 0
		.amdhsa_kernarg_size 1544
		.amdhsa_user_sgpr_count 6
		.amdhsa_user_sgpr_private_segment_buffer 1
		.amdhsa_user_sgpr_dispatch_ptr 0
		.amdhsa_user_sgpr_queue_ptr 0
		.amdhsa_user_sgpr_kernarg_segment_ptr 1
		.amdhsa_user_sgpr_dispatch_id 0
		.amdhsa_user_sgpr_flat_scratch_init 0
		.amdhsa_user_sgpr_private_segment_size 0
		.amdhsa_uses_dynamic_stack 0
		.amdhsa_system_sgpr_private_segment_wavefront_offset 0
		.amdhsa_system_sgpr_workgroup_id_x 1
		.amdhsa_system_sgpr_workgroup_id_y 0
		.amdhsa_system_sgpr_workgroup_id_z 0
		.amdhsa_system_sgpr_workgroup_info 0
		.amdhsa_system_vgpr_workitem_id 0
		.amdhsa_next_free_vgpr 22
		.amdhsa_next_free_sgpr 45
		.amdhsa_reserve_vcc 1
		.amdhsa_reserve_flat_scratch 0
		.amdhsa_float_round_mode_32 0
		.amdhsa_float_round_mode_16_64 0
		.amdhsa_float_denorm_mode_32 3
		.amdhsa_float_denorm_mode_16_64 3
		.amdhsa_dx10_clamp 1
		.amdhsa_ieee_mode 1
		.amdhsa_fp16_overflow 0
		.amdhsa_exception_fp_ieee_invalid_op 0
		.amdhsa_exception_fp_denorm_src 0
		.amdhsa_exception_fp_ieee_div_zero 0
		.amdhsa_exception_fp_ieee_overflow 0
		.amdhsa_exception_fp_ieee_underflow 0
		.amdhsa_exception_fp_ieee_inexact 0
		.amdhsa_exception_int_div_zero 0
	.end_amdhsa_kernel
	.section	.text._ZN2at4cuda17kernelHistogram1DIddlLi1ELi2ELin1ELNS0_23CUDAHistogramMemoryTypeE1EZNS0_21CUDA_tensor_histogramIddLb0EEEbNS_6TensorES4_S4_lNS_14AccumulateTypeIT0_Lb1EE4typeES8_NS0_13TensorArgTypeES9_S9_EUllE0_EEvNS0_6detail10TensorInfoIT_T1_EESF_NSC_IKS6_SE_EElS8_S8_SE_T6_,"axG",@progbits,_ZN2at4cuda17kernelHistogram1DIddlLi1ELi2ELin1ELNS0_23CUDAHistogramMemoryTypeE1EZNS0_21CUDA_tensor_histogramIddLb0EEEbNS_6TensorES4_S4_lNS_14AccumulateTypeIT0_Lb1EE4typeES8_NS0_13TensorArgTypeES9_S9_EUllE0_EEvNS0_6detail10TensorInfoIT_T1_EESF_NSC_IKS6_SE_EElS8_S8_SE_T6_,comdat
.Lfunc_end79:
	.size	_ZN2at4cuda17kernelHistogram1DIddlLi1ELi2ELin1ELNS0_23CUDAHistogramMemoryTypeE1EZNS0_21CUDA_tensor_histogramIddLb0EEEbNS_6TensorES4_S4_lNS_14AccumulateTypeIT0_Lb1EE4typeES8_NS0_13TensorArgTypeES9_S9_EUllE0_EEvNS0_6detail10TensorInfoIT_T1_EESF_NSC_IKS6_SE_EElS8_S8_SE_T6_, .Lfunc_end79-_ZN2at4cuda17kernelHistogram1DIddlLi1ELi2ELin1ELNS0_23CUDAHistogramMemoryTypeE1EZNS0_21CUDA_tensor_histogramIddLb0EEEbNS_6TensorES4_S4_lNS_14AccumulateTypeIT0_Lb1EE4typeES8_NS0_13TensorArgTypeES9_S9_EUllE0_EEvNS0_6detail10TensorInfoIT_T1_EESF_NSC_IKS6_SE_EElS8_S8_SE_T6_
                                        ; -- End function
	.set _ZN2at4cuda17kernelHistogram1DIddlLi1ELi2ELin1ELNS0_23CUDAHistogramMemoryTypeE1EZNS0_21CUDA_tensor_histogramIddLb0EEEbNS_6TensorES4_S4_lNS_14AccumulateTypeIT0_Lb1EE4typeES8_NS0_13TensorArgTypeES9_S9_EUllE0_EEvNS0_6detail10TensorInfoIT_T1_EESF_NSC_IKS6_SE_EElS8_S8_SE_T6_.num_vgpr, 22
	.set _ZN2at4cuda17kernelHistogram1DIddlLi1ELi2ELin1ELNS0_23CUDAHistogramMemoryTypeE1EZNS0_21CUDA_tensor_histogramIddLb0EEEbNS_6TensorES4_S4_lNS_14AccumulateTypeIT0_Lb1EE4typeES8_NS0_13TensorArgTypeES9_S9_EUllE0_EEvNS0_6detail10TensorInfoIT_T1_EESF_NSC_IKS6_SE_EElS8_S8_SE_T6_.num_agpr, 0
	.set _ZN2at4cuda17kernelHistogram1DIddlLi1ELi2ELin1ELNS0_23CUDAHistogramMemoryTypeE1EZNS0_21CUDA_tensor_histogramIddLb0EEEbNS_6TensorES4_S4_lNS_14AccumulateTypeIT0_Lb1EE4typeES8_NS0_13TensorArgTypeES9_S9_EUllE0_EEvNS0_6detail10TensorInfoIT_T1_EESF_NSC_IKS6_SE_EElS8_S8_SE_T6_.numbered_sgpr, 45
	.set _ZN2at4cuda17kernelHistogram1DIddlLi1ELi2ELin1ELNS0_23CUDAHistogramMemoryTypeE1EZNS0_21CUDA_tensor_histogramIddLb0EEEbNS_6TensorES4_S4_lNS_14AccumulateTypeIT0_Lb1EE4typeES8_NS0_13TensorArgTypeES9_S9_EUllE0_EEvNS0_6detail10TensorInfoIT_T1_EESF_NSC_IKS6_SE_EElS8_S8_SE_T6_.num_named_barrier, 0
	.set _ZN2at4cuda17kernelHistogram1DIddlLi1ELi2ELin1ELNS0_23CUDAHistogramMemoryTypeE1EZNS0_21CUDA_tensor_histogramIddLb0EEEbNS_6TensorES4_S4_lNS_14AccumulateTypeIT0_Lb1EE4typeES8_NS0_13TensorArgTypeES9_S9_EUllE0_EEvNS0_6detail10TensorInfoIT_T1_EESF_NSC_IKS6_SE_EElS8_S8_SE_T6_.private_seg_size, 0
	.set _ZN2at4cuda17kernelHistogram1DIddlLi1ELi2ELin1ELNS0_23CUDAHistogramMemoryTypeE1EZNS0_21CUDA_tensor_histogramIddLb0EEEbNS_6TensorES4_S4_lNS_14AccumulateTypeIT0_Lb1EE4typeES8_NS0_13TensorArgTypeES9_S9_EUllE0_EEvNS0_6detail10TensorInfoIT_T1_EESF_NSC_IKS6_SE_EElS8_S8_SE_T6_.uses_vcc, 1
	.set _ZN2at4cuda17kernelHistogram1DIddlLi1ELi2ELin1ELNS0_23CUDAHistogramMemoryTypeE1EZNS0_21CUDA_tensor_histogramIddLb0EEEbNS_6TensorES4_S4_lNS_14AccumulateTypeIT0_Lb1EE4typeES8_NS0_13TensorArgTypeES9_S9_EUllE0_EEvNS0_6detail10TensorInfoIT_T1_EESF_NSC_IKS6_SE_EElS8_S8_SE_T6_.uses_flat_scratch, 0
	.set _ZN2at4cuda17kernelHistogram1DIddlLi1ELi2ELin1ELNS0_23CUDAHistogramMemoryTypeE1EZNS0_21CUDA_tensor_histogramIddLb0EEEbNS_6TensorES4_S4_lNS_14AccumulateTypeIT0_Lb1EE4typeES8_NS0_13TensorArgTypeES9_S9_EUllE0_EEvNS0_6detail10TensorInfoIT_T1_EESF_NSC_IKS6_SE_EElS8_S8_SE_T6_.has_dyn_sized_stack, 0
	.set _ZN2at4cuda17kernelHistogram1DIddlLi1ELi2ELin1ELNS0_23CUDAHistogramMemoryTypeE1EZNS0_21CUDA_tensor_histogramIddLb0EEEbNS_6TensorES4_S4_lNS_14AccumulateTypeIT0_Lb1EE4typeES8_NS0_13TensorArgTypeES9_S9_EUllE0_EEvNS0_6detail10TensorInfoIT_T1_EESF_NSC_IKS6_SE_EElS8_S8_SE_T6_.has_recursion, 0
	.set _ZN2at4cuda17kernelHistogram1DIddlLi1ELi2ELin1ELNS0_23CUDAHistogramMemoryTypeE1EZNS0_21CUDA_tensor_histogramIddLb0EEEbNS_6TensorES4_S4_lNS_14AccumulateTypeIT0_Lb1EE4typeES8_NS0_13TensorArgTypeES9_S9_EUllE0_EEvNS0_6detail10TensorInfoIT_T1_EESF_NSC_IKS6_SE_EElS8_S8_SE_T6_.has_indirect_call, 0
	.section	.AMDGPU.csdata,"",@progbits
; Kernel info:
; codeLenInByte = 1528
; TotalNumSgprs: 49
; NumVgprs: 22
; ScratchSize: 0
; MemoryBound: 0
; FloatMode: 240
; IeeeMode: 1
; LDSByteSize: 0 bytes/workgroup (compile time only)
; SGPRBlocks: 6
; VGPRBlocks: 5
; NumSGPRsForWavesPerEU: 49
; NumVGPRsForWavesPerEU: 22
; Occupancy: 10
; WaveLimiterHint : 1
; COMPUTE_PGM_RSRC2:SCRATCH_EN: 0
; COMPUTE_PGM_RSRC2:USER_SGPR: 6
; COMPUTE_PGM_RSRC2:TRAP_HANDLER: 0
; COMPUTE_PGM_RSRC2:TGID_X_EN: 1
; COMPUTE_PGM_RSRC2:TGID_Y_EN: 0
; COMPUTE_PGM_RSRC2:TGID_Z_EN: 0
; COMPUTE_PGM_RSRC2:TIDIG_COMP_CNT: 0
	.section	.text._ZN2at4cuda17kernelHistogram1DIfflLi1ELi2ELin1ELNS0_23CUDAHistogramMemoryTypeE0EZNS0_21CUDA_tensor_histogramIffLb0EEEbNS_6TensorES4_S4_lNS_14AccumulateTypeIT0_Lb1EE4typeES8_NS0_13TensorArgTypeES9_S9_EUllE_EEvNS0_6detail10TensorInfoIT_T1_EESF_NSC_IKS6_SE_EElS8_S8_SE_T6_,"axG",@progbits,_ZN2at4cuda17kernelHistogram1DIfflLi1ELi2ELin1ELNS0_23CUDAHistogramMemoryTypeE0EZNS0_21CUDA_tensor_histogramIffLb0EEEbNS_6TensorES4_S4_lNS_14AccumulateTypeIT0_Lb1EE4typeES8_NS0_13TensorArgTypeES9_S9_EUllE_EEvNS0_6detail10TensorInfoIT_T1_EESF_NSC_IKS6_SE_EElS8_S8_SE_T6_,comdat
	.protected	_ZN2at4cuda17kernelHistogram1DIfflLi1ELi2ELin1ELNS0_23CUDAHistogramMemoryTypeE0EZNS0_21CUDA_tensor_histogramIffLb0EEEbNS_6TensorES4_S4_lNS_14AccumulateTypeIT0_Lb1EE4typeES8_NS0_13TensorArgTypeES9_S9_EUllE_EEvNS0_6detail10TensorInfoIT_T1_EESF_NSC_IKS6_SE_EElS8_S8_SE_T6_ ; -- Begin function _ZN2at4cuda17kernelHistogram1DIfflLi1ELi2ELin1ELNS0_23CUDAHistogramMemoryTypeE0EZNS0_21CUDA_tensor_histogramIffLb0EEEbNS_6TensorES4_S4_lNS_14AccumulateTypeIT0_Lb1EE4typeES8_NS0_13TensorArgTypeES9_S9_EUllE_EEvNS0_6detail10TensorInfoIT_T1_EESF_NSC_IKS6_SE_EElS8_S8_SE_T6_
	.globl	_ZN2at4cuda17kernelHistogram1DIfflLi1ELi2ELin1ELNS0_23CUDAHistogramMemoryTypeE0EZNS0_21CUDA_tensor_histogramIffLb0EEEbNS_6TensorES4_S4_lNS_14AccumulateTypeIT0_Lb1EE4typeES8_NS0_13TensorArgTypeES9_S9_EUllE_EEvNS0_6detail10TensorInfoIT_T1_EESF_NSC_IKS6_SE_EElS8_S8_SE_T6_
	.p2align	8
	.type	_ZN2at4cuda17kernelHistogram1DIfflLi1ELi2ELin1ELNS0_23CUDAHistogramMemoryTypeE0EZNS0_21CUDA_tensor_histogramIffLb0EEEbNS_6TensorES4_S4_lNS_14AccumulateTypeIT0_Lb1EE4typeES8_NS0_13TensorArgTypeES9_S9_EUllE_EEvNS0_6detail10TensorInfoIT_T1_EESF_NSC_IKS6_SE_EElS8_S8_SE_T6_,@function
_ZN2at4cuda17kernelHistogram1DIfflLi1ELi2ELin1ELNS0_23CUDAHistogramMemoryTypeE0EZNS0_21CUDA_tensor_histogramIffLb0EEEbNS_6TensorES4_S4_lNS_14AccumulateTypeIT0_Lb1EE4typeES8_NS0_13TensorArgTypeES9_S9_EUllE_EEvNS0_6detail10TensorInfoIT_T1_EESF_NSC_IKS6_SE_EElS8_S8_SE_T6_: ; @_ZN2at4cuda17kernelHistogram1DIfflLi1ELi2ELin1ELNS0_23CUDAHistogramMemoryTypeE0EZNS0_21CUDA_tensor_histogramIffLb0EEEbNS_6TensorES4_S4_lNS_14AccumulateTypeIT0_Lb1EE4typeES8_NS0_13TensorArgTypeES9_S9_EUllE_EEvNS0_6detail10TensorInfoIT_T1_EESF_NSC_IKS6_SE_EElS8_S8_SE_T6_
; %bb.0:
	s_load_dwordx4 s[8:11], s[4:5], 0x0
	v_mov_b32_e32 v1, 0
	s_add_u32 s2, s4, 0x698
	s_addc_u32 s3, s5, 0
                                        ; implicit-def: $sgpr14
                                        ; implicit-def: $sgpr7
	s_waitcnt lgkmcnt(0)
	v_cmp_gt_i64_e64 s[0:1], s[10:11], v[0:1]
	v_cmp_le_i64_e32 vcc, s[10:11], v[0:1]
	s_and_saveexec_b64 s[12:13], vcc
	s_xor_b64 s[12:13], exec, s[12:13]
	s_cbranch_execz .LBB80_2
; %bb.1:
	s_load_dword s14, s[2:3], 0xc
	s_waitcnt lgkmcnt(0)
	s_and_b32 s7, s14, 0xffff
.LBB80_2:
	s_or_saveexec_b64 s[12:13], s[12:13]
	s_load_dwordx2 s[20:21], s[4:5], 0xd0
	s_load_dwordx2 s[22:23], s[4:5], 0x5c8
	v_mov_b32_e32 v12, s14
	v_mov_b32_e32 v5, s7
	s_xor_b64 exec, exec, s[12:13]
	s_cbranch_execz .LBB80_6
; %bb.3:
	s_load_dword s7, s[2:3], 0xc
	v_mov_b32_e32 v3, v1
	v_lshl_add_u32 v4, v0, 2, 0
	s_mov_b64 s[14:15], 0
	v_mov_b32_e32 v5, 0
	s_waitcnt lgkmcnt(0)
	s_and_b32 s16, s7, 0xffff
	s_lshl_b32 s17, s16, 2
	v_mov_b32_e32 v2, v0
.LBB80_4:                               ; =>This Inner Loop Header: Depth=1
	v_add_co_u32_e32 v2, vcc, s16, v2
	v_addc_co_u32_e32 v3, vcc, 0, v3, vcc
	v_cmp_le_i64_e32 vcc, s[10:11], v[2:3]
	ds_write_b32 v4, v5
	s_or_b64 s[14:15], vcc, s[14:15]
	v_add_u32_e32 v4, s17, v4
	s_andn2_b64 exec, exec, s[14:15]
	s_cbranch_execnz .LBB80_4
; %bb.5:
	s_or_b64 exec, exec, s[14:15]
	v_mov_b32_e32 v12, s7
	v_mov_b32_e32 v5, s16
.LBB80_6:
	s_or_b64 exec, exec, s[12:13]
	s_load_dwordx4 s[12:15], s[4:5], 0x4f0
	v_mad_u64_u32 v[2:3], s[6:7], s6, v5, v[0:1]
	v_mov_b32_e32 v4, 0
	v_mov_b32_e32 v3, v4
	s_waitcnt lgkmcnt(0)
	v_cmp_gt_i64_e32 vcc, s[12:13], v[2:3]
	s_barrier
	s_and_saveexec_b64 s[6:7], vcc
	s_cbranch_execz .LBB80_18
; %bb.7:
	s_load_dword s28, s[4:5], 0x4d8
	s_load_dwordx4 s[16:19], s[4:5], 0x4e0
	s_load_dwordx2 s[24:25], s[4:5], 0x410
	s_add_u32 s29, s4, 0x340
	s_addc_u32 s30, s5, 0
	s_waitcnt lgkmcnt(0)
	s_flbit_i32 s26, s17
	s_cmp_gt_i32 s28, 1
	s_cselect_b64 s[34:35], -1, 0
	s_xor_b32 s27, s16, s17
	s_ashr_i32 s27, s27, 31
	s_add_i32 s26, s26, -1
	s_add_i32 s27, s27, 32
	s_min_u32 s31, s26, s27
	s_lshl_b64 s[26:27], s[16:17], s31
	s_min_u32 s26, s26, 1
	s_or_b32 s26, s27, s26
	v_cvt_f32_i32_e32 v6, s26
	s_load_dword s33, s[2:3], 0x0
	s_load_dwordx2 s[26:27], s[4:5], 0x340
	s_sub_i32 s2, 32, s31
	s_mov_b32 s3, 0
	v_ldexp_f32 v13, v6, s2
	s_add_i32 s2, s28, -1
	s_waitcnt lgkmcnt(0)
	v_mul_lo_u32 v15, s33, v5
	s_add_i32 s33, s28, 1
	s_lshl_b64 s[2:3], s[2:3], 3
	s_add_u32 s2, s29, s2
	s_addc_u32 s3, s30, s3
	v_mov_b32_e32 v6, s18
	s_add_u32 s28, s2, 8
	v_cndmask_b32_e64 v5, 0, 1, s[34:35]
	v_sub_f32_e32 v14, s19, v6
	s_addc_u32 s29, s3, 0
	s_mov_b64 s[30:31], 0
	v_cmp_ne_u32_e64 s[2:3], 1, v5
	s_branch .LBB80_9
.LBB80_8:                               ;   in Loop: Header=BB80_9 Depth=1
	s_or_b64 exec, exec, s[4:5]
	v_add_co_u32_e32 v2, vcc, v2, v15
	v_addc_co_u32_e32 v3, vcc, 0, v3, vcc
	v_cmp_le_i64_e32 vcc, s[12:13], v[2:3]
	s_or_b64 s[30:31], vcc, s[30:31]
	s_andn2_b64 exec, exec, s[30:31]
	s_cbranch_execz .LBB80_18
.LBB80_9:                               ; =>This Loop Header: Depth=1
                                        ;     Child Loop BB80_10 Depth 2
	v_mov_b32_e32 v6, 0
	v_mov_b32_e32 v9, v3
	;; [unrolled: 1-line block ×4, first 2 shown]
	s_and_b64 vcc, exec, s[2:3]
	s_mov_b64 s[34:35], s[28:29]
	s_mov_b32 s44, s33
	v_mov_b32_e32 v8, v2
	v_mov_b32_e32 v10, v2
	s_cbranch_vccnz .LBB80_16
.LBB80_10:                              ;   Parent Loop BB80_9 Depth=1
                                        ; =>  This Inner Loop Header: Depth=2
	s_load_dwordx2 s[36:37], s[34:35], 0x0
                                        ; implicit-def: $vgpr10_vgpr11
	s_waitcnt lgkmcnt(0)
	v_or_b32_e32 v5, s37, v9
	v_cmp_ne_u64_e32 vcc, 0, v[4:5]
	s_and_saveexec_b64 s[4:5], vcc
	s_xor_b64 s[38:39], exec, s[4:5]
	s_cbranch_execz .LBB80_12
; %bb.11:                               ;   in Loop: Header=BB80_10 Depth=2
	s_ashr_i32 s40, s37, 31
	s_add_u32 s4, s36, s40
	s_mov_b32 s41, s40
	s_addc_u32 s5, s37, s40
	s_xor_b64 s[42:43], s[4:5], s[40:41]
	v_cvt_f32_u32_e32 v5, s42
	v_cvt_f32_u32_e32 v10, s43
	s_sub_u32 s41, 0, s42
	s_subb_u32 s45, 0, s43
	v_mac_f32_e32 v5, 0x4f800000, v10
	v_rcp_f32_e32 v5, v5
	v_mul_f32_e32 v5, 0x5f7ffffc, v5
	v_mul_f32_e32 v10, 0x2f800000, v5
	v_trunc_f32_e32 v10, v10
	v_mac_f32_e32 v5, 0xcf800000, v10
	v_cvt_u32_f32_e32 v10, v10
	v_cvt_u32_f32_e32 v5, v5
	v_readfirstlane_b32 s46, v10
	v_readfirstlane_b32 s4, v5
	s_mul_i32 s5, s41, s46
	s_mul_hi_u32 s48, s41, s4
	s_mul_i32 s47, s45, s4
	s_add_i32 s5, s48, s5
	s_add_i32 s5, s5, s47
	s_mul_i32 s49, s41, s4
	s_mul_i32 s48, s4, s5
	s_mul_hi_u32 s50, s4, s49
	s_mul_hi_u32 s47, s4, s5
	s_add_u32 s48, s50, s48
	s_addc_u32 s47, 0, s47
	s_mul_hi_u32 s51, s46, s49
	s_mul_i32 s49, s46, s49
	s_add_u32 s48, s48, s49
	s_mul_hi_u32 s50, s46, s5
	s_addc_u32 s47, s47, s51
	s_addc_u32 s48, s50, 0
	s_mul_i32 s5, s46, s5
	s_add_u32 s5, s47, s5
	s_addc_u32 s47, 0, s48
	s_add_u32 s48, s4, s5
	s_cselect_b64 s[4:5], -1, 0
	s_cmp_lg_u64 s[4:5], 0
	s_addc_u32 s46, s46, s47
	s_mul_i32 s4, s41, s46
	s_mul_hi_u32 s5, s41, s48
	s_add_i32 s4, s5, s4
	s_mul_i32 s45, s45, s48
	s_add_i32 s4, s4, s45
	s_mul_i32 s41, s41, s48
	s_mul_hi_u32 s45, s46, s41
	s_mul_i32 s47, s46, s41
	s_mul_i32 s50, s48, s4
	s_mul_hi_u32 s41, s48, s41
	s_mul_hi_u32 s49, s48, s4
	s_add_u32 s41, s41, s50
	s_addc_u32 s49, 0, s49
	s_add_u32 s41, s41, s47
	s_mul_hi_u32 s5, s46, s4
	s_addc_u32 s41, s49, s45
	s_addc_u32 s5, s5, 0
	s_mul_i32 s4, s46, s4
	s_add_u32 s4, s41, s4
	s_addc_u32 s41, 0, s5
	s_add_u32 s45, s48, s4
	s_cselect_b64 s[4:5], -1, 0
	v_ashrrev_i32_e32 v5, 31, v9
	s_cmp_lg_u64 s[4:5], 0
	v_add_co_u32_e32 v10, vcc, v8, v5
	s_addc_u32 s41, s46, s41
	v_xor_b32_e32 v18, v10, v5
	v_mad_u64_u32 v[10:11], s[4:5], v18, s41, 0
	v_mul_hi_u32 v17, v18, s45
	v_addc_co_u32_e32 v16, vcc, v9, v5, vcc
	v_xor_b32_e32 v19, v16, v5
	v_add_co_u32_e32 v20, vcc, v17, v10
	v_addc_co_u32_e32 v21, vcc, 0, v11, vcc
	v_mad_u64_u32 v[10:11], s[4:5], v19, s45, 0
	v_mad_u64_u32 v[16:17], s[4:5], v19, s41, 0
	v_add_co_u32_e32 v10, vcc, v20, v10
	v_addc_co_u32_e32 v10, vcc, v21, v11, vcc
	v_addc_co_u32_e32 v11, vcc, 0, v17, vcc
	v_add_co_u32_e32 v16, vcc, v10, v16
	v_addc_co_u32_e32 v17, vcc, 0, v11, vcc
	v_mul_lo_u32 v20, s43, v16
	v_mul_lo_u32 v21, s42, v17
	v_mad_u64_u32 v[10:11], s[4:5], s42, v16, 0
	v_xor_b32_e32 v5, s40, v5
	v_add3_u32 v11, v11, v21, v20
	v_sub_u32_e32 v20, v19, v11
	v_mov_b32_e32 v21, s43
	v_sub_co_u32_e32 v10, vcc, v18, v10
	v_subb_co_u32_e64 v18, s[4:5], v20, v21, vcc
	v_subrev_co_u32_e64 v20, s[4:5], s42, v10
	v_subbrev_co_u32_e64 v18, s[4:5], 0, v18, s[4:5]
	v_cmp_le_u32_e64 s[4:5], s43, v18
	v_cndmask_b32_e64 v21, 0, -1, s[4:5]
	v_cmp_le_u32_e64 s[4:5], s42, v20
	v_cndmask_b32_e64 v20, 0, -1, s[4:5]
	v_cmp_eq_u32_e64 s[4:5], s43, v18
	v_cndmask_b32_e64 v18, v21, v20, s[4:5]
	v_add_co_u32_e64 v20, s[4:5], 2, v16
	v_subb_co_u32_e32 v11, vcc, v19, v11, vcc
	v_addc_co_u32_e64 v21, s[4:5], 0, v17, s[4:5]
	v_cmp_le_u32_e32 vcc, s43, v11
	v_add_co_u32_e64 v22, s[4:5], 1, v16
	v_cndmask_b32_e64 v19, 0, -1, vcc
	v_cmp_le_u32_e32 vcc, s42, v10
	v_addc_co_u32_e64 v23, s[4:5], 0, v17, s[4:5]
	v_cndmask_b32_e64 v10, 0, -1, vcc
	v_cmp_eq_u32_e32 vcc, s43, v11
	v_cmp_ne_u32_e64 s[4:5], 0, v18
	v_cndmask_b32_e32 v10, v19, v10, vcc
	v_cndmask_b32_e64 v18, v23, v21, s[4:5]
	v_cmp_ne_u32_e32 vcc, 0, v10
	v_cndmask_b32_e64 v11, v22, v20, s[4:5]
	v_cndmask_b32_e32 v10, v17, v18, vcc
	v_cndmask_b32_e32 v11, v16, v11, vcc
	v_xor_b32_e32 v16, v10, v5
	v_xor_b32_e32 v10, v11, v5
	v_sub_co_u32_e32 v10, vcc, v10, v5
	v_subb_co_u32_e32 v11, vcc, v16, v5, vcc
.LBB80_12:                              ;   in Loop: Header=BB80_10 Depth=2
	s_andn2_saveexec_b64 s[4:5], s[38:39]
	s_cbranch_execz .LBB80_14
; %bb.13:                               ;   in Loop: Header=BB80_10 Depth=2
	v_cvt_f32_u32_e32 v5, s36
	s_sub_i32 s38, 0, s36
	v_rcp_iflag_f32_e32 v5, v5
	v_mul_f32_e32 v5, 0x4f7ffffe, v5
	v_cvt_u32_f32_e32 v5, v5
	v_mul_lo_u32 v10, s38, v5
	v_mul_hi_u32 v10, v5, v10
	v_add_u32_e32 v5, v5, v10
	v_mul_hi_u32 v5, v8, v5
	v_mul_lo_u32 v10, v5, s36
	v_add_u32_e32 v11, 1, v5
	v_sub_u32_e32 v10, v8, v10
	v_subrev_u32_e32 v16, s36, v10
	v_cmp_le_u32_e32 vcc, s36, v10
	v_cndmask_b32_e32 v10, v10, v16, vcc
	v_cndmask_b32_e32 v5, v5, v11, vcc
	v_add_u32_e32 v11, 1, v5
	v_cmp_le_u32_e32 vcc, s36, v10
	v_cndmask_b32_e32 v10, v5, v11, vcc
	v_mov_b32_e32 v11, v4
.LBB80_14:                              ;   in Loop: Header=BB80_10 Depth=2
	s_or_b64 exec, exec, s[4:5]
	v_mul_lo_u32 v5, v11, s36
	v_mul_lo_u32 v18, v10, s37
	v_mad_u64_u32 v[16:17], s[4:5], v10, s36, 0
	s_load_dwordx2 s[4:5], s[34:35], 0xc8
	s_add_i32 s44, s44, -1
	v_add3_u32 v5, v17, v18, v5
	v_sub_co_u32_e32 v8, vcc, v8, v16
	v_subb_co_u32_e32 v5, vcc, v9, v5, vcc
	s_waitcnt lgkmcnt(0)
	v_mul_lo_u32 v5, s4, v5
	v_mul_lo_u32 v9, s5, v8
	v_mad_u64_u32 v[6:7], s[4:5], s4, v8, v[6:7]
	s_add_u32 s34, s34, -8
	s_addc_u32 s35, s35, -1
	s_cmp_gt_u32 s44, 2
	v_add3_u32 v7, v9, v7, v5
	s_cbranch_scc0 .LBB80_16
; %bb.15:                               ;   in Loop: Header=BB80_10 Depth=2
	v_mov_b32_e32 v8, v10
	v_mov_b32_e32 v9, v11
	s_branch .LBB80_10
.LBB80_16:                              ;   in Loop: Header=BB80_9 Depth=1
	v_mul_lo_u32 v5, s25, v10
	v_mul_lo_u32 v11, s24, v11
	v_mad_u64_u32 v[8:9], s[4:5], s24, v10, 0
	v_add3_u32 v9, v9, v11, v5
	v_lshlrev_b64 v[8:9], 2, v[8:9]
	v_mov_b32_e32 v5, s27
	v_add_co_u32_e32 v8, vcc, s26, v8
	v_addc_co_u32_e32 v9, vcc, v5, v9, vcc
	v_lshlrev_b64 v[5:6], 2, v[6:7]
	v_add_co_u32_e32 v5, vcc, v8, v5
	v_addc_co_u32_e32 v6, vcc, v9, v6, vcc
	global_load_dword v5, v[5:6], off
	s_waitcnt vmcnt(0)
	v_cmp_le_f32_e32 vcc, s18, v5
	v_cmp_ge_f32_e64 s[4:5], s19, v5
	s_and_b64 s[34:35], vcc, s[4:5]
	s_and_saveexec_b64 s[4:5], s[34:35]
	s_cbranch_execz .LBB80_8
; %bb.17:                               ;   in Loop: Header=BB80_9 Depth=1
	v_mul_lo_u32 v8, v3, s22
	v_mul_lo_u32 v9, v2, s23
	v_mad_u64_u32 v[6:7], s[34:35], v2, s22, 0
	v_subrev_f32_e32 v5, s18, v5
	v_mul_f32_e32 v5, v5, v13
	v_add3_u32 v7, v7, v9, v8
	v_lshlrev_b64 v[6:7], 2, v[6:7]
	v_mov_b32_e32 v8, s15
	v_add_co_u32_e32 v6, vcc, s14, v6
	v_addc_co_u32_e32 v7, vcc, v8, v7, vcc
	global_load_dword v7, v[6:7], off
	v_div_scale_f32 v6, s[34:35], v14, v14, v5
	v_div_scale_f32 v8, vcc, v5, v14, v5
	v_rcp_f32_e32 v9, v6
	v_fma_f32 v10, -v6, v9, 1.0
	v_fmac_f32_e32 v9, v10, v9
	v_mul_f32_e32 v10, v8, v9
	v_fma_f32 v11, -v6, v10, v8
	v_fmac_f32_e32 v10, v11, v9
	v_fma_f32 v6, -v6, v10, v8
	v_div_fmas_f32 v6, v6, v9, v10
	v_div_fixup_f32 v5, v6, v14, v5
	v_cvt_i32_f32_e32 v5, v5
	v_ashrrev_i32_e32 v6, 31, v5
	v_cmp_eq_u64_e32 vcc, s[16:17], v[5:6]
	v_lshlrev_b32_e32 v5, 2, v5
	v_cndmask_b32_e64 v6, 0, -1, vcc
	v_lshlrev_b32_e32 v6, 2, v6
	v_add3_u32 v5, 0, v6, v5
	s_waitcnt vmcnt(0)
	ds_add_f32 v5, v7
	s_branch .LBB80_8
.LBB80_18:
	s_or_b64 exec, exec, s[6:7]
; %bb.19:
	s_waitcnt lgkmcnt(0)
	s_barrier
	s_and_saveexec_b64 s[2:3], s[0:1]
	s_cbranch_execz .LBB80_24
; %bb.20:
	v_and_b32_e32 v6, 0xffff, v12
	s_mov_b64 s[0:1], 0
	v_mov_b32_e32 v7, s9
.LBB80_21:                              ; =>This Loop Header: Depth=1
                                        ;     Child Loop BB80_22 Depth 2
	v_mul_lo_u32 v4, v1, s20
	v_mul_lo_u32 v5, v0, s21
	v_mad_u64_u32 v[2:3], s[2:3], v0, s20, 0
	s_mov_b64 s[2:3], 0
	v_add3_u32 v3, v3, v5, v4
	v_lshlrev_b64 v[2:3], 2, v[2:3]
	v_lshl_add_u32 v4, v0, 2, 0
	v_add_co_u32_e32 v2, vcc, s8, v2
	v_addc_co_u32_e32 v3, vcc, v7, v3, vcc
	global_load_dword v5, v[2:3], off
	ds_read_b32 v8, v4
.LBB80_22:                              ;   Parent Loop BB80_21 Depth=1
                                        ; =>  This Inner Loop Header: Depth=2
	s_waitcnt vmcnt(0) lgkmcnt(0)
	v_add_f32_e32 v4, v5, v8
	global_atomic_cmpswap v4, v[2:3], v[4:5], off glc
	s_waitcnt vmcnt(0)
	v_cmp_eq_u32_e32 vcc, v4, v5
	s_or_b64 s[2:3], vcc, s[2:3]
	v_mov_b32_e32 v5, v4
	s_andn2_b64 exec, exec, s[2:3]
	s_cbranch_execnz .LBB80_22
; %bb.23:                               ;   in Loop: Header=BB80_21 Depth=1
	s_or_b64 exec, exec, s[2:3]
	v_add_co_u32_e32 v0, vcc, v0, v6
	v_addc_co_u32_e32 v1, vcc, 0, v1, vcc
	v_cmp_le_i64_e32 vcc, s[10:11], v[0:1]
	s_or_b64 s[0:1], vcc, s[0:1]
	s_andn2_b64 exec, exec, s[0:1]
	s_cbranch_execnz .LBB80_21
.LBB80_24:
	s_endpgm
	.section	.rodata,"a",@progbits
	.p2align	6, 0x0
	.amdhsa_kernel _ZN2at4cuda17kernelHistogram1DIfflLi1ELi2ELin1ELNS0_23CUDAHistogramMemoryTypeE0EZNS0_21CUDA_tensor_histogramIffLb0EEEbNS_6TensorES4_S4_lNS_14AccumulateTypeIT0_Lb1EE4typeES8_NS0_13TensorArgTypeES9_S9_EUllE_EEvNS0_6detail10TensorInfoIT_T1_EESF_NSC_IKS6_SE_EElS8_S8_SE_T6_
		.amdhsa_group_segment_fixed_size 0
		.amdhsa_private_segment_fixed_size 0
		.amdhsa_kernarg_size 1944
		.amdhsa_user_sgpr_count 6
		.amdhsa_user_sgpr_private_segment_buffer 1
		.amdhsa_user_sgpr_dispatch_ptr 0
		.amdhsa_user_sgpr_queue_ptr 0
		.amdhsa_user_sgpr_kernarg_segment_ptr 1
		.amdhsa_user_sgpr_dispatch_id 0
		.amdhsa_user_sgpr_flat_scratch_init 0
		.amdhsa_user_sgpr_private_segment_size 0
		.amdhsa_uses_dynamic_stack 0
		.amdhsa_system_sgpr_private_segment_wavefront_offset 0
		.amdhsa_system_sgpr_workgroup_id_x 1
		.amdhsa_system_sgpr_workgroup_id_y 0
		.amdhsa_system_sgpr_workgroup_id_z 0
		.amdhsa_system_sgpr_workgroup_info 0
		.amdhsa_system_vgpr_workitem_id 0
		.amdhsa_next_free_vgpr 24
		.amdhsa_next_free_sgpr 52
		.amdhsa_reserve_vcc 1
		.amdhsa_reserve_flat_scratch 0
		.amdhsa_float_round_mode_32 0
		.amdhsa_float_round_mode_16_64 0
		.amdhsa_float_denorm_mode_32 3
		.amdhsa_float_denorm_mode_16_64 3
		.amdhsa_dx10_clamp 1
		.amdhsa_ieee_mode 1
		.amdhsa_fp16_overflow 0
		.amdhsa_exception_fp_ieee_invalid_op 0
		.amdhsa_exception_fp_denorm_src 0
		.amdhsa_exception_fp_ieee_div_zero 0
		.amdhsa_exception_fp_ieee_overflow 0
		.amdhsa_exception_fp_ieee_underflow 0
		.amdhsa_exception_fp_ieee_inexact 0
		.amdhsa_exception_int_div_zero 0
	.end_amdhsa_kernel
	.section	.text._ZN2at4cuda17kernelHistogram1DIfflLi1ELi2ELin1ELNS0_23CUDAHistogramMemoryTypeE0EZNS0_21CUDA_tensor_histogramIffLb0EEEbNS_6TensorES4_S4_lNS_14AccumulateTypeIT0_Lb1EE4typeES8_NS0_13TensorArgTypeES9_S9_EUllE_EEvNS0_6detail10TensorInfoIT_T1_EESF_NSC_IKS6_SE_EElS8_S8_SE_T6_,"axG",@progbits,_ZN2at4cuda17kernelHistogram1DIfflLi1ELi2ELin1ELNS0_23CUDAHistogramMemoryTypeE0EZNS0_21CUDA_tensor_histogramIffLb0EEEbNS_6TensorES4_S4_lNS_14AccumulateTypeIT0_Lb1EE4typeES8_NS0_13TensorArgTypeES9_S9_EUllE_EEvNS0_6detail10TensorInfoIT_T1_EESF_NSC_IKS6_SE_EElS8_S8_SE_T6_,comdat
.Lfunc_end80:
	.size	_ZN2at4cuda17kernelHistogram1DIfflLi1ELi2ELin1ELNS0_23CUDAHistogramMemoryTypeE0EZNS0_21CUDA_tensor_histogramIffLb0EEEbNS_6TensorES4_S4_lNS_14AccumulateTypeIT0_Lb1EE4typeES8_NS0_13TensorArgTypeES9_S9_EUllE_EEvNS0_6detail10TensorInfoIT_T1_EESF_NSC_IKS6_SE_EElS8_S8_SE_T6_, .Lfunc_end80-_ZN2at4cuda17kernelHistogram1DIfflLi1ELi2ELin1ELNS0_23CUDAHistogramMemoryTypeE0EZNS0_21CUDA_tensor_histogramIffLb0EEEbNS_6TensorES4_S4_lNS_14AccumulateTypeIT0_Lb1EE4typeES8_NS0_13TensorArgTypeES9_S9_EUllE_EEvNS0_6detail10TensorInfoIT_T1_EESF_NSC_IKS6_SE_EElS8_S8_SE_T6_
                                        ; -- End function
	.set _ZN2at4cuda17kernelHistogram1DIfflLi1ELi2ELin1ELNS0_23CUDAHistogramMemoryTypeE0EZNS0_21CUDA_tensor_histogramIffLb0EEEbNS_6TensorES4_S4_lNS_14AccumulateTypeIT0_Lb1EE4typeES8_NS0_13TensorArgTypeES9_S9_EUllE_EEvNS0_6detail10TensorInfoIT_T1_EESF_NSC_IKS6_SE_EElS8_S8_SE_T6_.num_vgpr, 24
	.set _ZN2at4cuda17kernelHistogram1DIfflLi1ELi2ELin1ELNS0_23CUDAHistogramMemoryTypeE0EZNS0_21CUDA_tensor_histogramIffLb0EEEbNS_6TensorES4_S4_lNS_14AccumulateTypeIT0_Lb1EE4typeES8_NS0_13TensorArgTypeES9_S9_EUllE_EEvNS0_6detail10TensorInfoIT_T1_EESF_NSC_IKS6_SE_EElS8_S8_SE_T6_.num_agpr, 0
	.set _ZN2at4cuda17kernelHistogram1DIfflLi1ELi2ELin1ELNS0_23CUDAHistogramMemoryTypeE0EZNS0_21CUDA_tensor_histogramIffLb0EEEbNS_6TensorES4_S4_lNS_14AccumulateTypeIT0_Lb1EE4typeES8_NS0_13TensorArgTypeES9_S9_EUllE_EEvNS0_6detail10TensorInfoIT_T1_EESF_NSC_IKS6_SE_EElS8_S8_SE_T6_.numbered_sgpr, 52
	.set _ZN2at4cuda17kernelHistogram1DIfflLi1ELi2ELin1ELNS0_23CUDAHistogramMemoryTypeE0EZNS0_21CUDA_tensor_histogramIffLb0EEEbNS_6TensorES4_S4_lNS_14AccumulateTypeIT0_Lb1EE4typeES8_NS0_13TensorArgTypeES9_S9_EUllE_EEvNS0_6detail10TensorInfoIT_T1_EESF_NSC_IKS6_SE_EElS8_S8_SE_T6_.num_named_barrier, 0
	.set _ZN2at4cuda17kernelHistogram1DIfflLi1ELi2ELin1ELNS0_23CUDAHistogramMemoryTypeE0EZNS0_21CUDA_tensor_histogramIffLb0EEEbNS_6TensorES4_S4_lNS_14AccumulateTypeIT0_Lb1EE4typeES8_NS0_13TensorArgTypeES9_S9_EUllE_EEvNS0_6detail10TensorInfoIT_T1_EESF_NSC_IKS6_SE_EElS8_S8_SE_T6_.private_seg_size, 0
	.set _ZN2at4cuda17kernelHistogram1DIfflLi1ELi2ELin1ELNS0_23CUDAHistogramMemoryTypeE0EZNS0_21CUDA_tensor_histogramIffLb0EEEbNS_6TensorES4_S4_lNS_14AccumulateTypeIT0_Lb1EE4typeES8_NS0_13TensorArgTypeES9_S9_EUllE_EEvNS0_6detail10TensorInfoIT_T1_EESF_NSC_IKS6_SE_EElS8_S8_SE_T6_.uses_vcc, 1
	.set _ZN2at4cuda17kernelHistogram1DIfflLi1ELi2ELin1ELNS0_23CUDAHistogramMemoryTypeE0EZNS0_21CUDA_tensor_histogramIffLb0EEEbNS_6TensorES4_S4_lNS_14AccumulateTypeIT0_Lb1EE4typeES8_NS0_13TensorArgTypeES9_S9_EUllE_EEvNS0_6detail10TensorInfoIT_T1_EESF_NSC_IKS6_SE_EElS8_S8_SE_T6_.uses_flat_scratch, 0
	.set _ZN2at4cuda17kernelHistogram1DIfflLi1ELi2ELin1ELNS0_23CUDAHistogramMemoryTypeE0EZNS0_21CUDA_tensor_histogramIffLb0EEEbNS_6TensorES4_S4_lNS_14AccumulateTypeIT0_Lb1EE4typeES8_NS0_13TensorArgTypeES9_S9_EUllE_EEvNS0_6detail10TensorInfoIT_T1_EESF_NSC_IKS6_SE_EElS8_S8_SE_T6_.has_dyn_sized_stack, 0
	.set _ZN2at4cuda17kernelHistogram1DIfflLi1ELi2ELin1ELNS0_23CUDAHistogramMemoryTypeE0EZNS0_21CUDA_tensor_histogramIffLb0EEEbNS_6TensorES4_S4_lNS_14AccumulateTypeIT0_Lb1EE4typeES8_NS0_13TensorArgTypeES9_S9_EUllE_EEvNS0_6detail10TensorInfoIT_T1_EESF_NSC_IKS6_SE_EElS8_S8_SE_T6_.has_recursion, 0
	.set _ZN2at4cuda17kernelHistogram1DIfflLi1ELi2ELin1ELNS0_23CUDAHistogramMemoryTypeE0EZNS0_21CUDA_tensor_histogramIffLb0EEEbNS_6TensorES4_S4_lNS_14AccumulateTypeIT0_Lb1EE4typeES8_NS0_13TensorArgTypeES9_S9_EUllE_EEvNS0_6detail10TensorInfoIT_T1_EESF_NSC_IKS6_SE_EElS8_S8_SE_T6_.has_indirect_call, 0
	.section	.AMDGPU.csdata,"",@progbits
; Kernel info:
; codeLenInByte = 1856
; TotalNumSgprs: 56
; NumVgprs: 24
; ScratchSize: 0
; MemoryBound: 0
; FloatMode: 240
; IeeeMode: 1
; LDSByteSize: 0 bytes/workgroup (compile time only)
; SGPRBlocks: 6
; VGPRBlocks: 5
; NumSGPRsForWavesPerEU: 56
; NumVGPRsForWavesPerEU: 24
; Occupancy: 10
; WaveLimiterHint : 1
; COMPUTE_PGM_RSRC2:SCRATCH_EN: 0
; COMPUTE_PGM_RSRC2:USER_SGPR: 6
; COMPUTE_PGM_RSRC2:TRAP_HANDLER: 0
; COMPUTE_PGM_RSRC2:TGID_X_EN: 1
; COMPUTE_PGM_RSRC2:TGID_Y_EN: 0
; COMPUTE_PGM_RSRC2:TGID_Z_EN: 0
; COMPUTE_PGM_RSRC2:TIDIG_COMP_CNT: 0
	.section	.text._ZN2at4cuda17kernelHistogram1DIfflLi1ELi2ELin1ELNS0_23CUDAHistogramMemoryTypeE1EZNS0_21CUDA_tensor_histogramIffLb0EEEbNS_6TensorES4_S4_lNS_14AccumulateTypeIT0_Lb1EE4typeES8_NS0_13TensorArgTypeES9_S9_EUllE_EEvNS0_6detail10TensorInfoIT_T1_EESF_NSC_IKS6_SE_EElS8_S8_SE_T6_,"axG",@progbits,_ZN2at4cuda17kernelHistogram1DIfflLi1ELi2ELin1ELNS0_23CUDAHistogramMemoryTypeE1EZNS0_21CUDA_tensor_histogramIffLb0EEEbNS_6TensorES4_S4_lNS_14AccumulateTypeIT0_Lb1EE4typeES8_NS0_13TensorArgTypeES9_S9_EUllE_EEvNS0_6detail10TensorInfoIT_T1_EESF_NSC_IKS6_SE_EElS8_S8_SE_T6_,comdat
	.protected	_ZN2at4cuda17kernelHistogram1DIfflLi1ELi2ELin1ELNS0_23CUDAHistogramMemoryTypeE1EZNS0_21CUDA_tensor_histogramIffLb0EEEbNS_6TensorES4_S4_lNS_14AccumulateTypeIT0_Lb1EE4typeES8_NS0_13TensorArgTypeES9_S9_EUllE_EEvNS0_6detail10TensorInfoIT_T1_EESF_NSC_IKS6_SE_EElS8_S8_SE_T6_ ; -- Begin function _ZN2at4cuda17kernelHistogram1DIfflLi1ELi2ELin1ELNS0_23CUDAHistogramMemoryTypeE1EZNS0_21CUDA_tensor_histogramIffLb0EEEbNS_6TensorES4_S4_lNS_14AccumulateTypeIT0_Lb1EE4typeES8_NS0_13TensorArgTypeES9_S9_EUllE_EEvNS0_6detail10TensorInfoIT_T1_EESF_NSC_IKS6_SE_EElS8_S8_SE_T6_
	.globl	_ZN2at4cuda17kernelHistogram1DIfflLi1ELi2ELin1ELNS0_23CUDAHistogramMemoryTypeE1EZNS0_21CUDA_tensor_histogramIffLb0EEEbNS_6TensorES4_S4_lNS_14AccumulateTypeIT0_Lb1EE4typeES8_NS0_13TensorArgTypeES9_S9_EUllE_EEvNS0_6detail10TensorInfoIT_T1_EESF_NSC_IKS6_SE_EElS8_S8_SE_T6_
	.p2align	8
	.type	_ZN2at4cuda17kernelHistogram1DIfflLi1ELi2ELin1ELNS0_23CUDAHistogramMemoryTypeE1EZNS0_21CUDA_tensor_histogramIffLb0EEEbNS_6TensorES4_S4_lNS_14AccumulateTypeIT0_Lb1EE4typeES8_NS0_13TensorArgTypeES9_S9_EUllE_EEvNS0_6detail10TensorInfoIT_T1_EESF_NSC_IKS6_SE_EElS8_S8_SE_T6_,@function
_ZN2at4cuda17kernelHistogram1DIfflLi1ELi2ELin1ELNS0_23CUDAHistogramMemoryTypeE1EZNS0_21CUDA_tensor_histogramIffLb0EEEbNS_6TensorES4_S4_lNS_14AccumulateTypeIT0_Lb1EE4typeES8_NS0_13TensorArgTypeES9_S9_EUllE_EEvNS0_6detail10TensorInfoIT_T1_EESF_NSC_IKS6_SE_EElS8_S8_SE_T6_: ; @_ZN2at4cuda17kernelHistogram1DIfflLi1ELi2ELin1ELNS0_23CUDAHistogramMemoryTypeE1EZNS0_21CUDA_tensor_histogramIffLb0EEEbNS_6TensorES4_S4_lNS_14AccumulateTypeIT0_Lb1EE4typeES8_NS0_13TensorArgTypeES9_S9_EUllE_EEvNS0_6detail10TensorInfoIT_T1_EESF_NSC_IKS6_SE_EElS8_S8_SE_T6_
; %bb.0:
	s_load_dword s2, s[4:5], 0x6a4
	s_load_dwordx4 s[8:11], s[4:5], 0x4f0
	s_add_u32 s0, s4, 0x698
	s_addc_u32 s1, s5, 0
	v_mov_b32_e32 v2, 0
	s_waitcnt lgkmcnt(0)
	s_and_b32 s2, s2, 0xffff
	s_mul_i32 s6, s6, s2
	v_add_u32_e32 v0, s6, v0
	v_mov_b32_e32 v1, v2
	v_cmp_gt_i64_e32 vcc, s[8:9], v[0:1]
	s_and_saveexec_b64 s[6:7], vcc
	s_cbranch_execz .LBB81_13
; %bb.1:
	s_load_dwordx4 s[12:15], s[4:5], 0x4e0
	s_load_dword s24, s[4:5], 0x4d8
	s_add_u32 s25, s4, 0x340
	s_addc_u32 s26, s5, 0
	s_load_dwordx2 s[6:7], s[4:5], 0x5c8
	s_load_dword s3, s[0:1], 0x0
	s_waitcnt lgkmcnt(0)
	s_flbit_i32 s16, s13
	s_cmp_gt_i32 s24, 1
	s_cselect_b64 s[0:1], -1, 0
	s_xor_b32 s17, s12, s13
	s_ashr_i32 s17, s17, 31
	s_add_i32 s16, s16, -1
	s_add_i32 s17, s17, 32
	s_min_u32 s27, s16, s17
	s_lshl_b64 s[16:17], s[12:13], s27
	s_min_u32 s16, s16, 1
	s_or_b32 s16, s17, s16
	v_cvt_f32_i32_e32 v3, s16
	s_load_dwordx2 s[16:17], s[4:5], 0x0
	s_load_dwordx2 s[18:19], s[4:5], 0xd0
	;; [unrolled: 1-line block ×4, first 2 shown]
	s_mul_i32 s33, s3, s2
	s_mov_b32 s3, 0
	s_add_i32 s2, s24, -1
	s_sub_i32 s4, 32, s27
	s_add_i32 s38, s24, 1
	s_lshl_b64 s[2:3], s[2:3], 3
	s_add_u32 s2, s25, s2
	v_ldexp_f32 v10, v3, s4
	v_mov_b32_e32 v3, s14
	s_addc_u32 s3, s26, s3
	v_sub_f32_e32 v11, s15, v3
	s_add_u32 s4, s2, 8
	v_cndmask_b32_e64 v3, 0, 1, s[0:1]
	s_addc_u32 s5, s3, 0
	s_mov_b64 s[24:25], 0
	v_cmp_ne_u32_e64 s[0:1], 1, v3
	s_branch .LBB81_3
.LBB81_2:                               ;   in Loop: Header=BB81_3 Depth=1
	s_or_b64 exec, exec, s[2:3]
	v_add_co_u32_e32 v0, vcc, s33, v0
	v_addc_co_u32_e32 v1, vcc, 0, v1, vcc
	v_cmp_le_i64_e32 vcc, s[8:9], v[0:1]
	s_or_b64 s[24:25], vcc, s[24:25]
	s_andn2_b64 exec, exec, s[24:25]
	s_cbranch_execz .LBB81_13
.LBB81_3:                               ; =>This Loop Header: Depth=1
                                        ;     Child Loop BB81_4 Depth 2
                                        ;     Child Loop BB81_12 Depth 2
	v_mov_b32_e32 v4, 0
	v_mov_b32_e32 v7, v1
	;; [unrolled: 1-line block ×4, first 2 shown]
	s_and_b64 vcc, exec, s[0:1]
	s_mov_b64 s[26:27], s[4:5]
	s_mov_b32 s39, s38
	v_mov_b32_e32 v6, v0
	v_mov_b32_e32 v8, v0
	s_cbranch_vccnz .LBB81_10
.LBB81_4:                               ;   Parent Loop BB81_3 Depth=1
                                        ; =>  This Inner Loop Header: Depth=2
	s_load_dwordx2 s[28:29], s[26:27], 0x0
                                        ; implicit-def: $vgpr8_vgpr9
	s_waitcnt lgkmcnt(0)
	v_or_b32_e32 v3, s29, v7
	v_cmp_ne_u64_e32 vcc, 0, v[2:3]
	s_and_saveexec_b64 s[2:3], vcc
	s_xor_b64 s[30:31], exec, s[2:3]
	s_cbranch_execz .LBB81_6
; %bb.5:                                ;   in Loop: Header=BB81_4 Depth=2
	s_ashr_i32 s34, s29, 31
	s_add_u32 s2, s28, s34
	s_mov_b32 s35, s34
	s_addc_u32 s3, s29, s34
	s_xor_b64 s[36:37], s[2:3], s[34:35]
	v_cvt_f32_u32_e32 v3, s36
	v_cvt_f32_u32_e32 v8, s37
	s_sub_u32 s35, 0, s36
	s_subb_u32 s40, 0, s37
	v_mac_f32_e32 v3, 0x4f800000, v8
	v_rcp_f32_e32 v3, v3
	v_mul_f32_e32 v3, 0x5f7ffffc, v3
	v_mul_f32_e32 v8, 0x2f800000, v3
	v_trunc_f32_e32 v8, v8
	v_mac_f32_e32 v3, 0xcf800000, v8
	v_cvt_u32_f32_e32 v8, v8
	v_cvt_u32_f32_e32 v3, v3
	v_readfirstlane_b32 s41, v8
	v_readfirstlane_b32 s2, v3
	s_mul_i32 s3, s35, s41
	s_mul_hi_u32 s43, s35, s2
	s_mul_i32 s42, s40, s2
	s_add_i32 s3, s43, s3
	s_add_i32 s3, s3, s42
	s_mul_i32 s44, s35, s2
	s_mul_i32 s43, s2, s3
	s_mul_hi_u32 s45, s2, s44
	s_mul_hi_u32 s42, s2, s3
	s_add_u32 s43, s45, s43
	s_addc_u32 s42, 0, s42
	s_mul_hi_u32 s46, s41, s44
	s_mul_i32 s44, s41, s44
	s_add_u32 s43, s43, s44
	s_mul_hi_u32 s45, s41, s3
	s_addc_u32 s42, s42, s46
	s_addc_u32 s43, s45, 0
	s_mul_i32 s3, s41, s3
	s_add_u32 s3, s42, s3
	s_addc_u32 s42, 0, s43
	s_add_u32 s43, s2, s3
	s_cselect_b64 s[2:3], -1, 0
	s_cmp_lg_u64 s[2:3], 0
	s_addc_u32 s41, s41, s42
	s_mul_i32 s2, s35, s41
	s_mul_hi_u32 s3, s35, s43
	s_add_i32 s2, s3, s2
	s_mul_i32 s40, s40, s43
	s_add_i32 s2, s2, s40
	s_mul_i32 s35, s35, s43
	s_mul_hi_u32 s40, s41, s35
	s_mul_i32 s42, s41, s35
	s_mul_i32 s45, s43, s2
	s_mul_hi_u32 s35, s43, s35
	s_mul_hi_u32 s44, s43, s2
	s_add_u32 s35, s35, s45
	s_addc_u32 s44, 0, s44
	s_add_u32 s35, s35, s42
	s_mul_hi_u32 s3, s41, s2
	s_addc_u32 s35, s44, s40
	s_addc_u32 s3, s3, 0
	s_mul_i32 s2, s41, s2
	s_add_u32 s2, s35, s2
	s_addc_u32 s35, 0, s3
	s_add_u32 s40, s43, s2
	s_cselect_b64 s[2:3], -1, 0
	v_ashrrev_i32_e32 v3, 31, v7
	s_cmp_lg_u64 s[2:3], 0
	v_add_co_u32_e32 v8, vcc, v6, v3
	s_addc_u32 s35, s41, s35
	v_xor_b32_e32 v14, v8, v3
	v_mad_u64_u32 v[8:9], s[2:3], v14, s35, 0
	v_mul_hi_u32 v13, v14, s40
	v_addc_co_u32_e32 v12, vcc, v7, v3, vcc
	v_xor_b32_e32 v15, v12, v3
	v_add_co_u32_e32 v16, vcc, v13, v8
	v_addc_co_u32_e32 v17, vcc, 0, v9, vcc
	v_mad_u64_u32 v[8:9], s[2:3], v15, s40, 0
	v_mad_u64_u32 v[12:13], s[2:3], v15, s35, 0
	v_add_co_u32_e32 v8, vcc, v16, v8
	v_addc_co_u32_e32 v8, vcc, v17, v9, vcc
	v_addc_co_u32_e32 v9, vcc, 0, v13, vcc
	v_add_co_u32_e32 v12, vcc, v8, v12
	v_addc_co_u32_e32 v13, vcc, 0, v9, vcc
	v_mul_lo_u32 v16, s37, v12
	v_mul_lo_u32 v17, s36, v13
	v_mad_u64_u32 v[8:9], s[2:3], s36, v12, 0
	v_xor_b32_e32 v3, s34, v3
	v_add3_u32 v9, v9, v17, v16
	v_sub_u32_e32 v16, v15, v9
	v_mov_b32_e32 v17, s37
	v_sub_co_u32_e32 v8, vcc, v14, v8
	v_subb_co_u32_e64 v14, s[2:3], v16, v17, vcc
	v_subrev_co_u32_e64 v16, s[2:3], s36, v8
	v_subbrev_co_u32_e64 v14, s[2:3], 0, v14, s[2:3]
	v_cmp_le_u32_e64 s[2:3], s37, v14
	v_cndmask_b32_e64 v17, 0, -1, s[2:3]
	v_cmp_le_u32_e64 s[2:3], s36, v16
	v_cndmask_b32_e64 v16, 0, -1, s[2:3]
	v_cmp_eq_u32_e64 s[2:3], s37, v14
	v_cndmask_b32_e64 v14, v17, v16, s[2:3]
	v_add_co_u32_e64 v16, s[2:3], 2, v12
	v_subb_co_u32_e32 v9, vcc, v15, v9, vcc
	v_addc_co_u32_e64 v17, s[2:3], 0, v13, s[2:3]
	v_cmp_le_u32_e32 vcc, s37, v9
	v_add_co_u32_e64 v18, s[2:3], 1, v12
	v_cndmask_b32_e64 v15, 0, -1, vcc
	v_cmp_le_u32_e32 vcc, s36, v8
	v_addc_co_u32_e64 v19, s[2:3], 0, v13, s[2:3]
	v_cndmask_b32_e64 v8, 0, -1, vcc
	v_cmp_eq_u32_e32 vcc, s37, v9
	v_cmp_ne_u32_e64 s[2:3], 0, v14
	v_cndmask_b32_e32 v8, v15, v8, vcc
	v_cndmask_b32_e64 v14, v19, v17, s[2:3]
	v_cmp_ne_u32_e32 vcc, 0, v8
	v_cndmask_b32_e64 v9, v18, v16, s[2:3]
	v_cndmask_b32_e32 v8, v13, v14, vcc
	v_cndmask_b32_e32 v9, v12, v9, vcc
	v_xor_b32_e32 v12, v8, v3
	v_xor_b32_e32 v8, v9, v3
	v_sub_co_u32_e32 v8, vcc, v8, v3
	v_subb_co_u32_e32 v9, vcc, v12, v3, vcc
.LBB81_6:                               ;   in Loop: Header=BB81_4 Depth=2
	s_andn2_saveexec_b64 s[2:3], s[30:31]
	s_cbranch_execz .LBB81_8
; %bb.7:                                ;   in Loop: Header=BB81_4 Depth=2
	v_cvt_f32_u32_e32 v3, s28
	s_sub_i32 s30, 0, s28
	v_rcp_iflag_f32_e32 v3, v3
	v_mul_f32_e32 v3, 0x4f7ffffe, v3
	v_cvt_u32_f32_e32 v3, v3
	v_mul_lo_u32 v8, s30, v3
	v_mul_hi_u32 v8, v3, v8
	v_add_u32_e32 v3, v3, v8
	v_mul_hi_u32 v3, v6, v3
	v_mul_lo_u32 v8, v3, s28
	v_add_u32_e32 v9, 1, v3
	v_sub_u32_e32 v8, v6, v8
	v_subrev_u32_e32 v12, s28, v8
	v_cmp_le_u32_e32 vcc, s28, v8
	v_cndmask_b32_e32 v8, v8, v12, vcc
	v_cndmask_b32_e32 v3, v3, v9, vcc
	v_add_u32_e32 v9, 1, v3
	v_cmp_le_u32_e32 vcc, s28, v8
	v_cndmask_b32_e32 v8, v3, v9, vcc
	v_mov_b32_e32 v9, v2
.LBB81_8:                               ;   in Loop: Header=BB81_4 Depth=2
	s_or_b64 exec, exec, s[2:3]
	v_mul_lo_u32 v3, v9, s28
	v_mul_lo_u32 v14, v8, s29
	v_mad_u64_u32 v[12:13], s[2:3], v8, s28, 0
	s_load_dwordx2 s[2:3], s[26:27], 0xc8
	s_add_i32 s39, s39, -1
	v_add3_u32 v3, v13, v14, v3
	v_sub_co_u32_e32 v6, vcc, v6, v12
	v_subb_co_u32_e32 v3, vcc, v7, v3, vcc
	s_waitcnt lgkmcnt(0)
	v_mul_lo_u32 v3, s2, v3
	v_mul_lo_u32 v7, s3, v6
	v_mad_u64_u32 v[4:5], s[2:3], s2, v6, v[4:5]
	s_add_u32 s26, s26, -8
	s_addc_u32 s27, s27, -1
	s_cmp_gt_u32 s39, 2
	v_add3_u32 v5, v7, v5, v3
	s_cbranch_scc0 .LBB81_10
; %bb.9:                                ;   in Loop: Header=BB81_4 Depth=2
	v_mov_b32_e32 v6, v8
	v_mov_b32_e32 v7, v9
	s_branch .LBB81_4
.LBB81_10:                              ;   in Loop: Header=BB81_3 Depth=1
	s_waitcnt lgkmcnt(0)
	v_mul_lo_u32 v3, s21, v8
	v_mul_lo_u32 v9, s20, v9
	v_mad_u64_u32 v[6:7], s[2:3], s20, v8, 0
	v_add3_u32 v7, v7, v9, v3
	v_lshlrev_b64 v[6:7], 2, v[6:7]
	v_mov_b32_e32 v3, s23
	v_add_co_u32_e32 v6, vcc, s22, v6
	v_addc_co_u32_e32 v7, vcc, v3, v7, vcc
	v_lshlrev_b64 v[3:4], 2, v[4:5]
	v_add_co_u32_e32 v3, vcc, v6, v3
	v_addc_co_u32_e32 v4, vcc, v7, v4, vcc
	global_load_dword v3, v[3:4], off
	s_waitcnt vmcnt(0)
	v_cmp_le_f32_e32 vcc, s14, v3
	v_cmp_ge_f32_e64 s[2:3], s15, v3
	s_and_b64 s[26:27], vcc, s[2:3]
	s_and_saveexec_b64 s[2:3], s[26:27]
	s_cbranch_execz .LBB81_2
; %bb.11:                               ;   in Loop: Header=BB81_3 Depth=1
	v_subrev_f32_e32 v3, s14, v3
	v_mul_f32_e32 v5, v3, v10
	v_div_scale_f32 v3, s[26:27], v11, v11, v5
	v_div_scale_f32 v4, vcc, v5, v11, v5
	v_mul_lo_u32 v9, v0, s7
	v_mov_b32_e32 v12, s11
	v_rcp_f32_e32 v6, v3
	v_fma_f32 v7, -v3, v6, 1.0
	v_fmac_f32_e32 v6, v7, v6
	v_mul_f32_e32 v7, v4, v6
	v_fma_f32 v8, -v3, v7, v4
	v_fmac_f32_e32 v7, v8, v6
	v_fma_f32 v3, -v3, v7, v4
	v_div_fmas_f32 v6, v3, v6, v7
	v_mul_lo_u32 v8, v1, s6
	v_mad_u64_u32 v[3:4], s[26:27], v0, s6, 0
	v_mov_b32_e32 v7, s17
	v_add3_u32 v4, v4, v9, v8
	v_lshlrev_b64 v[3:4], 2, v[3:4]
	v_div_fixup_f32 v5, v6, v11, v5
	v_cvt_i32_f32_e32 v5, v5
	v_ashrrev_i32_e32 v6, 31, v5
	v_cmp_eq_u64_e32 vcc, s[12:13], v[5:6]
	v_cndmask_b32_e64 v8, 0, 1, vcc
	v_sub_co_u32_e32 v5, vcc, v5, v8
	v_subbrev_co_u32_e32 v6, vcc, 0, v6, vcc
	v_mul_lo_u32 v13, v6, s18
	v_mul_lo_u32 v14, v5, s19
	v_mad_u64_u32 v[5:6], s[26:27], v5, s18, 0
	v_add_co_u32_e32 v8, vcc, s10, v3
	v_add3_u32 v6, v6, v14, v13
	v_addc_co_u32_e32 v9, vcc, v12, v4, vcc
	v_lshlrev_b64 v[3:4], 2, v[5:6]
	s_mov_b64 s[26:27], 0
	v_add_co_u32_e32 v3, vcc, s16, v3
	v_addc_co_u32_e32 v4, vcc, v7, v4, vcc
	global_load_dword v7, v[8:9], off
	global_load_dword v6, v[3:4], off
.LBB81_12:                              ;   Parent Loop BB81_3 Depth=1
                                        ; =>  This Inner Loop Header: Depth=2
	s_waitcnt vmcnt(0)
	v_add_f32_e32 v5, v6, v7
	global_atomic_cmpswap v5, v[3:4], v[5:6], off glc
	s_waitcnt vmcnt(0)
	v_cmp_eq_u32_e32 vcc, v5, v6
	s_or_b64 s[26:27], vcc, s[26:27]
	v_mov_b32_e32 v6, v5
	s_andn2_b64 exec, exec, s[26:27]
	s_cbranch_execnz .LBB81_12
	s_branch .LBB81_2
.LBB81_13:
	s_endpgm
	.section	.rodata,"a",@progbits
	.p2align	6, 0x0
	.amdhsa_kernel _ZN2at4cuda17kernelHistogram1DIfflLi1ELi2ELin1ELNS0_23CUDAHistogramMemoryTypeE1EZNS0_21CUDA_tensor_histogramIffLb0EEEbNS_6TensorES4_S4_lNS_14AccumulateTypeIT0_Lb1EE4typeES8_NS0_13TensorArgTypeES9_S9_EUllE_EEvNS0_6detail10TensorInfoIT_T1_EESF_NSC_IKS6_SE_EElS8_S8_SE_T6_
		.amdhsa_group_segment_fixed_size 0
		.amdhsa_private_segment_fixed_size 0
		.amdhsa_kernarg_size 1944
		.amdhsa_user_sgpr_count 6
		.amdhsa_user_sgpr_private_segment_buffer 1
		.amdhsa_user_sgpr_dispatch_ptr 0
		.amdhsa_user_sgpr_queue_ptr 0
		.amdhsa_user_sgpr_kernarg_segment_ptr 1
		.amdhsa_user_sgpr_dispatch_id 0
		.amdhsa_user_sgpr_flat_scratch_init 0
		.amdhsa_user_sgpr_private_segment_size 0
		.amdhsa_uses_dynamic_stack 0
		.amdhsa_system_sgpr_private_segment_wavefront_offset 0
		.amdhsa_system_sgpr_workgroup_id_x 1
		.amdhsa_system_sgpr_workgroup_id_y 0
		.amdhsa_system_sgpr_workgroup_id_z 0
		.amdhsa_system_sgpr_workgroup_info 0
		.amdhsa_system_vgpr_workitem_id 0
		.amdhsa_next_free_vgpr 20
		.amdhsa_next_free_sgpr 47
		.amdhsa_reserve_vcc 1
		.amdhsa_reserve_flat_scratch 0
		.amdhsa_float_round_mode_32 0
		.amdhsa_float_round_mode_16_64 0
		.amdhsa_float_denorm_mode_32 3
		.amdhsa_float_denorm_mode_16_64 3
		.amdhsa_dx10_clamp 1
		.amdhsa_ieee_mode 1
		.amdhsa_fp16_overflow 0
		.amdhsa_exception_fp_ieee_invalid_op 0
		.amdhsa_exception_fp_denorm_src 0
		.amdhsa_exception_fp_ieee_div_zero 0
		.amdhsa_exception_fp_ieee_overflow 0
		.amdhsa_exception_fp_ieee_underflow 0
		.amdhsa_exception_fp_ieee_inexact 0
		.amdhsa_exception_int_div_zero 0
	.end_amdhsa_kernel
	.section	.text._ZN2at4cuda17kernelHistogram1DIfflLi1ELi2ELin1ELNS0_23CUDAHistogramMemoryTypeE1EZNS0_21CUDA_tensor_histogramIffLb0EEEbNS_6TensorES4_S4_lNS_14AccumulateTypeIT0_Lb1EE4typeES8_NS0_13TensorArgTypeES9_S9_EUllE_EEvNS0_6detail10TensorInfoIT_T1_EESF_NSC_IKS6_SE_EElS8_S8_SE_T6_,"axG",@progbits,_ZN2at4cuda17kernelHistogram1DIfflLi1ELi2ELin1ELNS0_23CUDAHistogramMemoryTypeE1EZNS0_21CUDA_tensor_histogramIffLb0EEEbNS_6TensorES4_S4_lNS_14AccumulateTypeIT0_Lb1EE4typeES8_NS0_13TensorArgTypeES9_S9_EUllE_EEvNS0_6detail10TensorInfoIT_T1_EESF_NSC_IKS6_SE_EElS8_S8_SE_T6_,comdat
.Lfunc_end81:
	.size	_ZN2at4cuda17kernelHistogram1DIfflLi1ELi2ELin1ELNS0_23CUDAHistogramMemoryTypeE1EZNS0_21CUDA_tensor_histogramIffLb0EEEbNS_6TensorES4_S4_lNS_14AccumulateTypeIT0_Lb1EE4typeES8_NS0_13TensorArgTypeES9_S9_EUllE_EEvNS0_6detail10TensorInfoIT_T1_EESF_NSC_IKS6_SE_EElS8_S8_SE_T6_, .Lfunc_end81-_ZN2at4cuda17kernelHistogram1DIfflLi1ELi2ELin1ELNS0_23CUDAHistogramMemoryTypeE1EZNS0_21CUDA_tensor_histogramIffLb0EEEbNS_6TensorES4_S4_lNS_14AccumulateTypeIT0_Lb1EE4typeES8_NS0_13TensorArgTypeES9_S9_EUllE_EEvNS0_6detail10TensorInfoIT_T1_EESF_NSC_IKS6_SE_EElS8_S8_SE_T6_
                                        ; -- End function
	.set _ZN2at4cuda17kernelHistogram1DIfflLi1ELi2ELin1ELNS0_23CUDAHistogramMemoryTypeE1EZNS0_21CUDA_tensor_histogramIffLb0EEEbNS_6TensorES4_S4_lNS_14AccumulateTypeIT0_Lb1EE4typeES8_NS0_13TensorArgTypeES9_S9_EUllE_EEvNS0_6detail10TensorInfoIT_T1_EESF_NSC_IKS6_SE_EElS8_S8_SE_T6_.num_vgpr, 20
	.set _ZN2at4cuda17kernelHistogram1DIfflLi1ELi2ELin1ELNS0_23CUDAHistogramMemoryTypeE1EZNS0_21CUDA_tensor_histogramIffLb0EEEbNS_6TensorES4_S4_lNS_14AccumulateTypeIT0_Lb1EE4typeES8_NS0_13TensorArgTypeES9_S9_EUllE_EEvNS0_6detail10TensorInfoIT_T1_EESF_NSC_IKS6_SE_EElS8_S8_SE_T6_.num_agpr, 0
	.set _ZN2at4cuda17kernelHistogram1DIfflLi1ELi2ELin1ELNS0_23CUDAHistogramMemoryTypeE1EZNS0_21CUDA_tensor_histogramIffLb0EEEbNS_6TensorES4_S4_lNS_14AccumulateTypeIT0_Lb1EE4typeES8_NS0_13TensorArgTypeES9_S9_EUllE_EEvNS0_6detail10TensorInfoIT_T1_EESF_NSC_IKS6_SE_EElS8_S8_SE_T6_.numbered_sgpr, 47
	.set _ZN2at4cuda17kernelHistogram1DIfflLi1ELi2ELin1ELNS0_23CUDAHistogramMemoryTypeE1EZNS0_21CUDA_tensor_histogramIffLb0EEEbNS_6TensorES4_S4_lNS_14AccumulateTypeIT0_Lb1EE4typeES8_NS0_13TensorArgTypeES9_S9_EUllE_EEvNS0_6detail10TensorInfoIT_T1_EESF_NSC_IKS6_SE_EElS8_S8_SE_T6_.num_named_barrier, 0
	.set _ZN2at4cuda17kernelHistogram1DIfflLi1ELi2ELin1ELNS0_23CUDAHistogramMemoryTypeE1EZNS0_21CUDA_tensor_histogramIffLb0EEEbNS_6TensorES4_S4_lNS_14AccumulateTypeIT0_Lb1EE4typeES8_NS0_13TensorArgTypeES9_S9_EUllE_EEvNS0_6detail10TensorInfoIT_T1_EESF_NSC_IKS6_SE_EElS8_S8_SE_T6_.private_seg_size, 0
	.set _ZN2at4cuda17kernelHistogram1DIfflLi1ELi2ELin1ELNS0_23CUDAHistogramMemoryTypeE1EZNS0_21CUDA_tensor_histogramIffLb0EEEbNS_6TensorES4_S4_lNS_14AccumulateTypeIT0_Lb1EE4typeES8_NS0_13TensorArgTypeES9_S9_EUllE_EEvNS0_6detail10TensorInfoIT_T1_EESF_NSC_IKS6_SE_EElS8_S8_SE_T6_.uses_vcc, 1
	.set _ZN2at4cuda17kernelHistogram1DIfflLi1ELi2ELin1ELNS0_23CUDAHistogramMemoryTypeE1EZNS0_21CUDA_tensor_histogramIffLb0EEEbNS_6TensorES4_S4_lNS_14AccumulateTypeIT0_Lb1EE4typeES8_NS0_13TensorArgTypeES9_S9_EUllE_EEvNS0_6detail10TensorInfoIT_T1_EESF_NSC_IKS6_SE_EElS8_S8_SE_T6_.uses_flat_scratch, 0
	.set _ZN2at4cuda17kernelHistogram1DIfflLi1ELi2ELin1ELNS0_23CUDAHistogramMemoryTypeE1EZNS0_21CUDA_tensor_histogramIffLb0EEEbNS_6TensorES4_S4_lNS_14AccumulateTypeIT0_Lb1EE4typeES8_NS0_13TensorArgTypeES9_S9_EUllE_EEvNS0_6detail10TensorInfoIT_T1_EESF_NSC_IKS6_SE_EElS8_S8_SE_T6_.has_dyn_sized_stack, 0
	.set _ZN2at4cuda17kernelHistogram1DIfflLi1ELi2ELin1ELNS0_23CUDAHistogramMemoryTypeE1EZNS0_21CUDA_tensor_histogramIffLb0EEEbNS_6TensorES4_S4_lNS_14AccumulateTypeIT0_Lb1EE4typeES8_NS0_13TensorArgTypeES9_S9_EUllE_EEvNS0_6detail10TensorInfoIT_T1_EESF_NSC_IKS6_SE_EElS8_S8_SE_T6_.has_recursion, 0
	.set _ZN2at4cuda17kernelHistogram1DIfflLi1ELi2ELin1ELNS0_23CUDAHistogramMemoryTypeE1EZNS0_21CUDA_tensor_histogramIffLb0EEEbNS_6TensorES4_S4_lNS_14AccumulateTypeIT0_Lb1EE4typeES8_NS0_13TensorArgTypeES9_S9_EUllE_EEvNS0_6detail10TensorInfoIT_T1_EESF_NSC_IKS6_SE_EElS8_S8_SE_T6_.has_indirect_call, 0
	.section	.AMDGPU.csdata,"",@progbits
; Kernel info:
; codeLenInByte = 1596
; TotalNumSgprs: 51
; NumVgprs: 20
; ScratchSize: 0
; MemoryBound: 0
; FloatMode: 240
; IeeeMode: 1
; LDSByteSize: 0 bytes/workgroup (compile time only)
; SGPRBlocks: 6
; VGPRBlocks: 4
; NumSGPRsForWavesPerEU: 51
; NumVGPRsForWavesPerEU: 20
; Occupancy: 10
; WaveLimiterHint : 1
; COMPUTE_PGM_RSRC2:SCRATCH_EN: 0
; COMPUTE_PGM_RSRC2:USER_SGPR: 6
; COMPUTE_PGM_RSRC2:TRAP_HANDLER: 0
; COMPUTE_PGM_RSRC2:TGID_X_EN: 1
; COMPUTE_PGM_RSRC2:TGID_Y_EN: 0
; COMPUTE_PGM_RSRC2:TGID_Z_EN: 0
; COMPUTE_PGM_RSRC2:TIDIG_COMP_CNT: 0
	.section	.text._ZN2at4cuda17kernelHistogram1DIfflLi1ELi2ELin1ELNS0_23CUDAHistogramMemoryTypeE0EZNS0_21CUDA_tensor_histogramIffLb0EEEbNS_6TensorES4_S4_lNS_14AccumulateTypeIT0_Lb1EE4typeES8_NS0_13TensorArgTypeES9_S9_EUllE0_EEvNS0_6detail10TensorInfoIT_T1_EESF_NSC_IKS6_SE_EElS8_S8_SE_T6_,"axG",@progbits,_ZN2at4cuda17kernelHistogram1DIfflLi1ELi2ELin1ELNS0_23CUDAHistogramMemoryTypeE0EZNS0_21CUDA_tensor_histogramIffLb0EEEbNS_6TensorES4_S4_lNS_14AccumulateTypeIT0_Lb1EE4typeES8_NS0_13TensorArgTypeES9_S9_EUllE0_EEvNS0_6detail10TensorInfoIT_T1_EESF_NSC_IKS6_SE_EElS8_S8_SE_T6_,comdat
	.protected	_ZN2at4cuda17kernelHistogram1DIfflLi1ELi2ELin1ELNS0_23CUDAHistogramMemoryTypeE0EZNS0_21CUDA_tensor_histogramIffLb0EEEbNS_6TensorES4_S4_lNS_14AccumulateTypeIT0_Lb1EE4typeES8_NS0_13TensorArgTypeES9_S9_EUllE0_EEvNS0_6detail10TensorInfoIT_T1_EESF_NSC_IKS6_SE_EElS8_S8_SE_T6_ ; -- Begin function _ZN2at4cuda17kernelHistogram1DIfflLi1ELi2ELin1ELNS0_23CUDAHistogramMemoryTypeE0EZNS0_21CUDA_tensor_histogramIffLb0EEEbNS_6TensorES4_S4_lNS_14AccumulateTypeIT0_Lb1EE4typeES8_NS0_13TensorArgTypeES9_S9_EUllE0_EEvNS0_6detail10TensorInfoIT_T1_EESF_NSC_IKS6_SE_EElS8_S8_SE_T6_
	.globl	_ZN2at4cuda17kernelHistogram1DIfflLi1ELi2ELin1ELNS0_23CUDAHistogramMemoryTypeE0EZNS0_21CUDA_tensor_histogramIffLb0EEEbNS_6TensorES4_S4_lNS_14AccumulateTypeIT0_Lb1EE4typeES8_NS0_13TensorArgTypeES9_S9_EUllE0_EEvNS0_6detail10TensorInfoIT_T1_EESF_NSC_IKS6_SE_EElS8_S8_SE_T6_
	.p2align	8
	.type	_ZN2at4cuda17kernelHistogram1DIfflLi1ELi2ELin1ELNS0_23CUDAHistogramMemoryTypeE0EZNS0_21CUDA_tensor_histogramIffLb0EEEbNS_6TensorES4_S4_lNS_14AccumulateTypeIT0_Lb1EE4typeES8_NS0_13TensorArgTypeES9_S9_EUllE0_EEvNS0_6detail10TensorInfoIT_T1_EESF_NSC_IKS6_SE_EElS8_S8_SE_T6_,@function
_ZN2at4cuda17kernelHistogram1DIfflLi1ELi2ELin1ELNS0_23CUDAHistogramMemoryTypeE0EZNS0_21CUDA_tensor_histogramIffLb0EEEbNS_6TensorES4_S4_lNS_14AccumulateTypeIT0_Lb1EE4typeES8_NS0_13TensorArgTypeES9_S9_EUllE0_EEvNS0_6detail10TensorInfoIT_T1_EESF_NSC_IKS6_SE_EElS8_S8_SE_T6_: ; @_ZN2at4cuda17kernelHistogram1DIfflLi1ELi2ELin1ELNS0_23CUDAHistogramMemoryTypeE0EZNS0_21CUDA_tensor_histogramIffLb0EEEbNS_6TensorES4_S4_lNS_14AccumulateTypeIT0_Lb1EE4typeES8_NS0_13TensorArgTypeES9_S9_EUllE0_EEvNS0_6detail10TensorInfoIT_T1_EESF_NSC_IKS6_SE_EElS8_S8_SE_T6_
; %bb.0:
	s_load_dwordx4 s[8:11], s[4:5], 0x0
	v_mov_b32_e32 v1, 0
	s_add_u32 s2, s4, 0x500
	s_addc_u32 s3, s5, 0
                                        ; implicit-def: $sgpr14
                                        ; implicit-def: $sgpr7
	s_waitcnt lgkmcnt(0)
	v_cmp_gt_i64_e64 s[0:1], s[10:11], v[0:1]
	v_cmp_le_i64_e32 vcc, s[10:11], v[0:1]
	s_and_saveexec_b64 s[12:13], vcc
	s_xor_b64 s[12:13], exec, s[12:13]
	s_cbranch_execz .LBB82_2
; %bb.1:
	s_load_dword s14, s[2:3], 0xc
	s_waitcnt lgkmcnt(0)
	s_and_b32 s7, s14, 0xffff
.LBB82_2:
	s_or_saveexec_b64 s[12:13], s[12:13]
	s_load_dwordx2 s[16:17], s[4:5], 0xd0
	v_mov_b32_e32 v12, s14
	v_mov_b32_e32 v5, s7
	s_xor_b64 exec, exec, s[12:13]
	s_cbranch_execz .LBB82_6
; %bb.3:
	s_load_dword s7, s[2:3], 0xc
	v_mov_b32_e32 v3, v1
	v_lshl_add_u32 v4, v0, 2, 0
	s_mov_b64 s[14:15], 0
	v_mov_b32_e32 v5, 0
	s_waitcnt lgkmcnt(0)
	s_and_b32 s18, s7, 0xffff
	s_lshl_b32 s19, s18, 2
	v_mov_b32_e32 v2, v0
.LBB82_4:                               ; =>This Inner Loop Header: Depth=1
	v_add_co_u32_e32 v2, vcc, s18, v2
	v_addc_co_u32_e32 v3, vcc, 0, v3, vcc
	v_cmp_le_i64_e32 vcc, s[10:11], v[2:3]
	ds_write_b32 v4, v5
	s_or_b64 s[14:15], vcc, s[14:15]
	v_add_u32_e32 v4, s19, v4
	s_andn2_b64 exec, exec, s[14:15]
	s_cbranch_execnz .LBB82_4
; %bb.5:
	s_or_b64 exec, exec, s[14:15]
	v_mov_b32_e32 v12, s7
	v_mov_b32_e32 v5, s18
.LBB82_6:
	s_or_b64 exec, exec, s[12:13]
	s_load_dwordx2 s[18:19], s[4:5], 0x4f0
	v_mad_u64_u32 v[2:3], s[6:7], s6, v5, v[0:1]
	v_mov_b32_e32 v4, 0
	v_mov_b32_e32 v3, v4
	s_waitcnt lgkmcnt(0)
	v_cmp_gt_i64_e32 vcc, s[18:19], v[2:3]
	s_barrier
	s_and_saveexec_b64 s[6:7], vcc
	s_cbranch_execz .LBB82_18
; %bb.7:
	s_load_dword s24, s[4:5], 0x4d8
	s_load_dwordx4 s[12:15], s[4:5], 0x4e0
	s_load_dwordx2 s[20:21], s[4:5], 0x410
	s_add_u32 s25, s4, 0x340
	s_addc_u32 s26, s5, 0
	s_waitcnt lgkmcnt(0)
	s_flbit_i32 s22, s13
	s_cmp_gt_i32 s24, 1
	s_cselect_b64 s[28:29], -1, 0
	s_xor_b32 s23, s12, s13
	s_ashr_i32 s23, s23, 31
	s_add_i32 s22, s22, -1
	s_add_i32 s23, s23, 32
	s_min_u32 s27, s22, s23
	s_lshl_b64 s[22:23], s[12:13], s27
	s_min_u32 s22, s22, 1
	s_or_b32 s22, s23, s22
	v_cvt_f32_i32_e32 v6, s22
	s_load_dword s30, s[2:3], 0x0
	s_load_dwordx2 s[22:23], s[4:5], 0x340
	s_sub_i32 s2, 32, s27
	s_mov_b32 s3, 0
	v_ldexp_f32 v13, v6, s2
	s_add_i32 s2, s24, -1
	s_add_i32 s33, s24, 1
	s_lshl_b64 s[2:3], s[2:3], 3
	s_waitcnt lgkmcnt(0)
	v_mul_lo_u32 v15, s30, v5
	s_add_u32 s2, s25, s2
	s_addc_u32 s3, s26, s3
	v_mov_b32_e32 v6, s14
	s_add_u32 s24, s2, 8
	v_cndmask_b32_e64 v5, 0, 1, s[28:29]
	v_sub_f32_e32 v14, s15, v6
	s_addc_u32 s25, s3, 0
	s_mov_b64 s[26:27], 0
	v_cmp_ne_u32_e64 s[2:3], 1, v5
	s_branch .LBB82_9
.LBB82_8:                               ;   in Loop: Header=BB82_9 Depth=1
	s_or_b64 exec, exec, s[4:5]
	v_add_co_u32_e32 v2, vcc, v2, v15
	v_addc_co_u32_e32 v3, vcc, 0, v3, vcc
	v_cmp_le_i64_e32 vcc, s[18:19], v[2:3]
	s_or_b64 s[26:27], vcc, s[26:27]
	s_andn2_b64 exec, exec, s[26:27]
	s_cbranch_execz .LBB82_18
.LBB82_9:                               ; =>This Loop Header: Depth=1
                                        ;     Child Loop BB82_10 Depth 2
	v_mov_b32_e32 v6, 0
	v_mov_b32_e32 v9, v3
	;; [unrolled: 1-line block ×4, first 2 shown]
	s_and_b64 vcc, exec, s[2:3]
	s_mov_b64 s[28:29], s[24:25]
	s_mov_b32 s40, s33
	v_mov_b32_e32 v8, v2
	v_mov_b32_e32 v10, v2
	s_cbranch_vccnz .LBB82_16
.LBB82_10:                              ;   Parent Loop BB82_9 Depth=1
                                        ; =>  This Inner Loop Header: Depth=2
	s_load_dwordx2 s[30:31], s[28:29], 0x0
                                        ; implicit-def: $vgpr10_vgpr11
	s_waitcnt lgkmcnt(0)
	v_or_b32_e32 v5, s31, v9
	v_cmp_ne_u64_e32 vcc, 0, v[4:5]
	s_and_saveexec_b64 s[4:5], vcc
	s_xor_b64 s[34:35], exec, s[4:5]
	s_cbranch_execz .LBB82_12
; %bb.11:                               ;   in Loop: Header=BB82_10 Depth=2
	s_ashr_i32 s36, s31, 31
	s_add_u32 s4, s30, s36
	s_mov_b32 s37, s36
	s_addc_u32 s5, s31, s36
	s_xor_b64 s[38:39], s[4:5], s[36:37]
	v_cvt_f32_u32_e32 v5, s38
	v_cvt_f32_u32_e32 v10, s39
	s_sub_u32 s37, 0, s38
	s_subb_u32 s41, 0, s39
	v_mac_f32_e32 v5, 0x4f800000, v10
	v_rcp_f32_e32 v5, v5
	v_mul_f32_e32 v5, 0x5f7ffffc, v5
	v_mul_f32_e32 v10, 0x2f800000, v5
	v_trunc_f32_e32 v10, v10
	v_mac_f32_e32 v5, 0xcf800000, v10
	v_cvt_u32_f32_e32 v10, v10
	v_cvt_u32_f32_e32 v5, v5
	v_readfirstlane_b32 s42, v10
	v_readfirstlane_b32 s4, v5
	s_mul_i32 s5, s37, s42
	s_mul_hi_u32 s44, s37, s4
	s_mul_i32 s43, s41, s4
	s_add_i32 s5, s44, s5
	s_add_i32 s5, s5, s43
	s_mul_i32 s45, s37, s4
	s_mul_i32 s44, s4, s5
	s_mul_hi_u32 s46, s4, s45
	s_mul_hi_u32 s43, s4, s5
	s_add_u32 s44, s46, s44
	s_addc_u32 s43, 0, s43
	s_mul_hi_u32 s47, s42, s45
	s_mul_i32 s45, s42, s45
	s_add_u32 s44, s44, s45
	s_mul_hi_u32 s46, s42, s5
	s_addc_u32 s43, s43, s47
	s_addc_u32 s44, s46, 0
	s_mul_i32 s5, s42, s5
	s_add_u32 s5, s43, s5
	s_addc_u32 s43, 0, s44
	s_add_u32 s44, s4, s5
	s_cselect_b64 s[4:5], -1, 0
	s_cmp_lg_u64 s[4:5], 0
	s_addc_u32 s42, s42, s43
	s_mul_i32 s4, s37, s42
	s_mul_hi_u32 s5, s37, s44
	s_add_i32 s4, s5, s4
	s_mul_i32 s41, s41, s44
	s_add_i32 s4, s4, s41
	s_mul_i32 s37, s37, s44
	s_mul_hi_u32 s41, s42, s37
	s_mul_i32 s43, s42, s37
	s_mul_i32 s46, s44, s4
	s_mul_hi_u32 s37, s44, s37
	s_mul_hi_u32 s45, s44, s4
	s_add_u32 s37, s37, s46
	s_addc_u32 s45, 0, s45
	s_add_u32 s37, s37, s43
	s_mul_hi_u32 s5, s42, s4
	s_addc_u32 s37, s45, s41
	s_addc_u32 s5, s5, 0
	s_mul_i32 s4, s42, s4
	s_add_u32 s4, s37, s4
	s_addc_u32 s37, 0, s5
	s_add_u32 s41, s44, s4
	s_cselect_b64 s[4:5], -1, 0
	v_ashrrev_i32_e32 v5, 31, v9
	s_cmp_lg_u64 s[4:5], 0
	v_add_co_u32_e32 v10, vcc, v8, v5
	s_addc_u32 s37, s42, s37
	v_xor_b32_e32 v18, v10, v5
	v_mad_u64_u32 v[10:11], s[4:5], v18, s37, 0
	v_mul_hi_u32 v17, v18, s41
	v_addc_co_u32_e32 v16, vcc, v9, v5, vcc
	v_xor_b32_e32 v19, v16, v5
	v_add_co_u32_e32 v20, vcc, v17, v10
	v_addc_co_u32_e32 v21, vcc, 0, v11, vcc
	v_mad_u64_u32 v[10:11], s[4:5], v19, s41, 0
	v_mad_u64_u32 v[16:17], s[4:5], v19, s37, 0
	v_add_co_u32_e32 v10, vcc, v20, v10
	v_addc_co_u32_e32 v10, vcc, v21, v11, vcc
	v_addc_co_u32_e32 v11, vcc, 0, v17, vcc
	v_add_co_u32_e32 v16, vcc, v10, v16
	v_addc_co_u32_e32 v17, vcc, 0, v11, vcc
	v_mul_lo_u32 v20, s39, v16
	v_mul_lo_u32 v21, s38, v17
	v_mad_u64_u32 v[10:11], s[4:5], s38, v16, 0
	v_xor_b32_e32 v5, s36, v5
	v_add3_u32 v11, v11, v21, v20
	v_sub_u32_e32 v20, v19, v11
	v_mov_b32_e32 v21, s39
	v_sub_co_u32_e32 v10, vcc, v18, v10
	v_subb_co_u32_e64 v18, s[4:5], v20, v21, vcc
	v_subrev_co_u32_e64 v20, s[4:5], s38, v10
	v_subbrev_co_u32_e64 v18, s[4:5], 0, v18, s[4:5]
	v_cmp_le_u32_e64 s[4:5], s39, v18
	v_cndmask_b32_e64 v21, 0, -1, s[4:5]
	v_cmp_le_u32_e64 s[4:5], s38, v20
	v_cndmask_b32_e64 v20, 0, -1, s[4:5]
	v_cmp_eq_u32_e64 s[4:5], s39, v18
	v_cndmask_b32_e64 v18, v21, v20, s[4:5]
	v_add_co_u32_e64 v20, s[4:5], 2, v16
	v_subb_co_u32_e32 v11, vcc, v19, v11, vcc
	v_addc_co_u32_e64 v21, s[4:5], 0, v17, s[4:5]
	v_cmp_le_u32_e32 vcc, s39, v11
	v_add_co_u32_e64 v22, s[4:5], 1, v16
	v_cndmask_b32_e64 v19, 0, -1, vcc
	v_cmp_le_u32_e32 vcc, s38, v10
	v_addc_co_u32_e64 v23, s[4:5], 0, v17, s[4:5]
	v_cndmask_b32_e64 v10, 0, -1, vcc
	v_cmp_eq_u32_e32 vcc, s39, v11
	v_cmp_ne_u32_e64 s[4:5], 0, v18
	v_cndmask_b32_e32 v10, v19, v10, vcc
	v_cndmask_b32_e64 v18, v23, v21, s[4:5]
	v_cmp_ne_u32_e32 vcc, 0, v10
	v_cndmask_b32_e64 v11, v22, v20, s[4:5]
	v_cndmask_b32_e32 v10, v17, v18, vcc
	v_cndmask_b32_e32 v11, v16, v11, vcc
	v_xor_b32_e32 v16, v10, v5
	v_xor_b32_e32 v10, v11, v5
	v_sub_co_u32_e32 v10, vcc, v10, v5
	v_subb_co_u32_e32 v11, vcc, v16, v5, vcc
.LBB82_12:                              ;   in Loop: Header=BB82_10 Depth=2
	s_andn2_saveexec_b64 s[4:5], s[34:35]
	s_cbranch_execz .LBB82_14
; %bb.13:                               ;   in Loop: Header=BB82_10 Depth=2
	v_cvt_f32_u32_e32 v5, s30
	s_sub_i32 s34, 0, s30
	v_rcp_iflag_f32_e32 v5, v5
	v_mul_f32_e32 v5, 0x4f7ffffe, v5
	v_cvt_u32_f32_e32 v5, v5
	v_mul_lo_u32 v10, s34, v5
	v_mul_hi_u32 v10, v5, v10
	v_add_u32_e32 v5, v5, v10
	v_mul_hi_u32 v5, v8, v5
	v_mul_lo_u32 v10, v5, s30
	v_add_u32_e32 v11, 1, v5
	v_sub_u32_e32 v10, v8, v10
	v_subrev_u32_e32 v16, s30, v10
	v_cmp_le_u32_e32 vcc, s30, v10
	v_cndmask_b32_e32 v10, v10, v16, vcc
	v_cndmask_b32_e32 v5, v5, v11, vcc
	v_add_u32_e32 v11, 1, v5
	v_cmp_le_u32_e32 vcc, s30, v10
	v_cndmask_b32_e32 v10, v5, v11, vcc
	v_mov_b32_e32 v11, v4
.LBB82_14:                              ;   in Loop: Header=BB82_10 Depth=2
	s_or_b64 exec, exec, s[4:5]
	v_mul_lo_u32 v5, v11, s30
	v_mul_lo_u32 v18, v10, s31
	v_mad_u64_u32 v[16:17], s[4:5], v10, s30, 0
	s_load_dwordx2 s[4:5], s[28:29], 0xc8
	s_add_i32 s40, s40, -1
	v_add3_u32 v5, v17, v18, v5
	v_sub_co_u32_e32 v8, vcc, v8, v16
	v_subb_co_u32_e32 v5, vcc, v9, v5, vcc
	s_waitcnt lgkmcnt(0)
	v_mul_lo_u32 v5, s4, v5
	v_mul_lo_u32 v9, s5, v8
	v_mad_u64_u32 v[6:7], s[4:5], s4, v8, v[6:7]
	s_add_u32 s28, s28, -8
	s_addc_u32 s29, s29, -1
	s_cmp_gt_u32 s40, 2
	v_add3_u32 v7, v9, v7, v5
	s_cbranch_scc0 .LBB82_16
; %bb.15:                               ;   in Loop: Header=BB82_10 Depth=2
	v_mov_b32_e32 v8, v10
	v_mov_b32_e32 v9, v11
	s_branch .LBB82_10
.LBB82_16:                              ;   in Loop: Header=BB82_9 Depth=1
	v_mul_lo_u32 v5, s21, v10
	v_mul_lo_u32 v11, s20, v11
	v_mad_u64_u32 v[8:9], s[4:5], s20, v10, 0
	v_add3_u32 v9, v9, v11, v5
	v_lshlrev_b64 v[8:9], 2, v[8:9]
	v_mov_b32_e32 v5, s23
	v_add_co_u32_e32 v8, vcc, s22, v8
	v_addc_co_u32_e32 v9, vcc, v5, v9, vcc
	v_lshlrev_b64 v[5:6], 2, v[6:7]
	v_add_co_u32_e32 v5, vcc, v8, v5
	v_addc_co_u32_e32 v6, vcc, v9, v6, vcc
	global_load_dword v5, v[5:6], off
	s_waitcnt vmcnt(0)
	v_cmp_le_f32_e32 vcc, s14, v5
	v_cmp_ge_f32_e64 s[4:5], s15, v5
	s_and_b64 s[28:29], vcc, s[4:5]
	s_and_saveexec_b64 s[4:5], s[28:29]
	s_cbranch_execz .LBB82_8
; %bb.17:                               ;   in Loop: Header=BB82_9 Depth=1
	v_subrev_f32_e32 v5, s14, v5
	v_mul_f32_e32 v5, v5, v13
	v_div_scale_f32 v6, s[28:29], v14, v14, v5
	v_div_scale_f32 v7, vcc, v5, v14, v5
	v_rcp_f32_e32 v8, v6
	v_fma_f32 v9, -v6, v8, 1.0
	v_fmac_f32_e32 v8, v9, v8
	v_mul_f32_e32 v9, v7, v8
	v_fma_f32 v10, -v6, v9, v7
	v_fmac_f32_e32 v9, v10, v8
	v_fma_f32 v6, -v6, v9, v7
	v_div_fmas_f32 v6, v6, v8, v9
	v_div_fixup_f32 v5, v6, v14, v5
	v_cvt_i32_f32_e32 v5, v5
	v_ashrrev_i32_e32 v6, 31, v5
	v_cmp_eq_u64_e32 vcc, s[12:13], v[5:6]
	v_lshlrev_b32_e32 v5, 2, v5
	v_cndmask_b32_e64 v6, 0, -1, vcc
	v_lshlrev_b32_e32 v6, 2, v6
	v_add3_u32 v5, 0, v6, v5
	v_mov_b32_e32 v6, 1.0
	ds_add_f32 v5, v6
	s_branch .LBB82_8
.LBB82_18:
	s_or_b64 exec, exec, s[6:7]
; %bb.19:
	s_waitcnt lgkmcnt(0)
	s_barrier
	s_and_saveexec_b64 s[2:3], s[0:1]
	s_cbranch_execz .LBB82_24
; %bb.20:
	v_and_b32_e32 v6, 0xffff, v12
	s_mov_b64 s[0:1], 0
	v_mov_b32_e32 v7, s9
.LBB82_21:                              ; =>This Loop Header: Depth=1
                                        ;     Child Loop BB82_22 Depth 2
	v_mul_lo_u32 v4, v1, s16
	v_mul_lo_u32 v5, v0, s17
	v_mad_u64_u32 v[2:3], s[2:3], v0, s16, 0
	s_mov_b64 s[2:3], 0
	v_add3_u32 v3, v3, v5, v4
	v_lshlrev_b64 v[2:3], 2, v[2:3]
	v_lshl_add_u32 v4, v0, 2, 0
	v_add_co_u32_e32 v2, vcc, s8, v2
	v_addc_co_u32_e32 v3, vcc, v7, v3, vcc
	global_load_dword v5, v[2:3], off
	ds_read_b32 v8, v4
.LBB82_22:                              ;   Parent Loop BB82_21 Depth=1
                                        ; =>  This Inner Loop Header: Depth=2
	s_waitcnt vmcnt(0) lgkmcnt(0)
	v_add_f32_e32 v4, v5, v8
	global_atomic_cmpswap v4, v[2:3], v[4:5], off glc
	s_waitcnt vmcnt(0)
	v_cmp_eq_u32_e32 vcc, v4, v5
	s_or_b64 s[2:3], vcc, s[2:3]
	v_mov_b32_e32 v5, v4
	s_andn2_b64 exec, exec, s[2:3]
	s_cbranch_execnz .LBB82_22
; %bb.23:                               ;   in Loop: Header=BB82_21 Depth=1
	s_or_b64 exec, exec, s[2:3]
	v_add_co_u32_e32 v0, vcc, v0, v6
	v_addc_co_u32_e32 v1, vcc, 0, v1, vcc
	v_cmp_le_i64_e32 vcc, s[10:11], v[0:1]
	s_or_b64 s[0:1], vcc, s[0:1]
	s_andn2_b64 exec, exec, s[0:1]
	s_cbranch_execnz .LBB82_21
.LBB82_24:
	s_endpgm
	.section	.rodata,"a",@progbits
	.p2align	6, 0x0
	.amdhsa_kernel _ZN2at4cuda17kernelHistogram1DIfflLi1ELi2ELin1ELNS0_23CUDAHistogramMemoryTypeE0EZNS0_21CUDA_tensor_histogramIffLb0EEEbNS_6TensorES4_S4_lNS_14AccumulateTypeIT0_Lb1EE4typeES8_NS0_13TensorArgTypeES9_S9_EUllE0_EEvNS0_6detail10TensorInfoIT_T1_EESF_NSC_IKS6_SE_EElS8_S8_SE_T6_
		.amdhsa_group_segment_fixed_size 0
		.amdhsa_private_segment_fixed_size 0
		.amdhsa_kernarg_size 1536
		.amdhsa_user_sgpr_count 6
		.amdhsa_user_sgpr_private_segment_buffer 1
		.amdhsa_user_sgpr_dispatch_ptr 0
		.amdhsa_user_sgpr_queue_ptr 0
		.amdhsa_user_sgpr_kernarg_segment_ptr 1
		.amdhsa_user_sgpr_dispatch_id 0
		.amdhsa_user_sgpr_flat_scratch_init 0
		.amdhsa_user_sgpr_private_segment_size 0
		.amdhsa_uses_dynamic_stack 0
		.amdhsa_system_sgpr_private_segment_wavefront_offset 0
		.amdhsa_system_sgpr_workgroup_id_x 1
		.amdhsa_system_sgpr_workgroup_id_y 0
		.amdhsa_system_sgpr_workgroup_id_z 0
		.amdhsa_system_sgpr_workgroup_info 0
		.amdhsa_system_vgpr_workitem_id 0
		.amdhsa_next_free_vgpr 24
		.amdhsa_next_free_sgpr 48
		.amdhsa_reserve_vcc 1
		.amdhsa_reserve_flat_scratch 0
		.amdhsa_float_round_mode_32 0
		.amdhsa_float_round_mode_16_64 0
		.amdhsa_float_denorm_mode_32 3
		.amdhsa_float_denorm_mode_16_64 3
		.amdhsa_dx10_clamp 1
		.amdhsa_ieee_mode 1
		.amdhsa_fp16_overflow 0
		.amdhsa_exception_fp_ieee_invalid_op 0
		.amdhsa_exception_fp_denorm_src 0
		.amdhsa_exception_fp_ieee_div_zero 0
		.amdhsa_exception_fp_ieee_overflow 0
		.amdhsa_exception_fp_ieee_underflow 0
		.amdhsa_exception_fp_ieee_inexact 0
		.amdhsa_exception_int_div_zero 0
	.end_amdhsa_kernel
	.section	.text._ZN2at4cuda17kernelHistogram1DIfflLi1ELi2ELin1ELNS0_23CUDAHistogramMemoryTypeE0EZNS0_21CUDA_tensor_histogramIffLb0EEEbNS_6TensorES4_S4_lNS_14AccumulateTypeIT0_Lb1EE4typeES8_NS0_13TensorArgTypeES9_S9_EUllE0_EEvNS0_6detail10TensorInfoIT_T1_EESF_NSC_IKS6_SE_EElS8_S8_SE_T6_,"axG",@progbits,_ZN2at4cuda17kernelHistogram1DIfflLi1ELi2ELin1ELNS0_23CUDAHistogramMemoryTypeE0EZNS0_21CUDA_tensor_histogramIffLb0EEEbNS_6TensorES4_S4_lNS_14AccumulateTypeIT0_Lb1EE4typeES8_NS0_13TensorArgTypeES9_S9_EUllE0_EEvNS0_6detail10TensorInfoIT_T1_EESF_NSC_IKS6_SE_EElS8_S8_SE_T6_,comdat
.Lfunc_end82:
	.size	_ZN2at4cuda17kernelHistogram1DIfflLi1ELi2ELin1ELNS0_23CUDAHistogramMemoryTypeE0EZNS0_21CUDA_tensor_histogramIffLb0EEEbNS_6TensorES4_S4_lNS_14AccumulateTypeIT0_Lb1EE4typeES8_NS0_13TensorArgTypeES9_S9_EUllE0_EEvNS0_6detail10TensorInfoIT_T1_EESF_NSC_IKS6_SE_EElS8_S8_SE_T6_, .Lfunc_end82-_ZN2at4cuda17kernelHistogram1DIfflLi1ELi2ELin1ELNS0_23CUDAHistogramMemoryTypeE0EZNS0_21CUDA_tensor_histogramIffLb0EEEbNS_6TensorES4_S4_lNS_14AccumulateTypeIT0_Lb1EE4typeES8_NS0_13TensorArgTypeES9_S9_EUllE0_EEvNS0_6detail10TensorInfoIT_T1_EESF_NSC_IKS6_SE_EElS8_S8_SE_T6_
                                        ; -- End function
	.set _ZN2at4cuda17kernelHistogram1DIfflLi1ELi2ELin1ELNS0_23CUDAHistogramMemoryTypeE0EZNS0_21CUDA_tensor_histogramIffLb0EEEbNS_6TensorES4_S4_lNS_14AccumulateTypeIT0_Lb1EE4typeES8_NS0_13TensorArgTypeES9_S9_EUllE0_EEvNS0_6detail10TensorInfoIT_T1_EESF_NSC_IKS6_SE_EElS8_S8_SE_T6_.num_vgpr, 24
	.set _ZN2at4cuda17kernelHistogram1DIfflLi1ELi2ELin1ELNS0_23CUDAHistogramMemoryTypeE0EZNS0_21CUDA_tensor_histogramIffLb0EEEbNS_6TensorES4_S4_lNS_14AccumulateTypeIT0_Lb1EE4typeES8_NS0_13TensorArgTypeES9_S9_EUllE0_EEvNS0_6detail10TensorInfoIT_T1_EESF_NSC_IKS6_SE_EElS8_S8_SE_T6_.num_agpr, 0
	.set _ZN2at4cuda17kernelHistogram1DIfflLi1ELi2ELin1ELNS0_23CUDAHistogramMemoryTypeE0EZNS0_21CUDA_tensor_histogramIffLb0EEEbNS_6TensorES4_S4_lNS_14AccumulateTypeIT0_Lb1EE4typeES8_NS0_13TensorArgTypeES9_S9_EUllE0_EEvNS0_6detail10TensorInfoIT_T1_EESF_NSC_IKS6_SE_EElS8_S8_SE_T6_.numbered_sgpr, 48
	.set _ZN2at4cuda17kernelHistogram1DIfflLi1ELi2ELin1ELNS0_23CUDAHistogramMemoryTypeE0EZNS0_21CUDA_tensor_histogramIffLb0EEEbNS_6TensorES4_S4_lNS_14AccumulateTypeIT0_Lb1EE4typeES8_NS0_13TensorArgTypeES9_S9_EUllE0_EEvNS0_6detail10TensorInfoIT_T1_EESF_NSC_IKS6_SE_EElS8_S8_SE_T6_.num_named_barrier, 0
	.set _ZN2at4cuda17kernelHistogram1DIfflLi1ELi2ELin1ELNS0_23CUDAHistogramMemoryTypeE0EZNS0_21CUDA_tensor_histogramIffLb0EEEbNS_6TensorES4_S4_lNS_14AccumulateTypeIT0_Lb1EE4typeES8_NS0_13TensorArgTypeES9_S9_EUllE0_EEvNS0_6detail10TensorInfoIT_T1_EESF_NSC_IKS6_SE_EElS8_S8_SE_T6_.private_seg_size, 0
	.set _ZN2at4cuda17kernelHistogram1DIfflLi1ELi2ELin1ELNS0_23CUDAHistogramMemoryTypeE0EZNS0_21CUDA_tensor_histogramIffLb0EEEbNS_6TensorES4_S4_lNS_14AccumulateTypeIT0_Lb1EE4typeES8_NS0_13TensorArgTypeES9_S9_EUllE0_EEvNS0_6detail10TensorInfoIT_T1_EESF_NSC_IKS6_SE_EElS8_S8_SE_T6_.uses_vcc, 1
	.set _ZN2at4cuda17kernelHistogram1DIfflLi1ELi2ELin1ELNS0_23CUDAHistogramMemoryTypeE0EZNS0_21CUDA_tensor_histogramIffLb0EEEbNS_6TensorES4_S4_lNS_14AccumulateTypeIT0_Lb1EE4typeES8_NS0_13TensorArgTypeES9_S9_EUllE0_EEvNS0_6detail10TensorInfoIT_T1_EESF_NSC_IKS6_SE_EElS8_S8_SE_T6_.uses_flat_scratch, 0
	.set _ZN2at4cuda17kernelHistogram1DIfflLi1ELi2ELin1ELNS0_23CUDAHistogramMemoryTypeE0EZNS0_21CUDA_tensor_histogramIffLb0EEEbNS_6TensorES4_S4_lNS_14AccumulateTypeIT0_Lb1EE4typeES8_NS0_13TensorArgTypeES9_S9_EUllE0_EEvNS0_6detail10TensorInfoIT_T1_EESF_NSC_IKS6_SE_EElS8_S8_SE_T6_.has_dyn_sized_stack, 0
	.set _ZN2at4cuda17kernelHistogram1DIfflLi1ELi2ELin1ELNS0_23CUDAHistogramMemoryTypeE0EZNS0_21CUDA_tensor_histogramIffLb0EEEbNS_6TensorES4_S4_lNS_14AccumulateTypeIT0_Lb1EE4typeES8_NS0_13TensorArgTypeES9_S9_EUllE0_EEvNS0_6detail10TensorInfoIT_T1_EESF_NSC_IKS6_SE_EElS8_S8_SE_T6_.has_recursion, 0
	.set _ZN2at4cuda17kernelHistogram1DIfflLi1ELi2ELin1ELNS0_23CUDAHistogramMemoryTypeE0EZNS0_21CUDA_tensor_histogramIffLb0EEEbNS_6TensorES4_S4_lNS_14AccumulateTypeIT0_Lb1EE4typeES8_NS0_13TensorArgTypeES9_S9_EUllE0_EEvNS0_6detail10TensorInfoIT_T1_EESF_NSC_IKS6_SE_EElS8_S8_SE_T6_.has_indirect_call, 0
	.section	.AMDGPU.csdata,"",@progbits
; Kernel info:
; codeLenInByte = 1788
; TotalNumSgprs: 52
; NumVgprs: 24
; ScratchSize: 0
; MemoryBound: 0
; FloatMode: 240
; IeeeMode: 1
; LDSByteSize: 0 bytes/workgroup (compile time only)
; SGPRBlocks: 6
; VGPRBlocks: 5
; NumSGPRsForWavesPerEU: 52
; NumVGPRsForWavesPerEU: 24
; Occupancy: 10
; WaveLimiterHint : 1
; COMPUTE_PGM_RSRC2:SCRATCH_EN: 0
; COMPUTE_PGM_RSRC2:USER_SGPR: 6
; COMPUTE_PGM_RSRC2:TRAP_HANDLER: 0
; COMPUTE_PGM_RSRC2:TGID_X_EN: 1
; COMPUTE_PGM_RSRC2:TGID_Y_EN: 0
; COMPUTE_PGM_RSRC2:TGID_Z_EN: 0
; COMPUTE_PGM_RSRC2:TIDIG_COMP_CNT: 0
	.section	.text._ZN2at4cuda17kernelHistogram1DIfflLi1ELi2ELin1ELNS0_23CUDAHistogramMemoryTypeE1EZNS0_21CUDA_tensor_histogramIffLb0EEEbNS_6TensorES4_S4_lNS_14AccumulateTypeIT0_Lb1EE4typeES8_NS0_13TensorArgTypeES9_S9_EUllE0_EEvNS0_6detail10TensorInfoIT_T1_EESF_NSC_IKS6_SE_EElS8_S8_SE_T6_,"axG",@progbits,_ZN2at4cuda17kernelHistogram1DIfflLi1ELi2ELin1ELNS0_23CUDAHistogramMemoryTypeE1EZNS0_21CUDA_tensor_histogramIffLb0EEEbNS_6TensorES4_S4_lNS_14AccumulateTypeIT0_Lb1EE4typeES8_NS0_13TensorArgTypeES9_S9_EUllE0_EEvNS0_6detail10TensorInfoIT_T1_EESF_NSC_IKS6_SE_EElS8_S8_SE_T6_,comdat
	.protected	_ZN2at4cuda17kernelHistogram1DIfflLi1ELi2ELin1ELNS0_23CUDAHistogramMemoryTypeE1EZNS0_21CUDA_tensor_histogramIffLb0EEEbNS_6TensorES4_S4_lNS_14AccumulateTypeIT0_Lb1EE4typeES8_NS0_13TensorArgTypeES9_S9_EUllE0_EEvNS0_6detail10TensorInfoIT_T1_EESF_NSC_IKS6_SE_EElS8_S8_SE_T6_ ; -- Begin function _ZN2at4cuda17kernelHistogram1DIfflLi1ELi2ELin1ELNS0_23CUDAHistogramMemoryTypeE1EZNS0_21CUDA_tensor_histogramIffLb0EEEbNS_6TensorES4_S4_lNS_14AccumulateTypeIT0_Lb1EE4typeES8_NS0_13TensorArgTypeES9_S9_EUllE0_EEvNS0_6detail10TensorInfoIT_T1_EESF_NSC_IKS6_SE_EElS8_S8_SE_T6_
	.globl	_ZN2at4cuda17kernelHistogram1DIfflLi1ELi2ELin1ELNS0_23CUDAHistogramMemoryTypeE1EZNS0_21CUDA_tensor_histogramIffLb0EEEbNS_6TensorES4_S4_lNS_14AccumulateTypeIT0_Lb1EE4typeES8_NS0_13TensorArgTypeES9_S9_EUllE0_EEvNS0_6detail10TensorInfoIT_T1_EESF_NSC_IKS6_SE_EElS8_S8_SE_T6_
	.p2align	8
	.type	_ZN2at4cuda17kernelHistogram1DIfflLi1ELi2ELin1ELNS0_23CUDAHistogramMemoryTypeE1EZNS0_21CUDA_tensor_histogramIffLb0EEEbNS_6TensorES4_S4_lNS_14AccumulateTypeIT0_Lb1EE4typeES8_NS0_13TensorArgTypeES9_S9_EUllE0_EEvNS0_6detail10TensorInfoIT_T1_EESF_NSC_IKS6_SE_EElS8_S8_SE_T6_,@function
_ZN2at4cuda17kernelHistogram1DIfflLi1ELi2ELin1ELNS0_23CUDAHistogramMemoryTypeE1EZNS0_21CUDA_tensor_histogramIffLb0EEEbNS_6TensorES4_S4_lNS_14AccumulateTypeIT0_Lb1EE4typeES8_NS0_13TensorArgTypeES9_S9_EUllE0_EEvNS0_6detail10TensorInfoIT_T1_EESF_NSC_IKS6_SE_EElS8_S8_SE_T6_: ; @_ZN2at4cuda17kernelHistogram1DIfflLi1ELi2ELin1ELNS0_23CUDAHistogramMemoryTypeE1EZNS0_21CUDA_tensor_histogramIffLb0EEEbNS_6TensorES4_S4_lNS_14AccumulateTypeIT0_Lb1EE4typeES8_NS0_13TensorArgTypeES9_S9_EUllE0_EEvNS0_6detail10TensorInfoIT_T1_EESF_NSC_IKS6_SE_EElS8_S8_SE_T6_
; %bb.0:
	s_load_dword s2, s[4:5], 0x50c
	s_load_dwordx2 s[12:13], s[4:5], 0x4f0
	s_add_u32 s0, s4, 0x500
	s_addc_u32 s1, s5, 0
	v_mov_b32_e32 v2, 0
	s_waitcnt lgkmcnt(0)
	s_and_b32 s2, s2, 0xffff
	s_mul_i32 s6, s6, s2
	v_add_u32_e32 v0, s6, v0
	v_mov_b32_e32 v1, v2
	v_cmp_gt_i64_e32 vcc, s[12:13], v[0:1]
	s_and_saveexec_b64 s[6:7], vcc
	s_cbranch_execz .LBB83_13
; %bb.1:
	s_load_dword s20, s[4:5], 0x4d8
	s_load_dwordx4 s[8:11], s[4:5], 0x4e0
	s_add_u32 s21, s4, 0x340
	s_addc_u32 s22, s5, 0
	s_load_dword s3, s[0:1], 0x0
	s_waitcnt lgkmcnt(0)
	s_cmp_gt_i32 s20, 1
	s_cselect_b64 s[0:1], -1, 0
	s_xor_b32 s7, s8, s9
	s_flbit_i32 s6, s9
	s_ashr_i32 s7, s7, 31
	s_add_i32 s6, s6, -1
	s_add_i32 s7, s7, 32
	s_min_u32 s23, s6, s7
	s_lshl_b64 s[6:7], s[8:9], s23
	s_min_u32 s6, s6, 1
	s_or_b32 s6, s7, s6
	v_cvt_f32_i32_e32 v3, s6
	s_load_dwordx2 s[6:7], s[4:5], 0x0
	s_load_dwordx2 s[14:15], s[4:5], 0xd0
	;; [unrolled: 1-line block ×4, first 2 shown]
	s_mul_i32 s33, s3, s2
	s_mov_b32 s3, 0
	s_add_i32 s2, s20, -1
	s_sub_i32 s4, 32, s23
	s_add_i32 s34, s20, 1
	s_lshl_b64 s[2:3], s[2:3], 3
	s_add_u32 s2, s21, s2
	v_ldexp_f32 v10, v3, s4
	v_mov_b32_e32 v3, s10
	s_addc_u32 s3, s22, s3
	v_sub_f32_e32 v11, s11, v3
	s_add_u32 s4, s2, 8
	v_cndmask_b32_e64 v3, 0, 1, s[0:1]
	s_addc_u32 s5, s3, 0
	s_mov_b64 s[20:21], 0
	v_cmp_ne_u32_e64 s[0:1], 1, v3
	s_branch .LBB83_3
.LBB83_2:                               ;   in Loop: Header=BB83_3 Depth=1
	s_or_b64 exec, exec, s[2:3]
	v_add_co_u32_e32 v0, vcc, s33, v0
	v_addc_co_u32_e32 v1, vcc, 0, v1, vcc
	v_cmp_le_i64_e32 vcc, s[12:13], v[0:1]
	s_or_b64 s[20:21], vcc, s[20:21]
	s_andn2_b64 exec, exec, s[20:21]
	s_cbranch_execz .LBB83_13
.LBB83_3:                               ; =>This Loop Header: Depth=1
                                        ;     Child Loop BB83_4 Depth 2
                                        ;     Child Loop BB83_12 Depth 2
	v_mov_b32_e32 v4, 0
	v_mov_b32_e32 v7, v1
	;; [unrolled: 1-line block ×4, first 2 shown]
	s_and_b64 vcc, exec, s[0:1]
	s_mov_b64 s[22:23], s[4:5]
	s_mov_b32 s35, s34
	v_mov_b32_e32 v6, v0
	v_mov_b32_e32 v8, v0
	s_cbranch_vccnz .LBB83_10
.LBB83_4:                               ;   Parent Loop BB83_3 Depth=1
                                        ; =>  This Inner Loop Header: Depth=2
	s_load_dwordx2 s[24:25], s[22:23], 0x0
                                        ; implicit-def: $vgpr8_vgpr9
	s_waitcnt lgkmcnt(0)
	v_or_b32_e32 v3, s25, v7
	v_cmp_ne_u64_e32 vcc, 0, v[2:3]
	s_and_saveexec_b64 s[2:3], vcc
	s_xor_b64 s[26:27], exec, s[2:3]
	s_cbranch_execz .LBB83_6
; %bb.5:                                ;   in Loop: Header=BB83_4 Depth=2
	s_ashr_i32 s28, s25, 31
	s_add_u32 s2, s24, s28
	s_mov_b32 s29, s28
	s_addc_u32 s3, s25, s28
	s_xor_b64 s[30:31], s[2:3], s[28:29]
	v_cvt_f32_u32_e32 v3, s30
	v_cvt_f32_u32_e32 v8, s31
	s_sub_u32 s29, 0, s30
	s_subb_u32 s36, 0, s31
	v_mac_f32_e32 v3, 0x4f800000, v8
	v_rcp_f32_e32 v3, v3
	v_mul_f32_e32 v3, 0x5f7ffffc, v3
	v_mul_f32_e32 v8, 0x2f800000, v3
	v_trunc_f32_e32 v8, v8
	v_mac_f32_e32 v3, 0xcf800000, v8
	v_cvt_u32_f32_e32 v8, v8
	v_cvt_u32_f32_e32 v3, v3
	v_readfirstlane_b32 s37, v8
	v_readfirstlane_b32 s2, v3
	s_mul_i32 s3, s29, s37
	s_mul_hi_u32 s39, s29, s2
	s_mul_i32 s38, s36, s2
	s_add_i32 s3, s39, s3
	s_add_i32 s3, s3, s38
	s_mul_i32 s40, s29, s2
	s_mul_i32 s39, s2, s3
	s_mul_hi_u32 s41, s2, s40
	s_mul_hi_u32 s38, s2, s3
	s_add_u32 s39, s41, s39
	s_addc_u32 s38, 0, s38
	s_mul_hi_u32 s42, s37, s40
	s_mul_i32 s40, s37, s40
	s_add_u32 s39, s39, s40
	s_mul_hi_u32 s41, s37, s3
	s_addc_u32 s38, s38, s42
	s_addc_u32 s39, s41, 0
	s_mul_i32 s3, s37, s3
	s_add_u32 s3, s38, s3
	s_addc_u32 s38, 0, s39
	s_add_u32 s39, s2, s3
	s_cselect_b64 s[2:3], -1, 0
	s_cmp_lg_u64 s[2:3], 0
	s_addc_u32 s37, s37, s38
	s_mul_i32 s2, s29, s37
	s_mul_hi_u32 s3, s29, s39
	s_add_i32 s2, s3, s2
	s_mul_i32 s36, s36, s39
	s_add_i32 s2, s2, s36
	s_mul_i32 s29, s29, s39
	s_mul_hi_u32 s36, s37, s29
	s_mul_i32 s38, s37, s29
	s_mul_i32 s41, s39, s2
	s_mul_hi_u32 s29, s39, s29
	s_mul_hi_u32 s40, s39, s2
	s_add_u32 s29, s29, s41
	s_addc_u32 s40, 0, s40
	s_add_u32 s29, s29, s38
	s_mul_hi_u32 s3, s37, s2
	s_addc_u32 s29, s40, s36
	s_addc_u32 s3, s3, 0
	s_mul_i32 s2, s37, s2
	s_add_u32 s2, s29, s2
	s_addc_u32 s29, 0, s3
	s_add_u32 s36, s39, s2
	s_cselect_b64 s[2:3], -1, 0
	v_ashrrev_i32_e32 v3, 31, v7
	s_cmp_lg_u64 s[2:3], 0
	v_add_co_u32_e32 v8, vcc, v6, v3
	s_addc_u32 s29, s37, s29
	v_xor_b32_e32 v14, v8, v3
	v_mad_u64_u32 v[8:9], s[2:3], v14, s29, 0
	v_mul_hi_u32 v13, v14, s36
	v_addc_co_u32_e32 v12, vcc, v7, v3, vcc
	v_xor_b32_e32 v15, v12, v3
	v_add_co_u32_e32 v16, vcc, v13, v8
	v_addc_co_u32_e32 v17, vcc, 0, v9, vcc
	v_mad_u64_u32 v[8:9], s[2:3], v15, s36, 0
	v_mad_u64_u32 v[12:13], s[2:3], v15, s29, 0
	v_add_co_u32_e32 v8, vcc, v16, v8
	v_addc_co_u32_e32 v8, vcc, v17, v9, vcc
	v_addc_co_u32_e32 v9, vcc, 0, v13, vcc
	v_add_co_u32_e32 v12, vcc, v8, v12
	v_addc_co_u32_e32 v13, vcc, 0, v9, vcc
	v_mul_lo_u32 v16, s31, v12
	v_mul_lo_u32 v17, s30, v13
	v_mad_u64_u32 v[8:9], s[2:3], s30, v12, 0
	v_xor_b32_e32 v3, s28, v3
	v_add3_u32 v9, v9, v17, v16
	v_sub_u32_e32 v16, v15, v9
	v_mov_b32_e32 v17, s31
	v_sub_co_u32_e32 v8, vcc, v14, v8
	v_subb_co_u32_e64 v14, s[2:3], v16, v17, vcc
	v_subrev_co_u32_e64 v16, s[2:3], s30, v8
	v_subbrev_co_u32_e64 v14, s[2:3], 0, v14, s[2:3]
	v_cmp_le_u32_e64 s[2:3], s31, v14
	v_cndmask_b32_e64 v17, 0, -1, s[2:3]
	v_cmp_le_u32_e64 s[2:3], s30, v16
	v_cndmask_b32_e64 v16, 0, -1, s[2:3]
	v_cmp_eq_u32_e64 s[2:3], s31, v14
	v_cndmask_b32_e64 v14, v17, v16, s[2:3]
	v_add_co_u32_e64 v16, s[2:3], 2, v12
	v_subb_co_u32_e32 v9, vcc, v15, v9, vcc
	v_addc_co_u32_e64 v17, s[2:3], 0, v13, s[2:3]
	v_cmp_le_u32_e32 vcc, s31, v9
	v_add_co_u32_e64 v18, s[2:3], 1, v12
	v_cndmask_b32_e64 v15, 0, -1, vcc
	v_cmp_le_u32_e32 vcc, s30, v8
	v_addc_co_u32_e64 v19, s[2:3], 0, v13, s[2:3]
	v_cndmask_b32_e64 v8, 0, -1, vcc
	v_cmp_eq_u32_e32 vcc, s31, v9
	v_cmp_ne_u32_e64 s[2:3], 0, v14
	v_cndmask_b32_e32 v8, v15, v8, vcc
	v_cndmask_b32_e64 v14, v19, v17, s[2:3]
	v_cmp_ne_u32_e32 vcc, 0, v8
	v_cndmask_b32_e64 v9, v18, v16, s[2:3]
	v_cndmask_b32_e32 v8, v13, v14, vcc
	v_cndmask_b32_e32 v9, v12, v9, vcc
	v_xor_b32_e32 v12, v8, v3
	v_xor_b32_e32 v8, v9, v3
	v_sub_co_u32_e32 v8, vcc, v8, v3
	v_subb_co_u32_e32 v9, vcc, v12, v3, vcc
.LBB83_6:                               ;   in Loop: Header=BB83_4 Depth=2
	s_andn2_saveexec_b64 s[2:3], s[26:27]
	s_cbranch_execz .LBB83_8
; %bb.7:                                ;   in Loop: Header=BB83_4 Depth=2
	v_cvt_f32_u32_e32 v3, s24
	s_sub_i32 s26, 0, s24
	v_rcp_iflag_f32_e32 v3, v3
	v_mul_f32_e32 v3, 0x4f7ffffe, v3
	v_cvt_u32_f32_e32 v3, v3
	v_mul_lo_u32 v8, s26, v3
	v_mul_hi_u32 v8, v3, v8
	v_add_u32_e32 v3, v3, v8
	v_mul_hi_u32 v3, v6, v3
	v_mul_lo_u32 v8, v3, s24
	v_add_u32_e32 v9, 1, v3
	v_sub_u32_e32 v8, v6, v8
	v_subrev_u32_e32 v12, s24, v8
	v_cmp_le_u32_e32 vcc, s24, v8
	v_cndmask_b32_e32 v8, v8, v12, vcc
	v_cndmask_b32_e32 v3, v3, v9, vcc
	v_add_u32_e32 v9, 1, v3
	v_cmp_le_u32_e32 vcc, s24, v8
	v_cndmask_b32_e32 v8, v3, v9, vcc
	v_mov_b32_e32 v9, v2
.LBB83_8:                               ;   in Loop: Header=BB83_4 Depth=2
	s_or_b64 exec, exec, s[2:3]
	v_mul_lo_u32 v3, v9, s24
	v_mul_lo_u32 v14, v8, s25
	v_mad_u64_u32 v[12:13], s[2:3], v8, s24, 0
	s_load_dwordx2 s[2:3], s[22:23], 0xc8
	s_add_i32 s35, s35, -1
	v_add3_u32 v3, v13, v14, v3
	v_sub_co_u32_e32 v6, vcc, v6, v12
	v_subb_co_u32_e32 v3, vcc, v7, v3, vcc
	s_waitcnt lgkmcnt(0)
	v_mul_lo_u32 v3, s2, v3
	v_mul_lo_u32 v7, s3, v6
	v_mad_u64_u32 v[4:5], s[2:3], s2, v6, v[4:5]
	s_add_u32 s22, s22, -8
	s_addc_u32 s23, s23, -1
	s_cmp_gt_u32 s35, 2
	v_add3_u32 v5, v7, v5, v3
	s_cbranch_scc0 .LBB83_10
; %bb.9:                                ;   in Loop: Header=BB83_4 Depth=2
	v_mov_b32_e32 v6, v8
	v_mov_b32_e32 v7, v9
	s_branch .LBB83_4
.LBB83_10:                              ;   in Loop: Header=BB83_3 Depth=1
	s_waitcnt lgkmcnt(0)
	v_mul_lo_u32 v3, s17, v8
	v_mul_lo_u32 v9, s16, v9
	v_mad_u64_u32 v[6:7], s[2:3], s16, v8, 0
	v_add3_u32 v7, v7, v9, v3
	v_lshlrev_b64 v[6:7], 2, v[6:7]
	v_mov_b32_e32 v3, s19
	v_add_co_u32_e32 v6, vcc, s18, v6
	v_addc_co_u32_e32 v7, vcc, v3, v7, vcc
	v_lshlrev_b64 v[3:4], 2, v[4:5]
	v_add_co_u32_e32 v3, vcc, v6, v3
	v_addc_co_u32_e32 v4, vcc, v7, v4, vcc
	global_load_dword v3, v[3:4], off
	s_waitcnt vmcnt(0)
	v_cmp_le_f32_e32 vcc, s10, v3
	v_cmp_ge_f32_e64 s[2:3], s11, v3
	s_and_b64 s[22:23], vcc, s[2:3]
	s_and_saveexec_b64 s[2:3], s[22:23]
	s_cbranch_execz .LBB83_2
; %bb.11:                               ;   in Loop: Header=BB83_3 Depth=1
	v_subrev_f32_e32 v3, s10, v3
	v_mul_f32_e32 v3, v3, v10
	v_div_scale_f32 v4, s[22:23], v11, v11, v3
	v_div_scale_f32 v5, vcc, v3, v11, v3
	v_rcp_f32_e32 v6, v4
	v_fma_f32 v7, -v4, v6, 1.0
	v_fmac_f32_e32 v6, v7, v6
	v_mul_f32_e32 v7, v5, v6
	v_fma_f32 v8, -v4, v7, v5
	v_fmac_f32_e32 v7, v8, v6
	v_fma_f32 v4, -v4, v7, v5
	v_div_fmas_f32 v4, v4, v6, v7
	v_mov_b32_e32 v7, s7
	v_div_fixup_f32 v3, v4, v11, v3
	v_cvt_i32_f32_e32 v3, v3
	v_ashrrev_i32_e32 v4, 31, v3
	v_cmp_eq_u64_e32 vcc, s[8:9], v[3:4]
	v_cndmask_b32_e64 v5, 0, 1, vcc
	v_sub_co_u32_e32 v3, vcc, v3, v5
	v_subbrev_co_u32_e32 v4, vcc, 0, v4, vcc
	v_mul_lo_u32 v5, v4, s14
	v_mul_lo_u32 v6, v3, s15
	v_mad_u64_u32 v[3:4], s[22:23], v3, s14, 0
	s_mov_b64 s[22:23], 0
	v_add3_u32 v4, v4, v6, v5
	v_lshlrev_b64 v[3:4], 2, v[3:4]
	v_add_co_u32_e32 v3, vcc, s6, v3
	v_addc_co_u32_e32 v4, vcc, v7, v4, vcc
	global_load_dword v6, v[3:4], off
.LBB83_12:                              ;   Parent Loop BB83_3 Depth=1
                                        ; =>  This Inner Loop Header: Depth=2
	s_waitcnt vmcnt(0)
	v_add_f32_e32 v5, 1.0, v6
	global_atomic_cmpswap v5, v[3:4], v[5:6], off glc
	s_waitcnt vmcnt(0)
	v_cmp_eq_u32_e32 vcc, v5, v6
	s_or_b64 s[22:23], vcc, s[22:23]
	v_mov_b32_e32 v6, v5
	s_andn2_b64 exec, exec, s[22:23]
	s_cbranch_execnz .LBB83_12
	s_branch .LBB83_2
.LBB83_13:
	s_endpgm
	.section	.rodata,"a",@progbits
	.p2align	6, 0x0
	.amdhsa_kernel _ZN2at4cuda17kernelHistogram1DIfflLi1ELi2ELin1ELNS0_23CUDAHistogramMemoryTypeE1EZNS0_21CUDA_tensor_histogramIffLb0EEEbNS_6TensorES4_S4_lNS_14AccumulateTypeIT0_Lb1EE4typeES8_NS0_13TensorArgTypeES9_S9_EUllE0_EEvNS0_6detail10TensorInfoIT_T1_EESF_NSC_IKS6_SE_EElS8_S8_SE_T6_
		.amdhsa_group_segment_fixed_size 0
		.amdhsa_private_segment_fixed_size 0
		.amdhsa_kernarg_size 1536
		.amdhsa_user_sgpr_count 6
		.amdhsa_user_sgpr_private_segment_buffer 1
		.amdhsa_user_sgpr_dispatch_ptr 0
		.amdhsa_user_sgpr_queue_ptr 0
		.amdhsa_user_sgpr_kernarg_segment_ptr 1
		.amdhsa_user_sgpr_dispatch_id 0
		.amdhsa_user_sgpr_flat_scratch_init 0
		.amdhsa_user_sgpr_private_segment_size 0
		.amdhsa_uses_dynamic_stack 0
		.amdhsa_system_sgpr_private_segment_wavefront_offset 0
		.amdhsa_system_sgpr_workgroup_id_x 1
		.amdhsa_system_sgpr_workgroup_id_y 0
		.amdhsa_system_sgpr_workgroup_id_z 0
		.amdhsa_system_sgpr_workgroup_info 0
		.amdhsa_system_vgpr_workitem_id 0
		.amdhsa_next_free_vgpr 20
		.amdhsa_next_free_sgpr 43
		.amdhsa_reserve_vcc 1
		.amdhsa_reserve_flat_scratch 0
		.amdhsa_float_round_mode_32 0
		.amdhsa_float_round_mode_16_64 0
		.amdhsa_float_denorm_mode_32 3
		.amdhsa_float_denorm_mode_16_64 3
		.amdhsa_dx10_clamp 1
		.amdhsa_ieee_mode 1
		.amdhsa_fp16_overflow 0
		.amdhsa_exception_fp_ieee_invalid_op 0
		.amdhsa_exception_fp_denorm_src 0
		.amdhsa_exception_fp_ieee_div_zero 0
		.amdhsa_exception_fp_ieee_overflow 0
		.amdhsa_exception_fp_ieee_underflow 0
		.amdhsa_exception_fp_ieee_inexact 0
		.amdhsa_exception_int_div_zero 0
	.end_amdhsa_kernel
	.section	.text._ZN2at4cuda17kernelHistogram1DIfflLi1ELi2ELin1ELNS0_23CUDAHistogramMemoryTypeE1EZNS0_21CUDA_tensor_histogramIffLb0EEEbNS_6TensorES4_S4_lNS_14AccumulateTypeIT0_Lb1EE4typeES8_NS0_13TensorArgTypeES9_S9_EUllE0_EEvNS0_6detail10TensorInfoIT_T1_EESF_NSC_IKS6_SE_EElS8_S8_SE_T6_,"axG",@progbits,_ZN2at4cuda17kernelHistogram1DIfflLi1ELi2ELin1ELNS0_23CUDAHistogramMemoryTypeE1EZNS0_21CUDA_tensor_histogramIffLb0EEEbNS_6TensorES4_S4_lNS_14AccumulateTypeIT0_Lb1EE4typeES8_NS0_13TensorArgTypeES9_S9_EUllE0_EEvNS0_6detail10TensorInfoIT_T1_EESF_NSC_IKS6_SE_EElS8_S8_SE_T6_,comdat
.Lfunc_end83:
	.size	_ZN2at4cuda17kernelHistogram1DIfflLi1ELi2ELin1ELNS0_23CUDAHistogramMemoryTypeE1EZNS0_21CUDA_tensor_histogramIffLb0EEEbNS_6TensorES4_S4_lNS_14AccumulateTypeIT0_Lb1EE4typeES8_NS0_13TensorArgTypeES9_S9_EUllE0_EEvNS0_6detail10TensorInfoIT_T1_EESF_NSC_IKS6_SE_EElS8_S8_SE_T6_, .Lfunc_end83-_ZN2at4cuda17kernelHistogram1DIfflLi1ELi2ELin1ELNS0_23CUDAHistogramMemoryTypeE1EZNS0_21CUDA_tensor_histogramIffLb0EEEbNS_6TensorES4_S4_lNS_14AccumulateTypeIT0_Lb1EE4typeES8_NS0_13TensorArgTypeES9_S9_EUllE0_EEvNS0_6detail10TensorInfoIT_T1_EESF_NSC_IKS6_SE_EElS8_S8_SE_T6_
                                        ; -- End function
	.set _ZN2at4cuda17kernelHistogram1DIfflLi1ELi2ELin1ELNS0_23CUDAHistogramMemoryTypeE1EZNS0_21CUDA_tensor_histogramIffLb0EEEbNS_6TensorES4_S4_lNS_14AccumulateTypeIT0_Lb1EE4typeES8_NS0_13TensorArgTypeES9_S9_EUllE0_EEvNS0_6detail10TensorInfoIT_T1_EESF_NSC_IKS6_SE_EElS8_S8_SE_T6_.num_vgpr, 20
	.set _ZN2at4cuda17kernelHistogram1DIfflLi1ELi2ELin1ELNS0_23CUDAHistogramMemoryTypeE1EZNS0_21CUDA_tensor_histogramIffLb0EEEbNS_6TensorES4_S4_lNS_14AccumulateTypeIT0_Lb1EE4typeES8_NS0_13TensorArgTypeES9_S9_EUllE0_EEvNS0_6detail10TensorInfoIT_T1_EESF_NSC_IKS6_SE_EElS8_S8_SE_T6_.num_agpr, 0
	.set _ZN2at4cuda17kernelHistogram1DIfflLi1ELi2ELin1ELNS0_23CUDAHistogramMemoryTypeE1EZNS0_21CUDA_tensor_histogramIffLb0EEEbNS_6TensorES4_S4_lNS_14AccumulateTypeIT0_Lb1EE4typeES8_NS0_13TensorArgTypeES9_S9_EUllE0_EEvNS0_6detail10TensorInfoIT_T1_EESF_NSC_IKS6_SE_EElS8_S8_SE_T6_.numbered_sgpr, 43
	.set _ZN2at4cuda17kernelHistogram1DIfflLi1ELi2ELin1ELNS0_23CUDAHistogramMemoryTypeE1EZNS0_21CUDA_tensor_histogramIffLb0EEEbNS_6TensorES4_S4_lNS_14AccumulateTypeIT0_Lb1EE4typeES8_NS0_13TensorArgTypeES9_S9_EUllE0_EEvNS0_6detail10TensorInfoIT_T1_EESF_NSC_IKS6_SE_EElS8_S8_SE_T6_.num_named_barrier, 0
	.set _ZN2at4cuda17kernelHistogram1DIfflLi1ELi2ELin1ELNS0_23CUDAHistogramMemoryTypeE1EZNS0_21CUDA_tensor_histogramIffLb0EEEbNS_6TensorES4_S4_lNS_14AccumulateTypeIT0_Lb1EE4typeES8_NS0_13TensorArgTypeES9_S9_EUllE0_EEvNS0_6detail10TensorInfoIT_T1_EESF_NSC_IKS6_SE_EElS8_S8_SE_T6_.private_seg_size, 0
	.set _ZN2at4cuda17kernelHistogram1DIfflLi1ELi2ELin1ELNS0_23CUDAHistogramMemoryTypeE1EZNS0_21CUDA_tensor_histogramIffLb0EEEbNS_6TensorES4_S4_lNS_14AccumulateTypeIT0_Lb1EE4typeES8_NS0_13TensorArgTypeES9_S9_EUllE0_EEvNS0_6detail10TensorInfoIT_T1_EESF_NSC_IKS6_SE_EElS8_S8_SE_T6_.uses_vcc, 1
	.set _ZN2at4cuda17kernelHistogram1DIfflLi1ELi2ELin1ELNS0_23CUDAHistogramMemoryTypeE1EZNS0_21CUDA_tensor_histogramIffLb0EEEbNS_6TensorES4_S4_lNS_14AccumulateTypeIT0_Lb1EE4typeES8_NS0_13TensorArgTypeES9_S9_EUllE0_EEvNS0_6detail10TensorInfoIT_T1_EESF_NSC_IKS6_SE_EElS8_S8_SE_T6_.uses_flat_scratch, 0
	.set _ZN2at4cuda17kernelHistogram1DIfflLi1ELi2ELin1ELNS0_23CUDAHistogramMemoryTypeE1EZNS0_21CUDA_tensor_histogramIffLb0EEEbNS_6TensorES4_S4_lNS_14AccumulateTypeIT0_Lb1EE4typeES8_NS0_13TensorArgTypeES9_S9_EUllE0_EEvNS0_6detail10TensorInfoIT_T1_EESF_NSC_IKS6_SE_EElS8_S8_SE_T6_.has_dyn_sized_stack, 0
	.set _ZN2at4cuda17kernelHistogram1DIfflLi1ELi2ELin1ELNS0_23CUDAHistogramMemoryTypeE1EZNS0_21CUDA_tensor_histogramIffLb0EEEbNS_6TensorES4_S4_lNS_14AccumulateTypeIT0_Lb1EE4typeES8_NS0_13TensorArgTypeES9_S9_EUllE0_EEvNS0_6detail10TensorInfoIT_T1_EESF_NSC_IKS6_SE_EElS8_S8_SE_T6_.has_recursion, 0
	.set _ZN2at4cuda17kernelHistogram1DIfflLi1ELi2ELin1ELNS0_23CUDAHistogramMemoryTypeE1EZNS0_21CUDA_tensor_histogramIffLb0EEEbNS_6TensorES4_S4_lNS_14AccumulateTypeIT0_Lb1EE4typeES8_NS0_13TensorArgTypeES9_S9_EUllE0_EEvNS0_6detail10TensorInfoIT_T1_EESF_NSC_IKS6_SE_EElS8_S8_SE_T6_.has_indirect_call, 0
	.section	.AMDGPU.csdata,"",@progbits
; Kernel info:
; codeLenInByte = 1528
; TotalNumSgprs: 47
; NumVgprs: 20
; ScratchSize: 0
; MemoryBound: 0
; FloatMode: 240
; IeeeMode: 1
; LDSByteSize: 0 bytes/workgroup (compile time only)
; SGPRBlocks: 5
; VGPRBlocks: 4
; NumSGPRsForWavesPerEU: 47
; NumVGPRsForWavesPerEU: 20
; Occupancy: 10
; WaveLimiterHint : 1
; COMPUTE_PGM_RSRC2:SCRATCH_EN: 0
; COMPUTE_PGM_RSRC2:USER_SGPR: 6
; COMPUTE_PGM_RSRC2:TRAP_HANDLER: 0
; COMPUTE_PGM_RSRC2:TGID_X_EN: 1
; COMPUTE_PGM_RSRC2:TGID_Y_EN: 0
; COMPUTE_PGM_RSRC2:TGID_Z_EN: 0
; COMPUTE_PGM_RSRC2:TIDIG_COMP_CNT: 0
	.section	.AMDGPU.gpr_maximums,"",@progbits
	.set amdgpu.max_num_vgpr, 0
	.set amdgpu.max_num_agpr, 0
	.set amdgpu.max_num_sgpr, 0
	.section	.AMDGPU.csdata,"",@progbits
	.type	__hip_cuid_92fb3062caf85410,@object ; @__hip_cuid_92fb3062caf85410
	.section	.bss,"aw",@nobits
	.globl	__hip_cuid_92fb3062caf85410
__hip_cuid_92fb3062caf85410:
	.byte	0                               ; 0x0
	.size	__hip_cuid_92fb3062caf85410, 1

	.ident	"AMD clang version 22.0.0git (https://github.com/RadeonOpenCompute/llvm-project roc-7.2.4 26084 f58b06dce1f9c15707c5f808fd002e18c2accf7e)"
	.section	".note.GNU-stack","",@progbits
	.addrsig
	.addrsig_sym _ZN2at4cuda7my_smemE
	.addrsig_sym __hip_cuid_92fb3062caf85410
	.amdgpu_metadata
---
amdhsa.kernels:
  - .args:
      - .offset:         0
        .size:           416
        .value_kind:     by_value
      - .offset:         416
        .size:           416
        .value_kind:     by_value
      - .offset:         832
        .size:           416
        .value_kind:     by_value
      - .offset:         1248
        .size:           8
        .value_kind:     by_value
      - .offset:         1256
        .size:           8
        .value_kind:     by_value
      - .offset:         1264
        .size:           8
        .value_kind:     by_value
      - .offset:         1272
        .size:           8
        .value_kind:     by_value
      - .offset:         1280
        .size:           416
        .value_kind:     by_value
      - .offset:         1696
        .size:           4
        .value_kind:     hidden_block_count_x
      - .offset:         1700
        .size:           4
        .value_kind:     hidden_block_count_y
      - .offset:         1704
        .size:           4
        .value_kind:     hidden_block_count_z
      - .offset:         1708
        .size:           2
        .value_kind:     hidden_group_size_x
      - .offset:         1710
        .size:           2
        .value_kind:     hidden_group_size_y
      - .offset:         1712
        .size:           2
        .value_kind:     hidden_group_size_z
      - .offset:         1714
        .size:           2
        .value_kind:     hidden_remainder_x
      - .offset:         1716
        .size:           2
        .value_kind:     hidden_remainder_y
      - .offset:         1718
        .size:           2
        .value_kind:     hidden_remainder_z
      - .offset:         1736
        .size:           8
        .value_kind:     hidden_global_offset_x
      - .offset:         1744
        .size:           8
        .value_kind:     hidden_global_offset_y
      - .offset:         1752
        .size:           8
        .value_kind:     hidden_global_offset_z
      - .offset:         1760
        .size:           2
        .value_kind:     hidden_grid_dims
      - .offset:         1816
        .size:           4
        .value_kind:     hidden_dynamic_lds_size
    .group_segment_fixed_size: 0
    .kernarg_segment_align: 8
    .kernarg_segment_size: 1952
    .language:       OpenCL C
    .language_version:
      - 2
      - 0
    .max_flat_workgroup_size: 512
    .name:           _ZN2at4cuda17kernelHistogram1DIfhlLi1ELi2ELin1ELNS0_23CUDAHistogramMemoryTypeE0EZNS0_21CUDA_tensor_histogramIfhLb1EEEbNS_6TensorES4_S4_lNS_14AccumulateTypeIT0_Lb1EE4typeES8_NS0_13TensorArgTypeES9_S9_EUllE_EEvNS0_6detail10TensorInfoIT_T1_EESF_NSC_IKS6_SE_EElS8_S8_SE_T6_
    .private_segment_fixed_size: 0
    .sgpr_count:     61
    .sgpr_spill_count: 0
    .symbol:         _ZN2at4cuda17kernelHistogram1DIfhlLi1ELi2ELin1ELNS0_23CUDAHistogramMemoryTypeE0EZNS0_21CUDA_tensor_histogramIfhLb1EEEbNS_6TensorES4_S4_lNS_14AccumulateTypeIT0_Lb1EE4typeES8_NS0_13TensorArgTypeES9_S9_EUllE_EEvNS0_6detail10TensorInfoIT_T1_EESF_NSC_IKS6_SE_EElS8_S8_SE_T6_.kd
    .uniform_work_group_size: 1
    .uses_dynamic_stack: false
    .vgpr_count:     22
    .vgpr_spill_count: 0
    .wavefront_size: 64
  - .args:
      - .offset:         0
        .size:           416
        .value_kind:     by_value
      - .offset:         416
        .size:           416
        .value_kind:     by_value
      - .offset:         832
        .size:           416
        .value_kind:     by_value
      - .offset:         1248
        .size:           8
        .value_kind:     by_value
      - .offset:         1256
        .size:           8
        .value_kind:     by_value
      - .offset:         1264
        .size:           8
        .value_kind:     by_value
      - .offset:         1272
        .size:           8
        .value_kind:     by_value
      - .offset:         1280
        .size:           416
        .value_kind:     by_value
      - .offset:         1696
        .size:           4
        .value_kind:     hidden_block_count_x
      - .offset:         1700
        .size:           4
        .value_kind:     hidden_block_count_y
      - .offset:         1704
        .size:           4
        .value_kind:     hidden_block_count_z
      - .offset:         1708
        .size:           2
        .value_kind:     hidden_group_size_x
      - .offset:         1710
        .size:           2
        .value_kind:     hidden_group_size_y
      - .offset:         1712
        .size:           2
        .value_kind:     hidden_group_size_z
      - .offset:         1714
        .size:           2
        .value_kind:     hidden_remainder_x
      - .offset:         1716
        .size:           2
        .value_kind:     hidden_remainder_y
      - .offset:         1718
        .size:           2
        .value_kind:     hidden_remainder_z
      - .offset:         1736
        .size:           8
        .value_kind:     hidden_global_offset_x
      - .offset:         1744
        .size:           8
        .value_kind:     hidden_global_offset_y
      - .offset:         1752
        .size:           8
        .value_kind:     hidden_global_offset_z
      - .offset:         1760
        .size:           2
        .value_kind:     hidden_grid_dims
    .group_segment_fixed_size: 0
    .kernarg_segment_align: 8
    .kernarg_segment_size: 1952
    .language:       OpenCL C
    .language_version:
      - 2
      - 0
    .max_flat_workgroup_size: 512
    .name:           _ZN2at4cuda17kernelHistogram1DIfhlLi1ELi2ELin1ELNS0_23CUDAHistogramMemoryTypeE1EZNS0_21CUDA_tensor_histogramIfhLb1EEEbNS_6TensorES4_S4_lNS_14AccumulateTypeIT0_Lb1EE4typeES8_NS0_13TensorArgTypeES9_S9_EUllE_EEvNS0_6detail10TensorInfoIT_T1_EESF_NSC_IKS6_SE_EElS8_S8_SE_T6_
    .private_segment_fixed_size: 0
    .sgpr_count:     56
    .sgpr_spill_count: 0
    .symbol:         _ZN2at4cuda17kernelHistogram1DIfhlLi1ELi2ELin1ELNS0_23CUDAHistogramMemoryTypeE1EZNS0_21CUDA_tensor_histogramIfhLb1EEEbNS_6TensorES4_S4_lNS_14AccumulateTypeIT0_Lb1EE4typeES8_NS0_13TensorArgTypeES9_S9_EUllE_EEvNS0_6detail10TensorInfoIT_T1_EESF_NSC_IKS6_SE_EElS8_S8_SE_T6_.kd
    .uniform_work_group_size: 1
    .uses_dynamic_stack: false
    .vgpr_count:     18
    .vgpr_spill_count: 0
    .wavefront_size: 64
  - .args:
      - .offset:         0
        .size:           416
        .value_kind:     by_value
      - .offset:         416
        .size:           416
        .value_kind:     by_value
      - .offset:         832
        .size:           416
        .value_kind:     by_value
      - .offset:         1248
        .size:           8
        .value_kind:     by_value
      - .offset:         1256
        .size:           8
        .value_kind:     by_value
      - .offset:         1264
        .size:           8
        .value_kind:     by_value
      - .offset:         1272
        .size:           8
        .value_kind:     by_value
      - .offset:         1280
        .size:           1
        .value_kind:     by_value
      - .offset:         1288
        .size:           4
        .value_kind:     hidden_block_count_x
      - .offset:         1292
        .size:           4
        .value_kind:     hidden_block_count_y
      - .offset:         1296
        .size:           4
        .value_kind:     hidden_block_count_z
      - .offset:         1300
        .size:           2
        .value_kind:     hidden_group_size_x
      - .offset:         1302
        .size:           2
        .value_kind:     hidden_group_size_y
      - .offset:         1304
        .size:           2
        .value_kind:     hidden_group_size_z
      - .offset:         1306
        .size:           2
        .value_kind:     hidden_remainder_x
      - .offset:         1308
        .size:           2
        .value_kind:     hidden_remainder_y
      - .offset:         1310
        .size:           2
        .value_kind:     hidden_remainder_z
      - .offset:         1328
        .size:           8
        .value_kind:     hidden_global_offset_x
      - .offset:         1336
        .size:           8
        .value_kind:     hidden_global_offset_y
      - .offset:         1344
        .size:           8
        .value_kind:     hidden_global_offset_z
      - .offset:         1352
        .size:           2
        .value_kind:     hidden_grid_dims
      - .offset:         1408
        .size:           4
        .value_kind:     hidden_dynamic_lds_size
    .group_segment_fixed_size: 0
    .kernarg_segment_align: 8
    .kernarg_segment_size: 1544
    .language:       OpenCL C
    .language_version:
      - 2
      - 0
    .max_flat_workgroup_size: 512
    .name:           _ZN2at4cuda17kernelHistogram1DIfhlLi1ELi2ELin1ELNS0_23CUDAHistogramMemoryTypeE0EZNS0_21CUDA_tensor_histogramIfhLb1EEEbNS_6TensorES4_S4_lNS_14AccumulateTypeIT0_Lb1EE4typeES8_NS0_13TensorArgTypeES9_S9_EUllE0_EEvNS0_6detail10TensorInfoIT_T1_EESF_NSC_IKS6_SE_EElS8_S8_SE_T6_
    .private_segment_fixed_size: 0
    .sgpr_count:     57
    .sgpr_spill_count: 0
    .symbol:         _ZN2at4cuda17kernelHistogram1DIfhlLi1ELi2ELin1ELNS0_23CUDAHistogramMemoryTypeE0EZNS0_21CUDA_tensor_histogramIfhLb1EEEbNS_6TensorES4_S4_lNS_14AccumulateTypeIT0_Lb1EE4typeES8_NS0_13TensorArgTypeES9_S9_EUllE0_EEvNS0_6detail10TensorInfoIT_T1_EESF_NSC_IKS6_SE_EElS8_S8_SE_T6_.kd
    .uniform_work_group_size: 1
    .uses_dynamic_stack: false
    .vgpr_count:     23
    .vgpr_spill_count: 0
    .wavefront_size: 64
  - .args:
      - .offset:         0
        .size:           416
        .value_kind:     by_value
      - .offset:         416
        .size:           416
        .value_kind:     by_value
      - .offset:         832
        .size:           416
        .value_kind:     by_value
      - .offset:         1248
        .size:           8
        .value_kind:     by_value
      - .offset:         1256
        .size:           8
        .value_kind:     by_value
      - .offset:         1264
        .size:           8
        .value_kind:     by_value
      - .offset:         1272
        .size:           8
        .value_kind:     by_value
      - .offset:         1280
        .size:           1
        .value_kind:     by_value
      - .offset:         1288
        .size:           4
        .value_kind:     hidden_block_count_x
      - .offset:         1292
        .size:           4
        .value_kind:     hidden_block_count_y
      - .offset:         1296
        .size:           4
        .value_kind:     hidden_block_count_z
      - .offset:         1300
        .size:           2
        .value_kind:     hidden_group_size_x
      - .offset:         1302
        .size:           2
        .value_kind:     hidden_group_size_y
      - .offset:         1304
        .size:           2
        .value_kind:     hidden_group_size_z
      - .offset:         1306
        .size:           2
        .value_kind:     hidden_remainder_x
      - .offset:         1308
        .size:           2
        .value_kind:     hidden_remainder_y
      - .offset:         1310
        .size:           2
        .value_kind:     hidden_remainder_z
      - .offset:         1328
        .size:           8
        .value_kind:     hidden_global_offset_x
      - .offset:         1336
        .size:           8
        .value_kind:     hidden_global_offset_y
      - .offset:         1344
        .size:           8
        .value_kind:     hidden_global_offset_z
      - .offset:         1352
        .size:           2
        .value_kind:     hidden_grid_dims
    .group_segment_fixed_size: 0
    .kernarg_segment_align: 8
    .kernarg_segment_size: 1544
    .language:       OpenCL C
    .language_version:
      - 2
      - 0
    .max_flat_workgroup_size: 512
    .name:           _ZN2at4cuda17kernelHistogram1DIfhlLi1ELi2ELin1ELNS0_23CUDAHistogramMemoryTypeE1EZNS0_21CUDA_tensor_histogramIfhLb1EEEbNS_6TensorES4_S4_lNS_14AccumulateTypeIT0_Lb1EE4typeES8_NS0_13TensorArgTypeES9_S9_EUllE0_EEvNS0_6detail10TensorInfoIT_T1_EESF_NSC_IKS6_SE_EElS8_S8_SE_T6_
    .private_segment_fixed_size: 0
    .sgpr_count:     52
    .sgpr_spill_count: 0
    .symbol:         _ZN2at4cuda17kernelHistogram1DIfhlLi1ELi2ELin1ELNS0_23CUDAHistogramMemoryTypeE1EZNS0_21CUDA_tensor_histogramIfhLb1EEEbNS_6TensorES4_S4_lNS_14AccumulateTypeIT0_Lb1EE4typeES8_NS0_13TensorArgTypeES9_S9_EUllE0_EEvNS0_6detail10TensorInfoIT_T1_EESF_NSC_IKS6_SE_EElS8_S8_SE_T6_.kd
    .uniform_work_group_size: 1
    .uses_dynamic_stack: false
    .vgpr_count:     18
    .vgpr_spill_count: 0
    .wavefront_size: 64
  - .args:
      - .offset:         0
        .size:           416
        .value_kind:     by_value
      - .offset:         416
        .size:           416
        .value_kind:     by_value
      - .offset:         832
        .size:           416
        .value_kind:     by_value
      - .offset:         1248
        .size:           8
        .value_kind:     by_value
      - .offset:         1256
        .size:           8
        .value_kind:     by_value
      - .offset:         1264
        .size:           8
        .value_kind:     by_value
      - .offset:         1272
        .size:           8
        .value_kind:     by_value
      - .offset:         1280
        .size:           416
        .value_kind:     by_value
      - .offset:         1696
        .size:           4
        .value_kind:     hidden_block_count_x
      - .offset:         1700
        .size:           4
        .value_kind:     hidden_block_count_y
      - .offset:         1704
        .size:           4
        .value_kind:     hidden_block_count_z
      - .offset:         1708
        .size:           2
        .value_kind:     hidden_group_size_x
      - .offset:         1710
        .size:           2
        .value_kind:     hidden_group_size_y
      - .offset:         1712
        .size:           2
        .value_kind:     hidden_group_size_z
      - .offset:         1714
        .size:           2
        .value_kind:     hidden_remainder_x
      - .offset:         1716
        .size:           2
        .value_kind:     hidden_remainder_y
      - .offset:         1718
        .size:           2
        .value_kind:     hidden_remainder_z
      - .offset:         1736
        .size:           8
        .value_kind:     hidden_global_offset_x
      - .offset:         1744
        .size:           8
        .value_kind:     hidden_global_offset_y
      - .offset:         1752
        .size:           8
        .value_kind:     hidden_global_offset_z
      - .offset:         1760
        .size:           2
        .value_kind:     hidden_grid_dims
      - .offset:         1816
        .size:           4
        .value_kind:     hidden_dynamic_lds_size
    .group_segment_fixed_size: 0
    .kernarg_segment_align: 8
    .kernarg_segment_size: 1952
    .language:       OpenCL C
    .language_version:
      - 2
      - 0
    .max_flat_workgroup_size: 512
    .name:           _ZN2at4cuda17kernelHistogram1DIlhlLi1ELi2ELin1ELNS0_23CUDAHistogramMemoryTypeE0EZNS0_21CUDA_tensor_histogramIlhLb0EEEbNS_6TensorES4_S4_lNS_14AccumulateTypeIT0_Lb1EE4typeES8_NS0_13TensorArgTypeES9_S9_EUllE_EEvNS0_6detail10TensorInfoIT_T1_EESF_NSC_IKS6_SE_EElS8_S8_SE_T6_
    .private_segment_fixed_size: 0
    .sgpr_count:     61
    .sgpr_spill_count: 0
    .symbol:         _ZN2at4cuda17kernelHistogram1DIlhlLi1ELi2ELin1ELNS0_23CUDAHistogramMemoryTypeE0EZNS0_21CUDA_tensor_histogramIlhLb0EEEbNS_6TensorES4_S4_lNS_14AccumulateTypeIT0_Lb1EE4typeES8_NS0_13TensorArgTypeES9_S9_EUllE_EEvNS0_6detail10TensorInfoIT_T1_EESF_NSC_IKS6_SE_EElS8_S8_SE_T6_.kd
    .uniform_work_group_size: 1
    .uses_dynamic_stack: false
    .vgpr_count:     24
    .vgpr_spill_count: 0
    .wavefront_size: 64
  - .args:
      - .offset:         0
        .size:           416
        .value_kind:     by_value
      - .offset:         416
        .size:           416
        .value_kind:     by_value
      - .offset:         832
        .size:           416
        .value_kind:     by_value
      - .offset:         1248
        .size:           8
        .value_kind:     by_value
      - .offset:         1256
        .size:           8
        .value_kind:     by_value
      - .offset:         1264
        .size:           8
        .value_kind:     by_value
      - .offset:         1272
        .size:           8
        .value_kind:     by_value
      - .offset:         1280
        .size:           416
        .value_kind:     by_value
      - .offset:         1696
        .size:           4
        .value_kind:     hidden_block_count_x
      - .offset:         1700
        .size:           4
        .value_kind:     hidden_block_count_y
      - .offset:         1704
        .size:           4
        .value_kind:     hidden_block_count_z
      - .offset:         1708
        .size:           2
        .value_kind:     hidden_group_size_x
      - .offset:         1710
        .size:           2
        .value_kind:     hidden_group_size_y
      - .offset:         1712
        .size:           2
        .value_kind:     hidden_group_size_z
      - .offset:         1714
        .size:           2
        .value_kind:     hidden_remainder_x
      - .offset:         1716
        .size:           2
        .value_kind:     hidden_remainder_y
      - .offset:         1718
        .size:           2
        .value_kind:     hidden_remainder_z
      - .offset:         1736
        .size:           8
        .value_kind:     hidden_global_offset_x
      - .offset:         1744
        .size:           8
        .value_kind:     hidden_global_offset_y
      - .offset:         1752
        .size:           8
        .value_kind:     hidden_global_offset_z
      - .offset:         1760
        .size:           2
        .value_kind:     hidden_grid_dims
    .group_segment_fixed_size: 0
    .kernarg_segment_align: 8
    .kernarg_segment_size: 1952
    .language:       OpenCL C
    .language_version:
      - 2
      - 0
    .max_flat_workgroup_size: 512
    .name:           _ZN2at4cuda17kernelHistogram1DIlhlLi1ELi2ELin1ELNS0_23CUDAHistogramMemoryTypeE1EZNS0_21CUDA_tensor_histogramIlhLb0EEEbNS_6TensorES4_S4_lNS_14AccumulateTypeIT0_Lb1EE4typeES8_NS0_13TensorArgTypeES9_S9_EUllE_EEvNS0_6detail10TensorInfoIT_T1_EESF_NSC_IKS6_SE_EElS8_S8_SE_T6_
    .private_segment_fixed_size: 0
    .sgpr_count:     56
    .sgpr_spill_count: 0
    .symbol:         _ZN2at4cuda17kernelHistogram1DIlhlLi1ELi2ELin1ELNS0_23CUDAHistogramMemoryTypeE1EZNS0_21CUDA_tensor_histogramIlhLb0EEEbNS_6TensorES4_S4_lNS_14AccumulateTypeIT0_Lb1EE4typeES8_NS0_13TensorArgTypeES9_S9_EUllE_EEvNS0_6detail10TensorInfoIT_T1_EESF_NSC_IKS6_SE_EElS8_S8_SE_T6_.kd
    .uniform_work_group_size: 1
    .uses_dynamic_stack: false
    .vgpr_count:     18
    .vgpr_spill_count: 0
    .wavefront_size: 64
  - .args:
      - .offset:         0
        .size:           416
        .value_kind:     by_value
      - .offset:         416
        .size:           416
        .value_kind:     by_value
      - .offset:         832
        .size:           416
        .value_kind:     by_value
      - .offset:         1248
        .size:           8
        .value_kind:     by_value
      - .offset:         1256
        .size:           8
        .value_kind:     by_value
      - .offset:         1264
        .size:           8
        .value_kind:     by_value
      - .offset:         1272
        .size:           8
        .value_kind:     by_value
      - .offset:         1280
        .size:           1
        .value_kind:     by_value
      - .offset:         1288
        .size:           4
        .value_kind:     hidden_block_count_x
      - .offset:         1292
        .size:           4
        .value_kind:     hidden_block_count_y
      - .offset:         1296
        .size:           4
        .value_kind:     hidden_block_count_z
      - .offset:         1300
        .size:           2
        .value_kind:     hidden_group_size_x
      - .offset:         1302
        .size:           2
        .value_kind:     hidden_group_size_y
      - .offset:         1304
        .size:           2
        .value_kind:     hidden_group_size_z
      - .offset:         1306
        .size:           2
        .value_kind:     hidden_remainder_x
      - .offset:         1308
        .size:           2
        .value_kind:     hidden_remainder_y
      - .offset:         1310
        .size:           2
        .value_kind:     hidden_remainder_z
      - .offset:         1328
        .size:           8
        .value_kind:     hidden_global_offset_x
      - .offset:         1336
        .size:           8
        .value_kind:     hidden_global_offset_y
      - .offset:         1344
        .size:           8
        .value_kind:     hidden_global_offset_z
      - .offset:         1352
        .size:           2
        .value_kind:     hidden_grid_dims
      - .offset:         1408
        .size:           4
        .value_kind:     hidden_dynamic_lds_size
    .group_segment_fixed_size: 0
    .kernarg_segment_align: 8
    .kernarg_segment_size: 1544
    .language:       OpenCL C
    .language_version:
      - 2
      - 0
    .max_flat_workgroup_size: 512
    .name:           _ZN2at4cuda17kernelHistogram1DIlhlLi1ELi2ELin1ELNS0_23CUDAHistogramMemoryTypeE0EZNS0_21CUDA_tensor_histogramIlhLb0EEEbNS_6TensorES4_S4_lNS_14AccumulateTypeIT0_Lb1EE4typeES8_NS0_13TensorArgTypeES9_S9_EUllE0_EEvNS0_6detail10TensorInfoIT_T1_EESF_NSC_IKS6_SE_EElS8_S8_SE_T6_
    .private_segment_fixed_size: 0
    .sgpr_count:     57
    .sgpr_spill_count: 0
    .symbol:         _ZN2at4cuda17kernelHistogram1DIlhlLi1ELi2ELin1ELNS0_23CUDAHistogramMemoryTypeE0EZNS0_21CUDA_tensor_histogramIlhLb0EEEbNS_6TensorES4_S4_lNS_14AccumulateTypeIT0_Lb1EE4typeES8_NS0_13TensorArgTypeES9_S9_EUllE0_EEvNS0_6detail10TensorInfoIT_T1_EESF_NSC_IKS6_SE_EElS8_S8_SE_T6_.kd
    .uniform_work_group_size: 1
    .uses_dynamic_stack: false
    .vgpr_count:     24
    .vgpr_spill_count: 0
    .wavefront_size: 64
  - .args:
      - .offset:         0
        .size:           416
        .value_kind:     by_value
      - .offset:         416
        .size:           416
        .value_kind:     by_value
      - .offset:         832
        .size:           416
        .value_kind:     by_value
      - .offset:         1248
        .size:           8
        .value_kind:     by_value
      - .offset:         1256
        .size:           8
        .value_kind:     by_value
      - .offset:         1264
        .size:           8
        .value_kind:     by_value
      - .offset:         1272
        .size:           8
        .value_kind:     by_value
      - .offset:         1280
        .size:           1
        .value_kind:     by_value
      - .offset:         1288
        .size:           4
        .value_kind:     hidden_block_count_x
      - .offset:         1292
        .size:           4
        .value_kind:     hidden_block_count_y
      - .offset:         1296
        .size:           4
        .value_kind:     hidden_block_count_z
      - .offset:         1300
        .size:           2
        .value_kind:     hidden_group_size_x
      - .offset:         1302
        .size:           2
        .value_kind:     hidden_group_size_y
      - .offset:         1304
        .size:           2
        .value_kind:     hidden_group_size_z
      - .offset:         1306
        .size:           2
        .value_kind:     hidden_remainder_x
      - .offset:         1308
        .size:           2
        .value_kind:     hidden_remainder_y
      - .offset:         1310
        .size:           2
        .value_kind:     hidden_remainder_z
      - .offset:         1328
        .size:           8
        .value_kind:     hidden_global_offset_x
      - .offset:         1336
        .size:           8
        .value_kind:     hidden_global_offset_y
      - .offset:         1344
        .size:           8
        .value_kind:     hidden_global_offset_z
      - .offset:         1352
        .size:           2
        .value_kind:     hidden_grid_dims
    .group_segment_fixed_size: 0
    .kernarg_segment_align: 8
    .kernarg_segment_size: 1544
    .language:       OpenCL C
    .language_version:
      - 2
      - 0
    .max_flat_workgroup_size: 512
    .name:           _ZN2at4cuda17kernelHistogram1DIlhlLi1ELi2ELin1ELNS0_23CUDAHistogramMemoryTypeE1EZNS0_21CUDA_tensor_histogramIlhLb0EEEbNS_6TensorES4_S4_lNS_14AccumulateTypeIT0_Lb1EE4typeES8_NS0_13TensorArgTypeES9_S9_EUllE0_EEvNS0_6detail10TensorInfoIT_T1_EESF_NSC_IKS6_SE_EElS8_S8_SE_T6_
    .private_segment_fixed_size: 0
    .sgpr_count:     52
    .sgpr_spill_count: 0
    .symbol:         _ZN2at4cuda17kernelHistogram1DIlhlLi1ELi2ELin1ELNS0_23CUDAHistogramMemoryTypeE1EZNS0_21CUDA_tensor_histogramIlhLb0EEEbNS_6TensorES4_S4_lNS_14AccumulateTypeIT0_Lb1EE4typeES8_NS0_13TensorArgTypeES9_S9_EUllE0_EEvNS0_6detail10TensorInfoIT_T1_EESF_NSC_IKS6_SE_EElS8_S8_SE_T6_.kd
    .uniform_work_group_size: 1
    .uses_dynamic_stack: false
    .vgpr_count:     20
    .vgpr_spill_count: 0
    .wavefront_size: 64
  - .args:
      - .offset:         0
        .size:           416
        .value_kind:     by_value
      - .offset:         416
        .size:           416
        .value_kind:     by_value
      - .offset:         832
        .size:           416
        .value_kind:     by_value
      - .offset:         1248
        .size:           8
        .value_kind:     by_value
      - .offset:         1256
        .size:           8
        .value_kind:     by_value
      - .offset:         1264
        .size:           8
        .value_kind:     by_value
      - .offset:         1272
        .size:           8
        .value_kind:     by_value
      - .offset:         1280
        .size:           416
        .value_kind:     by_value
      - .offset:         1696
        .size:           4
        .value_kind:     hidden_block_count_x
      - .offset:         1700
        .size:           4
        .value_kind:     hidden_block_count_y
      - .offset:         1704
        .size:           4
        .value_kind:     hidden_block_count_z
      - .offset:         1708
        .size:           2
        .value_kind:     hidden_group_size_x
      - .offset:         1710
        .size:           2
        .value_kind:     hidden_group_size_y
      - .offset:         1712
        .size:           2
        .value_kind:     hidden_group_size_z
      - .offset:         1714
        .size:           2
        .value_kind:     hidden_remainder_x
      - .offset:         1716
        .size:           2
        .value_kind:     hidden_remainder_y
      - .offset:         1718
        .size:           2
        .value_kind:     hidden_remainder_z
      - .offset:         1736
        .size:           8
        .value_kind:     hidden_global_offset_x
      - .offset:         1744
        .size:           8
        .value_kind:     hidden_global_offset_y
      - .offset:         1752
        .size:           8
        .value_kind:     hidden_global_offset_z
      - .offset:         1760
        .size:           2
        .value_kind:     hidden_grid_dims
      - .offset:         1816
        .size:           4
        .value_kind:     hidden_dynamic_lds_size
    .group_segment_fixed_size: 0
    .kernarg_segment_align: 8
    .kernarg_segment_size: 1952
    .language:       OpenCL C
    .language_version:
      - 2
      - 0
    .max_flat_workgroup_size: 512
    .name:           _ZN2at4cuda17kernelHistogram1DIdhlLi1ELi2ELin1ELNS0_23CUDAHistogramMemoryTypeE0EZNS0_21CUDA_tensor_histogramIdhLb1EEEbNS_6TensorES4_S4_lNS_14AccumulateTypeIT0_Lb1EE4typeES8_NS0_13TensorArgTypeES9_S9_EUllE_EEvNS0_6detail10TensorInfoIT_T1_EESF_NSC_IKS6_SE_EElS8_S8_SE_T6_
    .private_segment_fixed_size: 0
    .sgpr_count:     61
    .sgpr_spill_count: 0
    .symbol:         _ZN2at4cuda17kernelHistogram1DIdhlLi1ELi2ELin1ELNS0_23CUDAHistogramMemoryTypeE0EZNS0_21CUDA_tensor_histogramIdhLb1EEEbNS_6TensorES4_S4_lNS_14AccumulateTypeIT0_Lb1EE4typeES8_NS0_13TensorArgTypeES9_S9_EUllE_EEvNS0_6detail10TensorInfoIT_T1_EESF_NSC_IKS6_SE_EElS8_S8_SE_T6_.kd
    .uniform_work_group_size: 1
    .uses_dynamic_stack: false
    .vgpr_count:     22
    .vgpr_spill_count: 0
    .wavefront_size: 64
  - .args:
      - .offset:         0
        .size:           416
        .value_kind:     by_value
      - .offset:         416
        .size:           416
        .value_kind:     by_value
      - .offset:         832
        .size:           416
        .value_kind:     by_value
      - .offset:         1248
        .size:           8
        .value_kind:     by_value
      - .offset:         1256
        .size:           8
        .value_kind:     by_value
      - .offset:         1264
        .size:           8
        .value_kind:     by_value
      - .offset:         1272
        .size:           8
        .value_kind:     by_value
      - .offset:         1280
        .size:           416
        .value_kind:     by_value
      - .offset:         1696
        .size:           4
        .value_kind:     hidden_block_count_x
      - .offset:         1700
        .size:           4
        .value_kind:     hidden_block_count_y
      - .offset:         1704
        .size:           4
        .value_kind:     hidden_block_count_z
      - .offset:         1708
        .size:           2
        .value_kind:     hidden_group_size_x
      - .offset:         1710
        .size:           2
        .value_kind:     hidden_group_size_y
      - .offset:         1712
        .size:           2
        .value_kind:     hidden_group_size_z
      - .offset:         1714
        .size:           2
        .value_kind:     hidden_remainder_x
      - .offset:         1716
        .size:           2
        .value_kind:     hidden_remainder_y
      - .offset:         1718
        .size:           2
        .value_kind:     hidden_remainder_z
      - .offset:         1736
        .size:           8
        .value_kind:     hidden_global_offset_x
      - .offset:         1744
        .size:           8
        .value_kind:     hidden_global_offset_y
      - .offset:         1752
        .size:           8
        .value_kind:     hidden_global_offset_z
      - .offset:         1760
        .size:           2
        .value_kind:     hidden_grid_dims
    .group_segment_fixed_size: 0
    .kernarg_segment_align: 8
    .kernarg_segment_size: 1952
    .language:       OpenCL C
    .language_version:
      - 2
      - 0
    .max_flat_workgroup_size: 512
    .name:           _ZN2at4cuda17kernelHistogram1DIdhlLi1ELi2ELin1ELNS0_23CUDAHistogramMemoryTypeE1EZNS0_21CUDA_tensor_histogramIdhLb1EEEbNS_6TensorES4_S4_lNS_14AccumulateTypeIT0_Lb1EE4typeES8_NS0_13TensorArgTypeES9_S9_EUllE_EEvNS0_6detail10TensorInfoIT_T1_EESF_NSC_IKS6_SE_EElS8_S8_SE_T6_
    .private_segment_fixed_size: 0
    .sgpr_count:     56
    .sgpr_spill_count: 0
    .symbol:         _ZN2at4cuda17kernelHistogram1DIdhlLi1ELi2ELin1ELNS0_23CUDAHistogramMemoryTypeE1EZNS0_21CUDA_tensor_histogramIdhLb1EEEbNS_6TensorES4_S4_lNS_14AccumulateTypeIT0_Lb1EE4typeES8_NS0_13TensorArgTypeES9_S9_EUllE_EEvNS0_6detail10TensorInfoIT_T1_EESF_NSC_IKS6_SE_EElS8_S8_SE_T6_.kd
    .uniform_work_group_size: 1
    .uses_dynamic_stack: false
    .vgpr_count:     18
    .vgpr_spill_count: 0
    .wavefront_size: 64
  - .args:
      - .offset:         0
        .size:           416
        .value_kind:     by_value
      - .offset:         416
        .size:           416
        .value_kind:     by_value
      - .offset:         832
        .size:           416
        .value_kind:     by_value
      - .offset:         1248
        .size:           8
        .value_kind:     by_value
      - .offset:         1256
        .size:           8
        .value_kind:     by_value
      - .offset:         1264
        .size:           8
        .value_kind:     by_value
      - .offset:         1272
        .size:           8
        .value_kind:     by_value
      - .offset:         1280
        .size:           1
        .value_kind:     by_value
      - .offset:         1288
        .size:           4
        .value_kind:     hidden_block_count_x
      - .offset:         1292
        .size:           4
        .value_kind:     hidden_block_count_y
      - .offset:         1296
        .size:           4
        .value_kind:     hidden_block_count_z
      - .offset:         1300
        .size:           2
        .value_kind:     hidden_group_size_x
      - .offset:         1302
        .size:           2
        .value_kind:     hidden_group_size_y
      - .offset:         1304
        .size:           2
        .value_kind:     hidden_group_size_z
      - .offset:         1306
        .size:           2
        .value_kind:     hidden_remainder_x
      - .offset:         1308
        .size:           2
        .value_kind:     hidden_remainder_y
      - .offset:         1310
        .size:           2
        .value_kind:     hidden_remainder_z
      - .offset:         1328
        .size:           8
        .value_kind:     hidden_global_offset_x
      - .offset:         1336
        .size:           8
        .value_kind:     hidden_global_offset_y
      - .offset:         1344
        .size:           8
        .value_kind:     hidden_global_offset_z
      - .offset:         1352
        .size:           2
        .value_kind:     hidden_grid_dims
      - .offset:         1408
        .size:           4
        .value_kind:     hidden_dynamic_lds_size
    .group_segment_fixed_size: 0
    .kernarg_segment_align: 8
    .kernarg_segment_size: 1544
    .language:       OpenCL C
    .language_version:
      - 2
      - 0
    .max_flat_workgroup_size: 512
    .name:           _ZN2at4cuda17kernelHistogram1DIdhlLi1ELi2ELin1ELNS0_23CUDAHistogramMemoryTypeE0EZNS0_21CUDA_tensor_histogramIdhLb1EEEbNS_6TensorES4_S4_lNS_14AccumulateTypeIT0_Lb1EE4typeES8_NS0_13TensorArgTypeES9_S9_EUllE0_EEvNS0_6detail10TensorInfoIT_T1_EESF_NSC_IKS6_SE_EElS8_S8_SE_T6_
    .private_segment_fixed_size: 0
    .sgpr_count:     57
    .sgpr_spill_count: 0
    .symbol:         _ZN2at4cuda17kernelHistogram1DIdhlLi1ELi2ELin1ELNS0_23CUDAHistogramMemoryTypeE0EZNS0_21CUDA_tensor_histogramIdhLb1EEEbNS_6TensorES4_S4_lNS_14AccumulateTypeIT0_Lb1EE4typeES8_NS0_13TensorArgTypeES9_S9_EUllE0_EEvNS0_6detail10TensorInfoIT_T1_EESF_NSC_IKS6_SE_EElS8_S8_SE_T6_.kd
    .uniform_work_group_size: 1
    .uses_dynamic_stack: false
    .vgpr_count:     22
    .vgpr_spill_count: 0
    .wavefront_size: 64
  - .args:
      - .offset:         0
        .size:           416
        .value_kind:     by_value
      - .offset:         416
        .size:           416
        .value_kind:     by_value
      - .offset:         832
        .size:           416
        .value_kind:     by_value
      - .offset:         1248
        .size:           8
        .value_kind:     by_value
      - .offset:         1256
        .size:           8
        .value_kind:     by_value
      - .offset:         1264
        .size:           8
        .value_kind:     by_value
      - .offset:         1272
        .size:           8
        .value_kind:     by_value
      - .offset:         1280
        .size:           1
        .value_kind:     by_value
      - .offset:         1288
        .size:           4
        .value_kind:     hidden_block_count_x
      - .offset:         1292
        .size:           4
        .value_kind:     hidden_block_count_y
      - .offset:         1296
        .size:           4
        .value_kind:     hidden_block_count_z
      - .offset:         1300
        .size:           2
        .value_kind:     hidden_group_size_x
      - .offset:         1302
        .size:           2
        .value_kind:     hidden_group_size_y
      - .offset:         1304
        .size:           2
        .value_kind:     hidden_group_size_z
      - .offset:         1306
        .size:           2
        .value_kind:     hidden_remainder_x
      - .offset:         1308
        .size:           2
        .value_kind:     hidden_remainder_y
      - .offset:         1310
        .size:           2
        .value_kind:     hidden_remainder_z
      - .offset:         1328
        .size:           8
        .value_kind:     hidden_global_offset_x
      - .offset:         1336
        .size:           8
        .value_kind:     hidden_global_offset_y
      - .offset:         1344
        .size:           8
        .value_kind:     hidden_global_offset_z
      - .offset:         1352
        .size:           2
        .value_kind:     hidden_grid_dims
    .group_segment_fixed_size: 0
    .kernarg_segment_align: 8
    .kernarg_segment_size: 1544
    .language:       OpenCL C
    .language_version:
      - 2
      - 0
    .max_flat_workgroup_size: 512
    .name:           _ZN2at4cuda17kernelHistogram1DIdhlLi1ELi2ELin1ELNS0_23CUDAHistogramMemoryTypeE1EZNS0_21CUDA_tensor_histogramIdhLb1EEEbNS_6TensorES4_S4_lNS_14AccumulateTypeIT0_Lb1EE4typeES8_NS0_13TensorArgTypeES9_S9_EUllE0_EEvNS0_6detail10TensorInfoIT_T1_EESF_NSC_IKS6_SE_EElS8_S8_SE_T6_
    .private_segment_fixed_size: 0
    .sgpr_count:     52
    .sgpr_spill_count: 0
    .symbol:         _ZN2at4cuda17kernelHistogram1DIdhlLi1ELi2ELin1ELNS0_23CUDAHistogramMemoryTypeE1EZNS0_21CUDA_tensor_histogramIdhLb1EEEbNS_6TensorES4_S4_lNS_14AccumulateTypeIT0_Lb1EE4typeES8_NS0_13TensorArgTypeES9_S9_EUllE0_EEvNS0_6detail10TensorInfoIT_T1_EESF_NSC_IKS6_SE_EElS8_S8_SE_T6_.kd
    .uniform_work_group_size: 1
    .uses_dynamic_stack: false
    .vgpr_count:     18
    .vgpr_spill_count: 0
    .wavefront_size: 64
  - .args:
      - .offset:         0
        .size:           416
        .value_kind:     by_value
      - .offset:         416
        .size:           416
        .value_kind:     by_value
      - .offset:         832
        .size:           416
        .value_kind:     by_value
      - .offset:         1248
        .size:           8
        .value_kind:     by_value
      - .offset:         1256
        .size:           8
        .value_kind:     by_value
      - .offset:         1264
        .size:           8
        .value_kind:     by_value
      - .offset:         1272
        .size:           8
        .value_kind:     by_value
      - .offset:         1280
        .size:           416
        .value_kind:     by_value
      - .offset:         1696
        .size:           4
        .value_kind:     hidden_block_count_x
      - .offset:         1700
        .size:           4
        .value_kind:     hidden_block_count_y
      - .offset:         1704
        .size:           4
        .value_kind:     hidden_block_count_z
      - .offset:         1708
        .size:           2
        .value_kind:     hidden_group_size_x
      - .offset:         1710
        .size:           2
        .value_kind:     hidden_group_size_y
      - .offset:         1712
        .size:           2
        .value_kind:     hidden_group_size_z
      - .offset:         1714
        .size:           2
        .value_kind:     hidden_remainder_x
      - .offset:         1716
        .size:           2
        .value_kind:     hidden_remainder_y
      - .offset:         1718
        .size:           2
        .value_kind:     hidden_remainder_z
      - .offset:         1736
        .size:           8
        .value_kind:     hidden_global_offset_x
      - .offset:         1744
        .size:           8
        .value_kind:     hidden_global_offset_y
      - .offset:         1752
        .size:           8
        .value_kind:     hidden_global_offset_z
      - .offset:         1760
        .size:           2
        .value_kind:     hidden_grid_dims
      - .offset:         1816
        .size:           4
        .value_kind:     hidden_dynamic_lds_size
    .group_segment_fixed_size: 0
    .kernarg_segment_align: 8
    .kernarg_segment_size: 1952
    .language:       OpenCL C
    .language_version:
      - 2
      - 0
    .max_flat_workgroup_size: 512
    .name:           _ZN2at4cuda17kernelHistogram1DIfalLi1ELi2ELin1ELNS0_23CUDAHistogramMemoryTypeE0EZNS0_21CUDA_tensor_histogramIfaLb1EEEbNS_6TensorES4_S4_lNS_14AccumulateTypeIT0_Lb1EE4typeES8_NS0_13TensorArgTypeES9_S9_EUllE_EEvNS0_6detail10TensorInfoIT_T1_EESF_NSC_IKS6_SE_EElS8_S8_SE_T6_
    .private_segment_fixed_size: 0
    .sgpr_count:     60
    .sgpr_spill_count: 0
    .symbol:         _ZN2at4cuda17kernelHistogram1DIfalLi1ELi2ELin1ELNS0_23CUDAHistogramMemoryTypeE0EZNS0_21CUDA_tensor_histogramIfaLb1EEEbNS_6TensorES4_S4_lNS_14AccumulateTypeIT0_Lb1EE4typeES8_NS0_13TensorArgTypeES9_S9_EUllE_EEvNS0_6detail10TensorInfoIT_T1_EESF_NSC_IKS6_SE_EElS8_S8_SE_T6_.kd
    .uniform_work_group_size: 1
    .uses_dynamic_stack: false
    .vgpr_count:     22
    .vgpr_spill_count: 0
    .wavefront_size: 64
  - .args:
      - .offset:         0
        .size:           416
        .value_kind:     by_value
      - .offset:         416
        .size:           416
        .value_kind:     by_value
      - .offset:         832
        .size:           416
        .value_kind:     by_value
      - .offset:         1248
        .size:           8
        .value_kind:     by_value
      - .offset:         1256
        .size:           8
        .value_kind:     by_value
      - .offset:         1264
        .size:           8
        .value_kind:     by_value
      - .offset:         1272
        .size:           8
        .value_kind:     by_value
      - .offset:         1280
        .size:           416
        .value_kind:     by_value
      - .offset:         1696
        .size:           4
        .value_kind:     hidden_block_count_x
      - .offset:         1700
        .size:           4
        .value_kind:     hidden_block_count_y
      - .offset:         1704
        .size:           4
        .value_kind:     hidden_block_count_z
      - .offset:         1708
        .size:           2
        .value_kind:     hidden_group_size_x
      - .offset:         1710
        .size:           2
        .value_kind:     hidden_group_size_y
      - .offset:         1712
        .size:           2
        .value_kind:     hidden_group_size_z
      - .offset:         1714
        .size:           2
        .value_kind:     hidden_remainder_x
      - .offset:         1716
        .size:           2
        .value_kind:     hidden_remainder_y
      - .offset:         1718
        .size:           2
        .value_kind:     hidden_remainder_z
      - .offset:         1736
        .size:           8
        .value_kind:     hidden_global_offset_x
      - .offset:         1744
        .size:           8
        .value_kind:     hidden_global_offset_y
      - .offset:         1752
        .size:           8
        .value_kind:     hidden_global_offset_z
      - .offset:         1760
        .size:           2
        .value_kind:     hidden_grid_dims
    .group_segment_fixed_size: 0
    .kernarg_segment_align: 8
    .kernarg_segment_size: 1952
    .language:       OpenCL C
    .language_version:
      - 2
      - 0
    .max_flat_workgroup_size: 512
    .name:           _ZN2at4cuda17kernelHistogram1DIfalLi1ELi2ELin1ELNS0_23CUDAHistogramMemoryTypeE1EZNS0_21CUDA_tensor_histogramIfaLb1EEEbNS_6TensorES4_S4_lNS_14AccumulateTypeIT0_Lb1EE4typeES8_NS0_13TensorArgTypeES9_S9_EUllE_EEvNS0_6detail10TensorInfoIT_T1_EESF_NSC_IKS6_SE_EElS8_S8_SE_T6_
    .private_segment_fixed_size: 0
    .sgpr_count:     55
    .sgpr_spill_count: 0
    .symbol:         _ZN2at4cuda17kernelHistogram1DIfalLi1ELi2ELin1ELNS0_23CUDAHistogramMemoryTypeE1EZNS0_21CUDA_tensor_histogramIfaLb1EEEbNS_6TensorES4_S4_lNS_14AccumulateTypeIT0_Lb1EE4typeES8_NS0_13TensorArgTypeES9_S9_EUllE_EEvNS0_6detail10TensorInfoIT_T1_EESF_NSC_IKS6_SE_EElS8_S8_SE_T6_.kd
    .uniform_work_group_size: 1
    .uses_dynamic_stack: false
    .vgpr_count:     18
    .vgpr_spill_count: 0
    .wavefront_size: 64
  - .args:
      - .offset:         0
        .size:           416
        .value_kind:     by_value
      - .offset:         416
        .size:           416
        .value_kind:     by_value
      - .offset:         832
        .size:           416
        .value_kind:     by_value
      - .offset:         1248
        .size:           8
        .value_kind:     by_value
      - .offset:         1256
        .size:           8
        .value_kind:     by_value
      - .offset:         1264
        .size:           8
        .value_kind:     by_value
      - .offset:         1272
        .size:           8
        .value_kind:     by_value
      - .offset:         1280
        .size:           1
        .value_kind:     by_value
      - .offset:         1288
        .size:           4
        .value_kind:     hidden_block_count_x
      - .offset:         1292
        .size:           4
        .value_kind:     hidden_block_count_y
      - .offset:         1296
        .size:           4
        .value_kind:     hidden_block_count_z
      - .offset:         1300
        .size:           2
        .value_kind:     hidden_group_size_x
      - .offset:         1302
        .size:           2
        .value_kind:     hidden_group_size_y
      - .offset:         1304
        .size:           2
        .value_kind:     hidden_group_size_z
      - .offset:         1306
        .size:           2
        .value_kind:     hidden_remainder_x
      - .offset:         1308
        .size:           2
        .value_kind:     hidden_remainder_y
      - .offset:         1310
        .size:           2
        .value_kind:     hidden_remainder_z
      - .offset:         1328
        .size:           8
        .value_kind:     hidden_global_offset_x
      - .offset:         1336
        .size:           8
        .value_kind:     hidden_global_offset_y
      - .offset:         1344
        .size:           8
        .value_kind:     hidden_global_offset_z
      - .offset:         1352
        .size:           2
        .value_kind:     hidden_grid_dims
      - .offset:         1408
        .size:           4
        .value_kind:     hidden_dynamic_lds_size
    .group_segment_fixed_size: 0
    .kernarg_segment_align: 8
    .kernarg_segment_size: 1544
    .language:       OpenCL C
    .language_version:
      - 2
      - 0
    .max_flat_workgroup_size: 512
    .name:           _ZN2at4cuda17kernelHistogram1DIfalLi1ELi2ELin1ELNS0_23CUDAHistogramMemoryTypeE0EZNS0_21CUDA_tensor_histogramIfaLb1EEEbNS_6TensorES4_S4_lNS_14AccumulateTypeIT0_Lb1EE4typeES8_NS0_13TensorArgTypeES9_S9_EUllE0_EEvNS0_6detail10TensorInfoIT_T1_EESF_NSC_IKS6_SE_EElS8_S8_SE_T6_
    .private_segment_fixed_size: 0
    .sgpr_count:     56
    .sgpr_spill_count: 0
    .symbol:         _ZN2at4cuda17kernelHistogram1DIfalLi1ELi2ELin1ELNS0_23CUDAHistogramMemoryTypeE0EZNS0_21CUDA_tensor_histogramIfaLb1EEEbNS_6TensorES4_S4_lNS_14AccumulateTypeIT0_Lb1EE4typeES8_NS0_13TensorArgTypeES9_S9_EUllE0_EEvNS0_6detail10TensorInfoIT_T1_EESF_NSC_IKS6_SE_EElS8_S8_SE_T6_.kd
    .uniform_work_group_size: 1
    .uses_dynamic_stack: false
    .vgpr_count:     23
    .vgpr_spill_count: 0
    .wavefront_size: 64
  - .args:
      - .offset:         0
        .size:           416
        .value_kind:     by_value
      - .offset:         416
        .size:           416
        .value_kind:     by_value
      - .offset:         832
        .size:           416
        .value_kind:     by_value
      - .offset:         1248
        .size:           8
        .value_kind:     by_value
      - .offset:         1256
        .size:           8
        .value_kind:     by_value
      - .offset:         1264
        .size:           8
        .value_kind:     by_value
      - .offset:         1272
        .size:           8
        .value_kind:     by_value
      - .offset:         1280
        .size:           1
        .value_kind:     by_value
      - .offset:         1288
        .size:           4
        .value_kind:     hidden_block_count_x
      - .offset:         1292
        .size:           4
        .value_kind:     hidden_block_count_y
      - .offset:         1296
        .size:           4
        .value_kind:     hidden_block_count_z
      - .offset:         1300
        .size:           2
        .value_kind:     hidden_group_size_x
      - .offset:         1302
        .size:           2
        .value_kind:     hidden_group_size_y
      - .offset:         1304
        .size:           2
        .value_kind:     hidden_group_size_z
      - .offset:         1306
        .size:           2
        .value_kind:     hidden_remainder_x
      - .offset:         1308
        .size:           2
        .value_kind:     hidden_remainder_y
      - .offset:         1310
        .size:           2
        .value_kind:     hidden_remainder_z
      - .offset:         1328
        .size:           8
        .value_kind:     hidden_global_offset_x
      - .offset:         1336
        .size:           8
        .value_kind:     hidden_global_offset_y
      - .offset:         1344
        .size:           8
        .value_kind:     hidden_global_offset_z
      - .offset:         1352
        .size:           2
        .value_kind:     hidden_grid_dims
    .group_segment_fixed_size: 0
    .kernarg_segment_align: 8
    .kernarg_segment_size: 1544
    .language:       OpenCL C
    .language_version:
      - 2
      - 0
    .max_flat_workgroup_size: 512
    .name:           _ZN2at4cuda17kernelHistogram1DIfalLi1ELi2ELin1ELNS0_23CUDAHistogramMemoryTypeE1EZNS0_21CUDA_tensor_histogramIfaLb1EEEbNS_6TensorES4_S4_lNS_14AccumulateTypeIT0_Lb1EE4typeES8_NS0_13TensorArgTypeES9_S9_EUllE0_EEvNS0_6detail10TensorInfoIT_T1_EESF_NSC_IKS6_SE_EElS8_S8_SE_T6_
    .private_segment_fixed_size: 0
    .sgpr_count:     51
    .sgpr_spill_count: 0
    .symbol:         _ZN2at4cuda17kernelHistogram1DIfalLi1ELi2ELin1ELNS0_23CUDAHistogramMemoryTypeE1EZNS0_21CUDA_tensor_histogramIfaLb1EEEbNS_6TensorES4_S4_lNS_14AccumulateTypeIT0_Lb1EE4typeES8_NS0_13TensorArgTypeES9_S9_EUllE0_EEvNS0_6detail10TensorInfoIT_T1_EESF_NSC_IKS6_SE_EElS8_S8_SE_T6_.kd
    .uniform_work_group_size: 1
    .uses_dynamic_stack: false
    .vgpr_count:     18
    .vgpr_spill_count: 0
    .wavefront_size: 64
  - .args:
      - .offset:         0
        .size:           416
        .value_kind:     by_value
      - .offset:         416
        .size:           416
        .value_kind:     by_value
      - .offset:         832
        .size:           416
        .value_kind:     by_value
      - .offset:         1248
        .size:           8
        .value_kind:     by_value
      - .offset:         1256
        .size:           8
        .value_kind:     by_value
      - .offset:         1264
        .size:           8
        .value_kind:     by_value
      - .offset:         1272
        .size:           8
        .value_kind:     by_value
      - .offset:         1280
        .size:           416
        .value_kind:     by_value
      - .offset:         1696
        .size:           4
        .value_kind:     hidden_block_count_x
      - .offset:         1700
        .size:           4
        .value_kind:     hidden_block_count_y
      - .offset:         1704
        .size:           4
        .value_kind:     hidden_block_count_z
      - .offset:         1708
        .size:           2
        .value_kind:     hidden_group_size_x
      - .offset:         1710
        .size:           2
        .value_kind:     hidden_group_size_y
      - .offset:         1712
        .size:           2
        .value_kind:     hidden_group_size_z
      - .offset:         1714
        .size:           2
        .value_kind:     hidden_remainder_x
      - .offset:         1716
        .size:           2
        .value_kind:     hidden_remainder_y
      - .offset:         1718
        .size:           2
        .value_kind:     hidden_remainder_z
      - .offset:         1736
        .size:           8
        .value_kind:     hidden_global_offset_x
      - .offset:         1744
        .size:           8
        .value_kind:     hidden_global_offset_y
      - .offset:         1752
        .size:           8
        .value_kind:     hidden_global_offset_z
      - .offset:         1760
        .size:           2
        .value_kind:     hidden_grid_dims
      - .offset:         1816
        .size:           4
        .value_kind:     hidden_dynamic_lds_size
    .group_segment_fixed_size: 0
    .kernarg_segment_align: 8
    .kernarg_segment_size: 1952
    .language:       OpenCL C
    .language_version:
      - 2
      - 0
    .max_flat_workgroup_size: 512
    .name:           _ZN2at4cuda17kernelHistogram1DIlalLi1ELi2ELin1ELNS0_23CUDAHistogramMemoryTypeE0EZNS0_21CUDA_tensor_histogramIlaLb0EEEbNS_6TensorES4_S4_lNS_14AccumulateTypeIT0_Lb1EE4typeES8_NS0_13TensorArgTypeES9_S9_EUllE_EEvNS0_6detail10TensorInfoIT_T1_EESF_NSC_IKS6_SE_EElS8_S8_SE_T6_
    .private_segment_fixed_size: 0
    .sgpr_count:     60
    .sgpr_spill_count: 0
    .symbol:         _ZN2at4cuda17kernelHistogram1DIlalLi1ELi2ELin1ELNS0_23CUDAHistogramMemoryTypeE0EZNS0_21CUDA_tensor_histogramIlaLb0EEEbNS_6TensorES4_S4_lNS_14AccumulateTypeIT0_Lb1EE4typeES8_NS0_13TensorArgTypeES9_S9_EUllE_EEvNS0_6detail10TensorInfoIT_T1_EESF_NSC_IKS6_SE_EElS8_S8_SE_T6_.kd
    .uniform_work_group_size: 1
    .uses_dynamic_stack: false
    .vgpr_count:     24
    .vgpr_spill_count: 0
    .wavefront_size: 64
  - .args:
      - .offset:         0
        .size:           416
        .value_kind:     by_value
      - .offset:         416
        .size:           416
        .value_kind:     by_value
      - .offset:         832
        .size:           416
        .value_kind:     by_value
      - .offset:         1248
        .size:           8
        .value_kind:     by_value
      - .offset:         1256
        .size:           8
        .value_kind:     by_value
      - .offset:         1264
        .size:           8
        .value_kind:     by_value
      - .offset:         1272
        .size:           8
        .value_kind:     by_value
      - .offset:         1280
        .size:           416
        .value_kind:     by_value
      - .offset:         1696
        .size:           4
        .value_kind:     hidden_block_count_x
      - .offset:         1700
        .size:           4
        .value_kind:     hidden_block_count_y
      - .offset:         1704
        .size:           4
        .value_kind:     hidden_block_count_z
      - .offset:         1708
        .size:           2
        .value_kind:     hidden_group_size_x
      - .offset:         1710
        .size:           2
        .value_kind:     hidden_group_size_y
      - .offset:         1712
        .size:           2
        .value_kind:     hidden_group_size_z
      - .offset:         1714
        .size:           2
        .value_kind:     hidden_remainder_x
      - .offset:         1716
        .size:           2
        .value_kind:     hidden_remainder_y
      - .offset:         1718
        .size:           2
        .value_kind:     hidden_remainder_z
      - .offset:         1736
        .size:           8
        .value_kind:     hidden_global_offset_x
      - .offset:         1744
        .size:           8
        .value_kind:     hidden_global_offset_y
      - .offset:         1752
        .size:           8
        .value_kind:     hidden_global_offset_z
      - .offset:         1760
        .size:           2
        .value_kind:     hidden_grid_dims
    .group_segment_fixed_size: 0
    .kernarg_segment_align: 8
    .kernarg_segment_size: 1952
    .language:       OpenCL C
    .language_version:
      - 2
      - 0
    .max_flat_workgroup_size: 512
    .name:           _ZN2at4cuda17kernelHistogram1DIlalLi1ELi2ELin1ELNS0_23CUDAHistogramMemoryTypeE1EZNS0_21CUDA_tensor_histogramIlaLb0EEEbNS_6TensorES4_S4_lNS_14AccumulateTypeIT0_Lb1EE4typeES8_NS0_13TensorArgTypeES9_S9_EUllE_EEvNS0_6detail10TensorInfoIT_T1_EESF_NSC_IKS6_SE_EElS8_S8_SE_T6_
    .private_segment_fixed_size: 0
    .sgpr_count:     55
    .sgpr_spill_count: 0
    .symbol:         _ZN2at4cuda17kernelHistogram1DIlalLi1ELi2ELin1ELNS0_23CUDAHistogramMemoryTypeE1EZNS0_21CUDA_tensor_histogramIlaLb0EEEbNS_6TensorES4_S4_lNS_14AccumulateTypeIT0_Lb1EE4typeES8_NS0_13TensorArgTypeES9_S9_EUllE_EEvNS0_6detail10TensorInfoIT_T1_EESF_NSC_IKS6_SE_EElS8_S8_SE_T6_.kd
    .uniform_work_group_size: 1
    .uses_dynamic_stack: false
    .vgpr_count:     18
    .vgpr_spill_count: 0
    .wavefront_size: 64
  - .args:
      - .offset:         0
        .size:           416
        .value_kind:     by_value
      - .offset:         416
        .size:           416
        .value_kind:     by_value
      - .offset:         832
        .size:           416
        .value_kind:     by_value
      - .offset:         1248
        .size:           8
        .value_kind:     by_value
      - .offset:         1256
        .size:           8
        .value_kind:     by_value
      - .offset:         1264
        .size:           8
        .value_kind:     by_value
      - .offset:         1272
        .size:           8
        .value_kind:     by_value
      - .offset:         1280
        .size:           1
        .value_kind:     by_value
      - .offset:         1288
        .size:           4
        .value_kind:     hidden_block_count_x
      - .offset:         1292
        .size:           4
        .value_kind:     hidden_block_count_y
      - .offset:         1296
        .size:           4
        .value_kind:     hidden_block_count_z
      - .offset:         1300
        .size:           2
        .value_kind:     hidden_group_size_x
      - .offset:         1302
        .size:           2
        .value_kind:     hidden_group_size_y
      - .offset:         1304
        .size:           2
        .value_kind:     hidden_group_size_z
      - .offset:         1306
        .size:           2
        .value_kind:     hidden_remainder_x
      - .offset:         1308
        .size:           2
        .value_kind:     hidden_remainder_y
      - .offset:         1310
        .size:           2
        .value_kind:     hidden_remainder_z
      - .offset:         1328
        .size:           8
        .value_kind:     hidden_global_offset_x
      - .offset:         1336
        .size:           8
        .value_kind:     hidden_global_offset_y
      - .offset:         1344
        .size:           8
        .value_kind:     hidden_global_offset_z
      - .offset:         1352
        .size:           2
        .value_kind:     hidden_grid_dims
      - .offset:         1408
        .size:           4
        .value_kind:     hidden_dynamic_lds_size
    .group_segment_fixed_size: 0
    .kernarg_segment_align: 8
    .kernarg_segment_size: 1544
    .language:       OpenCL C
    .language_version:
      - 2
      - 0
    .max_flat_workgroup_size: 512
    .name:           _ZN2at4cuda17kernelHistogram1DIlalLi1ELi2ELin1ELNS0_23CUDAHistogramMemoryTypeE0EZNS0_21CUDA_tensor_histogramIlaLb0EEEbNS_6TensorES4_S4_lNS_14AccumulateTypeIT0_Lb1EE4typeES8_NS0_13TensorArgTypeES9_S9_EUllE0_EEvNS0_6detail10TensorInfoIT_T1_EESF_NSC_IKS6_SE_EElS8_S8_SE_T6_
    .private_segment_fixed_size: 0
    .sgpr_count:     56
    .sgpr_spill_count: 0
    .symbol:         _ZN2at4cuda17kernelHistogram1DIlalLi1ELi2ELin1ELNS0_23CUDAHistogramMemoryTypeE0EZNS0_21CUDA_tensor_histogramIlaLb0EEEbNS_6TensorES4_S4_lNS_14AccumulateTypeIT0_Lb1EE4typeES8_NS0_13TensorArgTypeES9_S9_EUllE0_EEvNS0_6detail10TensorInfoIT_T1_EESF_NSC_IKS6_SE_EElS8_S8_SE_T6_.kd
    .uniform_work_group_size: 1
    .uses_dynamic_stack: false
    .vgpr_count:     24
    .vgpr_spill_count: 0
    .wavefront_size: 64
  - .args:
      - .offset:         0
        .size:           416
        .value_kind:     by_value
      - .offset:         416
        .size:           416
        .value_kind:     by_value
      - .offset:         832
        .size:           416
        .value_kind:     by_value
      - .offset:         1248
        .size:           8
        .value_kind:     by_value
      - .offset:         1256
        .size:           8
        .value_kind:     by_value
      - .offset:         1264
        .size:           8
        .value_kind:     by_value
      - .offset:         1272
        .size:           8
        .value_kind:     by_value
      - .offset:         1280
        .size:           1
        .value_kind:     by_value
      - .offset:         1288
        .size:           4
        .value_kind:     hidden_block_count_x
      - .offset:         1292
        .size:           4
        .value_kind:     hidden_block_count_y
      - .offset:         1296
        .size:           4
        .value_kind:     hidden_block_count_z
      - .offset:         1300
        .size:           2
        .value_kind:     hidden_group_size_x
      - .offset:         1302
        .size:           2
        .value_kind:     hidden_group_size_y
      - .offset:         1304
        .size:           2
        .value_kind:     hidden_group_size_z
      - .offset:         1306
        .size:           2
        .value_kind:     hidden_remainder_x
      - .offset:         1308
        .size:           2
        .value_kind:     hidden_remainder_y
      - .offset:         1310
        .size:           2
        .value_kind:     hidden_remainder_z
      - .offset:         1328
        .size:           8
        .value_kind:     hidden_global_offset_x
      - .offset:         1336
        .size:           8
        .value_kind:     hidden_global_offset_y
      - .offset:         1344
        .size:           8
        .value_kind:     hidden_global_offset_z
      - .offset:         1352
        .size:           2
        .value_kind:     hidden_grid_dims
    .group_segment_fixed_size: 0
    .kernarg_segment_align: 8
    .kernarg_segment_size: 1544
    .language:       OpenCL C
    .language_version:
      - 2
      - 0
    .max_flat_workgroup_size: 512
    .name:           _ZN2at4cuda17kernelHistogram1DIlalLi1ELi2ELin1ELNS0_23CUDAHistogramMemoryTypeE1EZNS0_21CUDA_tensor_histogramIlaLb0EEEbNS_6TensorES4_S4_lNS_14AccumulateTypeIT0_Lb1EE4typeES8_NS0_13TensorArgTypeES9_S9_EUllE0_EEvNS0_6detail10TensorInfoIT_T1_EESF_NSC_IKS6_SE_EElS8_S8_SE_T6_
    .private_segment_fixed_size: 0
    .sgpr_count:     51
    .sgpr_spill_count: 0
    .symbol:         _ZN2at4cuda17kernelHistogram1DIlalLi1ELi2ELin1ELNS0_23CUDAHistogramMemoryTypeE1EZNS0_21CUDA_tensor_histogramIlaLb0EEEbNS_6TensorES4_S4_lNS_14AccumulateTypeIT0_Lb1EE4typeES8_NS0_13TensorArgTypeES9_S9_EUllE0_EEvNS0_6detail10TensorInfoIT_T1_EESF_NSC_IKS6_SE_EElS8_S8_SE_T6_.kd
    .uniform_work_group_size: 1
    .uses_dynamic_stack: false
    .vgpr_count:     20
    .vgpr_spill_count: 0
    .wavefront_size: 64
  - .args:
      - .offset:         0
        .size:           416
        .value_kind:     by_value
      - .offset:         416
        .size:           416
        .value_kind:     by_value
      - .offset:         832
        .size:           416
        .value_kind:     by_value
      - .offset:         1248
        .size:           8
        .value_kind:     by_value
      - .offset:         1256
        .size:           8
        .value_kind:     by_value
      - .offset:         1264
        .size:           8
        .value_kind:     by_value
      - .offset:         1272
        .size:           8
        .value_kind:     by_value
      - .offset:         1280
        .size:           416
        .value_kind:     by_value
      - .offset:         1696
        .size:           4
        .value_kind:     hidden_block_count_x
      - .offset:         1700
        .size:           4
        .value_kind:     hidden_block_count_y
      - .offset:         1704
        .size:           4
        .value_kind:     hidden_block_count_z
      - .offset:         1708
        .size:           2
        .value_kind:     hidden_group_size_x
      - .offset:         1710
        .size:           2
        .value_kind:     hidden_group_size_y
      - .offset:         1712
        .size:           2
        .value_kind:     hidden_group_size_z
      - .offset:         1714
        .size:           2
        .value_kind:     hidden_remainder_x
      - .offset:         1716
        .size:           2
        .value_kind:     hidden_remainder_y
      - .offset:         1718
        .size:           2
        .value_kind:     hidden_remainder_z
      - .offset:         1736
        .size:           8
        .value_kind:     hidden_global_offset_x
      - .offset:         1744
        .size:           8
        .value_kind:     hidden_global_offset_y
      - .offset:         1752
        .size:           8
        .value_kind:     hidden_global_offset_z
      - .offset:         1760
        .size:           2
        .value_kind:     hidden_grid_dims
      - .offset:         1816
        .size:           4
        .value_kind:     hidden_dynamic_lds_size
    .group_segment_fixed_size: 0
    .kernarg_segment_align: 8
    .kernarg_segment_size: 1952
    .language:       OpenCL C
    .language_version:
      - 2
      - 0
    .max_flat_workgroup_size: 512
    .name:           _ZN2at4cuda17kernelHistogram1DIdalLi1ELi2ELin1ELNS0_23CUDAHistogramMemoryTypeE0EZNS0_21CUDA_tensor_histogramIdaLb1EEEbNS_6TensorES4_S4_lNS_14AccumulateTypeIT0_Lb1EE4typeES8_NS0_13TensorArgTypeES9_S9_EUllE_EEvNS0_6detail10TensorInfoIT_T1_EESF_NSC_IKS6_SE_EElS8_S8_SE_T6_
    .private_segment_fixed_size: 0
    .sgpr_count:     60
    .sgpr_spill_count: 0
    .symbol:         _ZN2at4cuda17kernelHistogram1DIdalLi1ELi2ELin1ELNS0_23CUDAHistogramMemoryTypeE0EZNS0_21CUDA_tensor_histogramIdaLb1EEEbNS_6TensorES4_S4_lNS_14AccumulateTypeIT0_Lb1EE4typeES8_NS0_13TensorArgTypeES9_S9_EUllE_EEvNS0_6detail10TensorInfoIT_T1_EESF_NSC_IKS6_SE_EElS8_S8_SE_T6_.kd
    .uniform_work_group_size: 1
    .uses_dynamic_stack: false
    .vgpr_count:     22
    .vgpr_spill_count: 0
    .wavefront_size: 64
  - .args:
      - .offset:         0
        .size:           416
        .value_kind:     by_value
      - .offset:         416
        .size:           416
        .value_kind:     by_value
      - .offset:         832
        .size:           416
        .value_kind:     by_value
      - .offset:         1248
        .size:           8
        .value_kind:     by_value
      - .offset:         1256
        .size:           8
        .value_kind:     by_value
      - .offset:         1264
        .size:           8
        .value_kind:     by_value
      - .offset:         1272
        .size:           8
        .value_kind:     by_value
      - .offset:         1280
        .size:           416
        .value_kind:     by_value
      - .offset:         1696
        .size:           4
        .value_kind:     hidden_block_count_x
      - .offset:         1700
        .size:           4
        .value_kind:     hidden_block_count_y
      - .offset:         1704
        .size:           4
        .value_kind:     hidden_block_count_z
      - .offset:         1708
        .size:           2
        .value_kind:     hidden_group_size_x
      - .offset:         1710
        .size:           2
        .value_kind:     hidden_group_size_y
      - .offset:         1712
        .size:           2
        .value_kind:     hidden_group_size_z
      - .offset:         1714
        .size:           2
        .value_kind:     hidden_remainder_x
      - .offset:         1716
        .size:           2
        .value_kind:     hidden_remainder_y
      - .offset:         1718
        .size:           2
        .value_kind:     hidden_remainder_z
      - .offset:         1736
        .size:           8
        .value_kind:     hidden_global_offset_x
      - .offset:         1744
        .size:           8
        .value_kind:     hidden_global_offset_y
      - .offset:         1752
        .size:           8
        .value_kind:     hidden_global_offset_z
      - .offset:         1760
        .size:           2
        .value_kind:     hidden_grid_dims
    .group_segment_fixed_size: 0
    .kernarg_segment_align: 8
    .kernarg_segment_size: 1952
    .language:       OpenCL C
    .language_version:
      - 2
      - 0
    .max_flat_workgroup_size: 512
    .name:           _ZN2at4cuda17kernelHistogram1DIdalLi1ELi2ELin1ELNS0_23CUDAHistogramMemoryTypeE1EZNS0_21CUDA_tensor_histogramIdaLb1EEEbNS_6TensorES4_S4_lNS_14AccumulateTypeIT0_Lb1EE4typeES8_NS0_13TensorArgTypeES9_S9_EUllE_EEvNS0_6detail10TensorInfoIT_T1_EESF_NSC_IKS6_SE_EElS8_S8_SE_T6_
    .private_segment_fixed_size: 0
    .sgpr_count:     55
    .sgpr_spill_count: 0
    .symbol:         _ZN2at4cuda17kernelHistogram1DIdalLi1ELi2ELin1ELNS0_23CUDAHistogramMemoryTypeE1EZNS0_21CUDA_tensor_histogramIdaLb1EEEbNS_6TensorES4_S4_lNS_14AccumulateTypeIT0_Lb1EE4typeES8_NS0_13TensorArgTypeES9_S9_EUllE_EEvNS0_6detail10TensorInfoIT_T1_EESF_NSC_IKS6_SE_EElS8_S8_SE_T6_.kd
    .uniform_work_group_size: 1
    .uses_dynamic_stack: false
    .vgpr_count:     18
    .vgpr_spill_count: 0
    .wavefront_size: 64
  - .args:
      - .offset:         0
        .size:           416
        .value_kind:     by_value
      - .offset:         416
        .size:           416
        .value_kind:     by_value
      - .offset:         832
        .size:           416
        .value_kind:     by_value
      - .offset:         1248
        .size:           8
        .value_kind:     by_value
      - .offset:         1256
        .size:           8
        .value_kind:     by_value
      - .offset:         1264
        .size:           8
        .value_kind:     by_value
      - .offset:         1272
        .size:           8
        .value_kind:     by_value
      - .offset:         1280
        .size:           1
        .value_kind:     by_value
      - .offset:         1288
        .size:           4
        .value_kind:     hidden_block_count_x
      - .offset:         1292
        .size:           4
        .value_kind:     hidden_block_count_y
      - .offset:         1296
        .size:           4
        .value_kind:     hidden_block_count_z
      - .offset:         1300
        .size:           2
        .value_kind:     hidden_group_size_x
      - .offset:         1302
        .size:           2
        .value_kind:     hidden_group_size_y
      - .offset:         1304
        .size:           2
        .value_kind:     hidden_group_size_z
      - .offset:         1306
        .size:           2
        .value_kind:     hidden_remainder_x
      - .offset:         1308
        .size:           2
        .value_kind:     hidden_remainder_y
      - .offset:         1310
        .size:           2
        .value_kind:     hidden_remainder_z
      - .offset:         1328
        .size:           8
        .value_kind:     hidden_global_offset_x
      - .offset:         1336
        .size:           8
        .value_kind:     hidden_global_offset_y
      - .offset:         1344
        .size:           8
        .value_kind:     hidden_global_offset_z
      - .offset:         1352
        .size:           2
        .value_kind:     hidden_grid_dims
      - .offset:         1408
        .size:           4
        .value_kind:     hidden_dynamic_lds_size
    .group_segment_fixed_size: 0
    .kernarg_segment_align: 8
    .kernarg_segment_size: 1544
    .language:       OpenCL C
    .language_version:
      - 2
      - 0
    .max_flat_workgroup_size: 512
    .name:           _ZN2at4cuda17kernelHistogram1DIdalLi1ELi2ELin1ELNS0_23CUDAHistogramMemoryTypeE0EZNS0_21CUDA_tensor_histogramIdaLb1EEEbNS_6TensorES4_S4_lNS_14AccumulateTypeIT0_Lb1EE4typeES8_NS0_13TensorArgTypeES9_S9_EUllE0_EEvNS0_6detail10TensorInfoIT_T1_EESF_NSC_IKS6_SE_EElS8_S8_SE_T6_
    .private_segment_fixed_size: 0
    .sgpr_count:     56
    .sgpr_spill_count: 0
    .symbol:         _ZN2at4cuda17kernelHistogram1DIdalLi1ELi2ELin1ELNS0_23CUDAHistogramMemoryTypeE0EZNS0_21CUDA_tensor_histogramIdaLb1EEEbNS_6TensorES4_S4_lNS_14AccumulateTypeIT0_Lb1EE4typeES8_NS0_13TensorArgTypeES9_S9_EUllE0_EEvNS0_6detail10TensorInfoIT_T1_EESF_NSC_IKS6_SE_EElS8_S8_SE_T6_.kd
    .uniform_work_group_size: 1
    .uses_dynamic_stack: false
    .vgpr_count:     22
    .vgpr_spill_count: 0
    .wavefront_size: 64
  - .args:
      - .offset:         0
        .size:           416
        .value_kind:     by_value
      - .offset:         416
        .size:           416
        .value_kind:     by_value
      - .offset:         832
        .size:           416
        .value_kind:     by_value
      - .offset:         1248
        .size:           8
        .value_kind:     by_value
      - .offset:         1256
        .size:           8
        .value_kind:     by_value
      - .offset:         1264
        .size:           8
        .value_kind:     by_value
      - .offset:         1272
        .size:           8
        .value_kind:     by_value
      - .offset:         1280
        .size:           1
        .value_kind:     by_value
      - .offset:         1288
        .size:           4
        .value_kind:     hidden_block_count_x
      - .offset:         1292
        .size:           4
        .value_kind:     hidden_block_count_y
      - .offset:         1296
        .size:           4
        .value_kind:     hidden_block_count_z
      - .offset:         1300
        .size:           2
        .value_kind:     hidden_group_size_x
      - .offset:         1302
        .size:           2
        .value_kind:     hidden_group_size_y
      - .offset:         1304
        .size:           2
        .value_kind:     hidden_group_size_z
      - .offset:         1306
        .size:           2
        .value_kind:     hidden_remainder_x
      - .offset:         1308
        .size:           2
        .value_kind:     hidden_remainder_y
      - .offset:         1310
        .size:           2
        .value_kind:     hidden_remainder_z
      - .offset:         1328
        .size:           8
        .value_kind:     hidden_global_offset_x
      - .offset:         1336
        .size:           8
        .value_kind:     hidden_global_offset_y
      - .offset:         1344
        .size:           8
        .value_kind:     hidden_global_offset_z
      - .offset:         1352
        .size:           2
        .value_kind:     hidden_grid_dims
    .group_segment_fixed_size: 0
    .kernarg_segment_align: 8
    .kernarg_segment_size: 1544
    .language:       OpenCL C
    .language_version:
      - 2
      - 0
    .max_flat_workgroup_size: 512
    .name:           _ZN2at4cuda17kernelHistogram1DIdalLi1ELi2ELin1ELNS0_23CUDAHistogramMemoryTypeE1EZNS0_21CUDA_tensor_histogramIdaLb1EEEbNS_6TensorES4_S4_lNS_14AccumulateTypeIT0_Lb1EE4typeES8_NS0_13TensorArgTypeES9_S9_EUllE0_EEvNS0_6detail10TensorInfoIT_T1_EESF_NSC_IKS6_SE_EElS8_S8_SE_T6_
    .private_segment_fixed_size: 0
    .sgpr_count:     51
    .sgpr_spill_count: 0
    .symbol:         _ZN2at4cuda17kernelHistogram1DIdalLi1ELi2ELin1ELNS0_23CUDAHistogramMemoryTypeE1EZNS0_21CUDA_tensor_histogramIdaLb1EEEbNS_6TensorES4_S4_lNS_14AccumulateTypeIT0_Lb1EE4typeES8_NS0_13TensorArgTypeES9_S9_EUllE0_EEvNS0_6detail10TensorInfoIT_T1_EESF_NSC_IKS6_SE_EElS8_S8_SE_T6_.kd
    .uniform_work_group_size: 1
    .uses_dynamic_stack: false
    .vgpr_count:     18
    .vgpr_spill_count: 0
    .wavefront_size: 64
  - .args:
      - .offset:         0
        .size:           416
        .value_kind:     by_value
      - .offset:         416
        .size:           416
        .value_kind:     by_value
      - .offset:         832
        .size:           416
        .value_kind:     by_value
      - .offset:         1248
        .size:           8
        .value_kind:     by_value
      - .offset:         1256
        .size:           8
        .value_kind:     by_value
      - .offset:         1264
        .size:           8
        .value_kind:     by_value
      - .offset:         1272
        .size:           8
        .value_kind:     by_value
      - .offset:         1280
        .size:           416
        .value_kind:     by_value
      - .offset:         1696
        .size:           4
        .value_kind:     hidden_block_count_x
      - .offset:         1700
        .size:           4
        .value_kind:     hidden_block_count_y
      - .offset:         1704
        .size:           4
        .value_kind:     hidden_block_count_z
      - .offset:         1708
        .size:           2
        .value_kind:     hidden_group_size_x
      - .offset:         1710
        .size:           2
        .value_kind:     hidden_group_size_y
      - .offset:         1712
        .size:           2
        .value_kind:     hidden_group_size_z
      - .offset:         1714
        .size:           2
        .value_kind:     hidden_remainder_x
      - .offset:         1716
        .size:           2
        .value_kind:     hidden_remainder_y
      - .offset:         1718
        .size:           2
        .value_kind:     hidden_remainder_z
      - .offset:         1736
        .size:           8
        .value_kind:     hidden_global_offset_x
      - .offset:         1744
        .size:           8
        .value_kind:     hidden_global_offset_y
      - .offset:         1752
        .size:           8
        .value_kind:     hidden_global_offset_z
      - .offset:         1760
        .size:           2
        .value_kind:     hidden_grid_dims
      - .offset:         1816
        .size:           4
        .value_kind:     hidden_dynamic_lds_size
    .group_segment_fixed_size: 0
    .kernarg_segment_align: 8
    .kernarg_segment_size: 1952
    .language:       OpenCL C
    .language_version:
      - 2
      - 0
    .max_flat_workgroup_size: 512
    .name:           _ZN2at4cuda17kernelHistogram1DIfilLi1ELi2ELin1ELNS0_23CUDAHistogramMemoryTypeE0EZNS0_21CUDA_tensor_histogramIfiLb1EEEbNS_6TensorES4_S4_lNS_14AccumulateTypeIT0_Lb1EE4typeES8_NS0_13TensorArgTypeES9_S9_EUllE_EEvNS0_6detail10TensorInfoIT_T1_EESF_NSC_IKS6_SE_EElS8_S8_SE_T6_
    .private_segment_fixed_size: 0
    .sgpr_count:     60
    .sgpr_spill_count: 0
    .symbol:         _ZN2at4cuda17kernelHistogram1DIfilLi1ELi2ELin1ELNS0_23CUDAHistogramMemoryTypeE0EZNS0_21CUDA_tensor_histogramIfiLb1EEEbNS_6TensorES4_S4_lNS_14AccumulateTypeIT0_Lb1EE4typeES8_NS0_13TensorArgTypeES9_S9_EUllE_EEvNS0_6detail10TensorInfoIT_T1_EESF_NSC_IKS6_SE_EElS8_S8_SE_T6_.kd
    .uniform_work_group_size: 1
    .uses_dynamic_stack: false
    .vgpr_count:     22
    .vgpr_spill_count: 0
    .wavefront_size: 64
  - .args:
      - .offset:         0
        .size:           416
        .value_kind:     by_value
      - .offset:         416
        .size:           416
        .value_kind:     by_value
      - .offset:         832
        .size:           416
        .value_kind:     by_value
      - .offset:         1248
        .size:           8
        .value_kind:     by_value
      - .offset:         1256
        .size:           8
        .value_kind:     by_value
      - .offset:         1264
        .size:           8
        .value_kind:     by_value
      - .offset:         1272
        .size:           8
        .value_kind:     by_value
      - .offset:         1280
        .size:           416
        .value_kind:     by_value
      - .offset:         1696
        .size:           4
        .value_kind:     hidden_block_count_x
      - .offset:         1700
        .size:           4
        .value_kind:     hidden_block_count_y
      - .offset:         1704
        .size:           4
        .value_kind:     hidden_block_count_z
      - .offset:         1708
        .size:           2
        .value_kind:     hidden_group_size_x
      - .offset:         1710
        .size:           2
        .value_kind:     hidden_group_size_y
      - .offset:         1712
        .size:           2
        .value_kind:     hidden_group_size_z
      - .offset:         1714
        .size:           2
        .value_kind:     hidden_remainder_x
      - .offset:         1716
        .size:           2
        .value_kind:     hidden_remainder_y
      - .offset:         1718
        .size:           2
        .value_kind:     hidden_remainder_z
      - .offset:         1736
        .size:           8
        .value_kind:     hidden_global_offset_x
      - .offset:         1744
        .size:           8
        .value_kind:     hidden_global_offset_y
      - .offset:         1752
        .size:           8
        .value_kind:     hidden_global_offset_z
      - .offset:         1760
        .size:           2
        .value_kind:     hidden_grid_dims
    .group_segment_fixed_size: 0
    .kernarg_segment_align: 8
    .kernarg_segment_size: 1952
    .language:       OpenCL C
    .language_version:
      - 2
      - 0
    .max_flat_workgroup_size: 512
    .name:           _ZN2at4cuda17kernelHistogram1DIfilLi1ELi2ELin1ELNS0_23CUDAHistogramMemoryTypeE1EZNS0_21CUDA_tensor_histogramIfiLb1EEEbNS_6TensorES4_S4_lNS_14AccumulateTypeIT0_Lb1EE4typeES8_NS0_13TensorArgTypeES9_S9_EUllE_EEvNS0_6detail10TensorInfoIT_T1_EESF_NSC_IKS6_SE_EElS8_S8_SE_T6_
    .private_segment_fixed_size: 0
    .sgpr_count:     55
    .sgpr_spill_count: 0
    .symbol:         _ZN2at4cuda17kernelHistogram1DIfilLi1ELi2ELin1ELNS0_23CUDAHistogramMemoryTypeE1EZNS0_21CUDA_tensor_histogramIfiLb1EEEbNS_6TensorES4_S4_lNS_14AccumulateTypeIT0_Lb1EE4typeES8_NS0_13TensorArgTypeES9_S9_EUllE_EEvNS0_6detail10TensorInfoIT_T1_EESF_NSC_IKS6_SE_EElS8_S8_SE_T6_.kd
    .uniform_work_group_size: 1
    .uses_dynamic_stack: false
    .vgpr_count:     18
    .vgpr_spill_count: 0
    .wavefront_size: 64
  - .args:
      - .offset:         0
        .size:           416
        .value_kind:     by_value
      - .offset:         416
        .size:           416
        .value_kind:     by_value
      - .offset:         832
        .size:           416
        .value_kind:     by_value
      - .offset:         1248
        .size:           8
        .value_kind:     by_value
      - .offset:         1256
        .size:           8
        .value_kind:     by_value
      - .offset:         1264
        .size:           8
        .value_kind:     by_value
      - .offset:         1272
        .size:           8
        .value_kind:     by_value
      - .offset:         1280
        .size:           1
        .value_kind:     by_value
      - .offset:         1288
        .size:           4
        .value_kind:     hidden_block_count_x
      - .offset:         1292
        .size:           4
        .value_kind:     hidden_block_count_y
      - .offset:         1296
        .size:           4
        .value_kind:     hidden_block_count_z
      - .offset:         1300
        .size:           2
        .value_kind:     hidden_group_size_x
      - .offset:         1302
        .size:           2
        .value_kind:     hidden_group_size_y
      - .offset:         1304
        .size:           2
        .value_kind:     hidden_group_size_z
      - .offset:         1306
        .size:           2
        .value_kind:     hidden_remainder_x
      - .offset:         1308
        .size:           2
        .value_kind:     hidden_remainder_y
      - .offset:         1310
        .size:           2
        .value_kind:     hidden_remainder_z
      - .offset:         1328
        .size:           8
        .value_kind:     hidden_global_offset_x
      - .offset:         1336
        .size:           8
        .value_kind:     hidden_global_offset_y
      - .offset:         1344
        .size:           8
        .value_kind:     hidden_global_offset_z
      - .offset:         1352
        .size:           2
        .value_kind:     hidden_grid_dims
      - .offset:         1408
        .size:           4
        .value_kind:     hidden_dynamic_lds_size
    .group_segment_fixed_size: 0
    .kernarg_segment_align: 8
    .kernarg_segment_size: 1544
    .language:       OpenCL C
    .language_version:
      - 2
      - 0
    .max_flat_workgroup_size: 512
    .name:           _ZN2at4cuda17kernelHistogram1DIfilLi1ELi2ELin1ELNS0_23CUDAHistogramMemoryTypeE0EZNS0_21CUDA_tensor_histogramIfiLb1EEEbNS_6TensorES4_S4_lNS_14AccumulateTypeIT0_Lb1EE4typeES8_NS0_13TensorArgTypeES9_S9_EUllE0_EEvNS0_6detail10TensorInfoIT_T1_EESF_NSC_IKS6_SE_EElS8_S8_SE_T6_
    .private_segment_fixed_size: 0
    .sgpr_count:     56
    .sgpr_spill_count: 0
    .symbol:         _ZN2at4cuda17kernelHistogram1DIfilLi1ELi2ELin1ELNS0_23CUDAHistogramMemoryTypeE0EZNS0_21CUDA_tensor_histogramIfiLb1EEEbNS_6TensorES4_S4_lNS_14AccumulateTypeIT0_Lb1EE4typeES8_NS0_13TensorArgTypeES9_S9_EUllE0_EEvNS0_6detail10TensorInfoIT_T1_EESF_NSC_IKS6_SE_EElS8_S8_SE_T6_.kd
    .uniform_work_group_size: 1
    .uses_dynamic_stack: false
    .vgpr_count:     23
    .vgpr_spill_count: 0
    .wavefront_size: 64
  - .args:
      - .offset:         0
        .size:           416
        .value_kind:     by_value
      - .offset:         416
        .size:           416
        .value_kind:     by_value
      - .offset:         832
        .size:           416
        .value_kind:     by_value
      - .offset:         1248
        .size:           8
        .value_kind:     by_value
      - .offset:         1256
        .size:           8
        .value_kind:     by_value
      - .offset:         1264
        .size:           8
        .value_kind:     by_value
      - .offset:         1272
        .size:           8
        .value_kind:     by_value
      - .offset:         1280
        .size:           1
        .value_kind:     by_value
      - .offset:         1288
        .size:           4
        .value_kind:     hidden_block_count_x
      - .offset:         1292
        .size:           4
        .value_kind:     hidden_block_count_y
      - .offset:         1296
        .size:           4
        .value_kind:     hidden_block_count_z
      - .offset:         1300
        .size:           2
        .value_kind:     hidden_group_size_x
      - .offset:         1302
        .size:           2
        .value_kind:     hidden_group_size_y
      - .offset:         1304
        .size:           2
        .value_kind:     hidden_group_size_z
      - .offset:         1306
        .size:           2
        .value_kind:     hidden_remainder_x
      - .offset:         1308
        .size:           2
        .value_kind:     hidden_remainder_y
      - .offset:         1310
        .size:           2
        .value_kind:     hidden_remainder_z
      - .offset:         1328
        .size:           8
        .value_kind:     hidden_global_offset_x
      - .offset:         1336
        .size:           8
        .value_kind:     hidden_global_offset_y
      - .offset:         1344
        .size:           8
        .value_kind:     hidden_global_offset_z
      - .offset:         1352
        .size:           2
        .value_kind:     hidden_grid_dims
    .group_segment_fixed_size: 0
    .kernarg_segment_align: 8
    .kernarg_segment_size: 1544
    .language:       OpenCL C
    .language_version:
      - 2
      - 0
    .max_flat_workgroup_size: 512
    .name:           _ZN2at4cuda17kernelHistogram1DIfilLi1ELi2ELin1ELNS0_23CUDAHistogramMemoryTypeE1EZNS0_21CUDA_tensor_histogramIfiLb1EEEbNS_6TensorES4_S4_lNS_14AccumulateTypeIT0_Lb1EE4typeES8_NS0_13TensorArgTypeES9_S9_EUllE0_EEvNS0_6detail10TensorInfoIT_T1_EESF_NSC_IKS6_SE_EElS8_S8_SE_T6_
    .private_segment_fixed_size: 0
    .sgpr_count:     51
    .sgpr_spill_count: 0
    .symbol:         _ZN2at4cuda17kernelHistogram1DIfilLi1ELi2ELin1ELNS0_23CUDAHistogramMemoryTypeE1EZNS0_21CUDA_tensor_histogramIfiLb1EEEbNS_6TensorES4_S4_lNS_14AccumulateTypeIT0_Lb1EE4typeES8_NS0_13TensorArgTypeES9_S9_EUllE0_EEvNS0_6detail10TensorInfoIT_T1_EESF_NSC_IKS6_SE_EElS8_S8_SE_T6_.kd
    .uniform_work_group_size: 1
    .uses_dynamic_stack: false
    .vgpr_count:     18
    .vgpr_spill_count: 0
    .wavefront_size: 64
  - .args:
      - .offset:         0
        .size:           416
        .value_kind:     by_value
      - .offset:         416
        .size:           416
        .value_kind:     by_value
      - .offset:         832
        .size:           416
        .value_kind:     by_value
      - .offset:         1248
        .size:           8
        .value_kind:     by_value
      - .offset:         1256
        .size:           8
        .value_kind:     by_value
      - .offset:         1264
        .size:           8
        .value_kind:     by_value
      - .offset:         1272
        .size:           8
        .value_kind:     by_value
      - .offset:         1280
        .size:           416
        .value_kind:     by_value
      - .offset:         1696
        .size:           4
        .value_kind:     hidden_block_count_x
      - .offset:         1700
        .size:           4
        .value_kind:     hidden_block_count_y
      - .offset:         1704
        .size:           4
        .value_kind:     hidden_block_count_z
      - .offset:         1708
        .size:           2
        .value_kind:     hidden_group_size_x
      - .offset:         1710
        .size:           2
        .value_kind:     hidden_group_size_y
      - .offset:         1712
        .size:           2
        .value_kind:     hidden_group_size_z
      - .offset:         1714
        .size:           2
        .value_kind:     hidden_remainder_x
      - .offset:         1716
        .size:           2
        .value_kind:     hidden_remainder_y
      - .offset:         1718
        .size:           2
        .value_kind:     hidden_remainder_z
      - .offset:         1736
        .size:           8
        .value_kind:     hidden_global_offset_x
      - .offset:         1744
        .size:           8
        .value_kind:     hidden_global_offset_y
      - .offset:         1752
        .size:           8
        .value_kind:     hidden_global_offset_z
      - .offset:         1760
        .size:           2
        .value_kind:     hidden_grid_dims
      - .offset:         1816
        .size:           4
        .value_kind:     hidden_dynamic_lds_size
    .group_segment_fixed_size: 0
    .kernarg_segment_align: 8
    .kernarg_segment_size: 1952
    .language:       OpenCL C
    .language_version:
      - 2
      - 0
    .max_flat_workgroup_size: 512
    .name:           _ZN2at4cuda17kernelHistogram1DIlilLi1ELi2ELin1ELNS0_23CUDAHistogramMemoryTypeE0EZNS0_21CUDA_tensor_histogramIliLb0EEEbNS_6TensorES4_S4_lNS_14AccumulateTypeIT0_Lb1EE4typeES8_NS0_13TensorArgTypeES9_S9_EUllE_EEvNS0_6detail10TensorInfoIT_T1_EESF_NSC_IKS6_SE_EElS8_S8_SE_T6_
    .private_segment_fixed_size: 0
    .sgpr_count:     60
    .sgpr_spill_count: 0
    .symbol:         _ZN2at4cuda17kernelHistogram1DIlilLi1ELi2ELin1ELNS0_23CUDAHistogramMemoryTypeE0EZNS0_21CUDA_tensor_histogramIliLb0EEEbNS_6TensorES4_S4_lNS_14AccumulateTypeIT0_Lb1EE4typeES8_NS0_13TensorArgTypeES9_S9_EUllE_EEvNS0_6detail10TensorInfoIT_T1_EESF_NSC_IKS6_SE_EElS8_S8_SE_T6_.kd
    .uniform_work_group_size: 1
    .uses_dynamic_stack: false
    .vgpr_count:     24
    .vgpr_spill_count: 0
    .wavefront_size: 64
  - .args:
      - .offset:         0
        .size:           416
        .value_kind:     by_value
      - .offset:         416
        .size:           416
        .value_kind:     by_value
      - .offset:         832
        .size:           416
        .value_kind:     by_value
      - .offset:         1248
        .size:           8
        .value_kind:     by_value
      - .offset:         1256
        .size:           8
        .value_kind:     by_value
      - .offset:         1264
        .size:           8
        .value_kind:     by_value
      - .offset:         1272
        .size:           8
        .value_kind:     by_value
      - .offset:         1280
        .size:           416
        .value_kind:     by_value
      - .offset:         1696
        .size:           4
        .value_kind:     hidden_block_count_x
      - .offset:         1700
        .size:           4
        .value_kind:     hidden_block_count_y
      - .offset:         1704
        .size:           4
        .value_kind:     hidden_block_count_z
      - .offset:         1708
        .size:           2
        .value_kind:     hidden_group_size_x
      - .offset:         1710
        .size:           2
        .value_kind:     hidden_group_size_y
      - .offset:         1712
        .size:           2
        .value_kind:     hidden_group_size_z
      - .offset:         1714
        .size:           2
        .value_kind:     hidden_remainder_x
      - .offset:         1716
        .size:           2
        .value_kind:     hidden_remainder_y
      - .offset:         1718
        .size:           2
        .value_kind:     hidden_remainder_z
      - .offset:         1736
        .size:           8
        .value_kind:     hidden_global_offset_x
      - .offset:         1744
        .size:           8
        .value_kind:     hidden_global_offset_y
      - .offset:         1752
        .size:           8
        .value_kind:     hidden_global_offset_z
      - .offset:         1760
        .size:           2
        .value_kind:     hidden_grid_dims
    .group_segment_fixed_size: 0
    .kernarg_segment_align: 8
    .kernarg_segment_size: 1952
    .language:       OpenCL C
    .language_version:
      - 2
      - 0
    .max_flat_workgroup_size: 512
    .name:           _ZN2at4cuda17kernelHistogram1DIlilLi1ELi2ELin1ELNS0_23CUDAHistogramMemoryTypeE1EZNS0_21CUDA_tensor_histogramIliLb0EEEbNS_6TensorES4_S4_lNS_14AccumulateTypeIT0_Lb1EE4typeES8_NS0_13TensorArgTypeES9_S9_EUllE_EEvNS0_6detail10TensorInfoIT_T1_EESF_NSC_IKS6_SE_EElS8_S8_SE_T6_
    .private_segment_fixed_size: 0
    .sgpr_count:     55
    .sgpr_spill_count: 0
    .symbol:         _ZN2at4cuda17kernelHistogram1DIlilLi1ELi2ELin1ELNS0_23CUDAHistogramMemoryTypeE1EZNS0_21CUDA_tensor_histogramIliLb0EEEbNS_6TensorES4_S4_lNS_14AccumulateTypeIT0_Lb1EE4typeES8_NS0_13TensorArgTypeES9_S9_EUllE_EEvNS0_6detail10TensorInfoIT_T1_EESF_NSC_IKS6_SE_EElS8_S8_SE_T6_.kd
    .uniform_work_group_size: 1
    .uses_dynamic_stack: false
    .vgpr_count:     18
    .vgpr_spill_count: 0
    .wavefront_size: 64
  - .args:
      - .offset:         0
        .size:           416
        .value_kind:     by_value
      - .offset:         416
        .size:           416
        .value_kind:     by_value
      - .offset:         832
        .size:           416
        .value_kind:     by_value
      - .offset:         1248
        .size:           8
        .value_kind:     by_value
      - .offset:         1256
        .size:           8
        .value_kind:     by_value
      - .offset:         1264
        .size:           8
        .value_kind:     by_value
      - .offset:         1272
        .size:           8
        .value_kind:     by_value
      - .offset:         1280
        .size:           1
        .value_kind:     by_value
      - .offset:         1288
        .size:           4
        .value_kind:     hidden_block_count_x
      - .offset:         1292
        .size:           4
        .value_kind:     hidden_block_count_y
      - .offset:         1296
        .size:           4
        .value_kind:     hidden_block_count_z
      - .offset:         1300
        .size:           2
        .value_kind:     hidden_group_size_x
      - .offset:         1302
        .size:           2
        .value_kind:     hidden_group_size_y
      - .offset:         1304
        .size:           2
        .value_kind:     hidden_group_size_z
      - .offset:         1306
        .size:           2
        .value_kind:     hidden_remainder_x
      - .offset:         1308
        .size:           2
        .value_kind:     hidden_remainder_y
      - .offset:         1310
        .size:           2
        .value_kind:     hidden_remainder_z
      - .offset:         1328
        .size:           8
        .value_kind:     hidden_global_offset_x
      - .offset:         1336
        .size:           8
        .value_kind:     hidden_global_offset_y
      - .offset:         1344
        .size:           8
        .value_kind:     hidden_global_offset_z
      - .offset:         1352
        .size:           2
        .value_kind:     hidden_grid_dims
      - .offset:         1408
        .size:           4
        .value_kind:     hidden_dynamic_lds_size
    .group_segment_fixed_size: 0
    .kernarg_segment_align: 8
    .kernarg_segment_size: 1544
    .language:       OpenCL C
    .language_version:
      - 2
      - 0
    .max_flat_workgroup_size: 512
    .name:           _ZN2at4cuda17kernelHistogram1DIlilLi1ELi2ELin1ELNS0_23CUDAHistogramMemoryTypeE0EZNS0_21CUDA_tensor_histogramIliLb0EEEbNS_6TensorES4_S4_lNS_14AccumulateTypeIT0_Lb1EE4typeES8_NS0_13TensorArgTypeES9_S9_EUllE0_EEvNS0_6detail10TensorInfoIT_T1_EESF_NSC_IKS6_SE_EElS8_S8_SE_T6_
    .private_segment_fixed_size: 0
    .sgpr_count:     56
    .sgpr_spill_count: 0
    .symbol:         _ZN2at4cuda17kernelHistogram1DIlilLi1ELi2ELin1ELNS0_23CUDAHistogramMemoryTypeE0EZNS0_21CUDA_tensor_histogramIliLb0EEEbNS_6TensorES4_S4_lNS_14AccumulateTypeIT0_Lb1EE4typeES8_NS0_13TensorArgTypeES9_S9_EUllE0_EEvNS0_6detail10TensorInfoIT_T1_EESF_NSC_IKS6_SE_EElS8_S8_SE_T6_.kd
    .uniform_work_group_size: 1
    .uses_dynamic_stack: false
    .vgpr_count:     24
    .vgpr_spill_count: 0
    .wavefront_size: 64
  - .args:
      - .offset:         0
        .size:           416
        .value_kind:     by_value
      - .offset:         416
        .size:           416
        .value_kind:     by_value
      - .offset:         832
        .size:           416
        .value_kind:     by_value
      - .offset:         1248
        .size:           8
        .value_kind:     by_value
      - .offset:         1256
        .size:           8
        .value_kind:     by_value
      - .offset:         1264
        .size:           8
        .value_kind:     by_value
      - .offset:         1272
        .size:           8
        .value_kind:     by_value
      - .offset:         1280
        .size:           1
        .value_kind:     by_value
      - .offset:         1288
        .size:           4
        .value_kind:     hidden_block_count_x
      - .offset:         1292
        .size:           4
        .value_kind:     hidden_block_count_y
      - .offset:         1296
        .size:           4
        .value_kind:     hidden_block_count_z
      - .offset:         1300
        .size:           2
        .value_kind:     hidden_group_size_x
      - .offset:         1302
        .size:           2
        .value_kind:     hidden_group_size_y
      - .offset:         1304
        .size:           2
        .value_kind:     hidden_group_size_z
      - .offset:         1306
        .size:           2
        .value_kind:     hidden_remainder_x
      - .offset:         1308
        .size:           2
        .value_kind:     hidden_remainder_y
      - .offset:         1310
        .size:           2
        .value_kind:     hidden_remainder_z
      - .offset:         1328
        .size:           8
        .value_kind:     hidden_global_offset_x
      - .offset:         1336
        .size:           8
        .value_kind:     hidden_global_offset_y
      - .offset:         1344
        .size:           8
        .value_kind:     hidden_global_offset_z
      - .offset:         1352
        .size:           2
        .value_kind:     hidden_grid_dims
    .group_segment_fixed_size: 0
    .kernarg_segment_align: 8
    .kernarg_segment_size: 1544
    .language:       OpenCL C
    .language_version:
      - 2
      - 0
    .max_flat_workgroup_size: 512
    .name:           _ZN2at4cuda17kernelHistogram1DIlilLi1ELi2ELin1ELNS0_23CUDAHistogramMemoryTypeE1EZNS0_21CUDA_tensor_histogramIliLb0EEEbNS_6TensorES4_S4_lNS_14AccumulateTypeIT0_Lb1EE4typeES8_NS0_13TensorArgTypeES9_S9_EUllE0_EEvNS0_6detail10TensorInfoIT_T1_EESF_NSC_IKS6_SE_EElS8_S8_SE_T6_
    .private_segment_fixed_size: 0
    .sgpr_count:     51
    .sgpr_spill_count: 0
    .symbol:         _ZN2at4cuda17kernelHistogram1DIlilLi1ELi2ELin1ELNS0_23CUDAHistogramMemoryTypeE1EZNS0_21CUDA_tensor_histogramIliLb0EEEbNS_6TensorES4_S4_lNS_14AccumulateTypeIT0_Lb1EE4typeES8_NS0_13TensorArgTypeES9_S9_EUllE0_EEvNS0_6detail10TensorInfoIT_T1_EESF_NSC_IKS6_SE_EElS8_S8_SE_T6_.kd
    .uniform_work_group_size: 1
    .uses_dynamic_stack: false
    .vgpr_count:     20
    .vgpr_spill_count: 0
    .wavefront_size: 64
  - .args:
      - .offset:         0
        .size:           416
        .value_kind:     by_value
      - .offset:         416
        .size:           416
        .value_kind:     by_value
      - .offset:         832
        .size:           416
        .value_kind:     by_value
      - .offset:         1248
        .size:           8
        .value_kind:     by_value
      - .offset:         1256
        .size:           8
        .value_kind:     by_value
      - .offset:         1264
        .size:           8
        .value_kind:     by_value
      - .offset:         1272
        .size:           8
        .value_kind:     by_value
      - .offset:         1280
        .size:           416
        .value_kind:     by_value
      - .offset:         1696
        .size:           4
        .value_kind:     hidden_block_count_x
      - .offset:         1700
        .size:           4
        .value_kind:     hidden_block_count_y
      - .offset:         1704
        .size:           4
        .value_kind:     hidden_block_count_z
      - .offset:         1708
        .size:           2
        .value_kind:     hidden_group_size_x
      - .offset:         1710
        .size:           2
        .value_kind:     hidden_group_size_y
      - .offset:         1712
        .size:           2
        .value_kind:     hidden_group_size_z
      - .offset:         1714
        .size:           2
        .value_kind:     hidden_remainder_x
      - .offset:         1716
        .size:           2
        .value_kind:     hidden_remainder_y
      - .offset:         1718
        .size:           2
        .value_kind:     hidden_remainder_z
      - .offset:         1736
        .size:           8
        .value_kind:     hidden_global_offset_x
      - .offset:         1744
        .size:           8
        .value_kind:     hidden_global_offset_y
      - .offset:         1752
        .size:           8
        .value_kind:     hidden_global_offset_z
      - .offset:         1760
        .size:           2
        .value_kind:     hidden_grid_dims
      - .offset:         1816
        .size:           4
        .value_kind:     hidden_dynamic_lds_size
    .group_segment_fixed_size: 0
    .kernarg_segment_align: 8
    .kernarg_segment_size: 1952
    .language:       OpenCL C
    .language_version:
      - 2
      - 0
    .max_flat_workgroup_size: 512
    .name:           _ZN2at4cuda17kernelHistogram1DIdilLi1ELi2ELin1ELNS0_23CUDAHistogramMemoryTypeE0EZNS0_21CUDA_tensor_histogramIdiLb1EEEbNS_6TensorES4_S4_lNS_14AccumulateTypeIT0_Lb1EE4typeES8_NS0_13TensorArgTypeES9_S9_EUllE_EEvNS0_6detail10TensorInfoIT_T1_EESF_NSC_IKS6_SE_EElS8_S8_SE_T6_
    .private_segment_fixed_size: 0
    .sgpr_count:     60
    .sgpr_spill_count: 0
    .symbol:         _ZN2at4cuda17kernelHistogram1DIdilLi1ELi2ELin1ELNS0_23CUDAHistogramMemoryTypeE0EZNS0_21CUDA_tensor_histogramIdiLb1EEEbNS_6TensorES4_S4_lNS_14AccumulateTypeIT0_Lb1EE4typeES8_NS0_13TensorArgTypeES9_S9_EUllE_EEvNS0_6detail10TensorInfoIT_T1_EESF_NSC_IKS6_SE_EElS8_S8_SE_T6_.kd
    .uniform_work_group_size: 1
    .uses_dynamic_stack: false
    .vgpr_count:     22
    .vgpr_spill_count: 0
    .wavefront_size: 64
  - .args:
      - .offset:         0
        .size:           416
        .value_kind:     by_value
      - .offset:         416
        .size:           416
        .value_kind:     by_value
      - .offset:         832
        .size:           416
        .value_kind:     by_value
      - .offset:         1248
        .size:           8
        .value_kind:     by_value
      - .offset:         1256
        .size:           8
        .value_kind:     by_value
      - .offset:         1264
        .size:           8
        .value_kind:     by_value
      - .offset:         1272
        .size:           8
        .value_kind:     by_value
      - .offset:         1280
        .size:           416
        .value_kind:     by_value
      - .offset:         1696
        .size:           4
        .value_kind:     hidden_block_count_x
      - .offset:         1700
        .size:           4
        .value_kind:     hidden_block_count_y
      - .offset:         1704
        .size:           4
        .value_kind:     hidden_block_count_z
      - .offset:         1708
        .size:           2
        .value_kind:     hidden_group_size_x
      - .offset:         1710
        .size:           2
        .value_kind:     hidden_group_size_y
      - .offset:         1712
        .size:           2
        .value_kind:     hidden_group_size_z
      - .offset:         1714
        .size:           2
        .value_kind:     hidden_remainder_x
      - .offset:         1716
        .size:           2
        .value_kind:     hidden_remainder_y
      - .offset:         1718
        .size:           2
        .value_kind:     hidden_remainder_z
      - .offset:         1736
        .size:           8
        .value_kind:     hidden_global_offset_x
      - .offset:         1744
        .size:           8
        .value_kind:     hidden_global_offset_y
      - .offset:         1752
        .size:           8
        .value_kind:     hidden_global_offset_z
      - .offset:         1760
        .size:           2
        .value_kind:     hidden_grid_dims
    .group_segment_fixed_size: 0
    .kernarg_segment_align: 8
    .kernarg_segment_size: 1952
    .language:       OpenCL C
    .language_version:
      - 2
      - 0
    .max_flat_workgroup_size: 512
    .name:           _ZN2at4cuda17kernelHistogram1DIdilLi1ELi2ELin1ELNS0_23CUDAHistogramMemoryTypeE1EZNS0_21CUDA_tensor_histogramIdiLb1EEEbNS_6TensorES4_S4_lNS_14AccumulateTypeIT0_Lb1EE4typeES8_NS0_13TensorArgTypeES9_S9_EUllE_EEvNS0_6detail10TensorInfoIT_T1_EESF_NSC_IKS6_SE_EElS8_S8_SE_T6_
    .private_segment_fixed_size: 0
    .sgpr_count:     55
    .sgpr_spill_count: 0
    .symbol:         _ZN2at4cuda17kernelHistogram1DIdilLi1ELi2ELin1ELNS0_23CUDAHistogramMemoryTypeE1EZNS0_21CUDA_tensor_histogramIdiLb1EEEbNS_6TensorES4_S4_lNS_14AccumulateTypeIT0_Lb1EE4typeES8_NS0_13TensorArgTypeES9_S9_EUllE_EEvNS0_6detail10TensorInfoIT_T1_EESF_NSC_IKS6_SE_EElS8_S8_SE_T6_.kd
    .uniform_work_group_size: 1
    .uses_dynamic_stack: false
    .vgpr_count:     18
    .vgpr_spill_count: 0
    .wavefront_size: 64
  - .args:
      - .offset:         0
        .size:           416
        .value_kind:     by_value
      - .offset:         416
        .size:           416
        .value_kind:     by_value
      - .offset:         832
        .size:           416
        .value_kind:     by_value
      - .offset:         1248
        .size:           8
        .value_kind:     by_value
      - .offset:         1256
        .size:           8
        .value_kind:     by_value
      - .offset:         1264
        .size:           8
        .value_kind:     by_value
      - .offset:         1272
        .size:           8
        .value_kind:     by_value
      - .offset:         1280
        .size:           1
        .value_kind:     by_value
      - .offset:         1288
        .size:           4
        .value_kind:     hidden_block_count_x
      - .offset:         1292
        .size:           4
        .value_kind:     hidden_block_count_y
      - .offset:         1296
        .size:           4
        .value_kind:     hidden_block_count_z
      - .offset:         1300
        .size:           2
        .value_kind:     hidden_group_size_x
      - .offset:         1302
        .size:           2
        .value_kind:     hidden_group_size_y
      - .offset:         1304
        .size:           2
        .value_kind:     hidden_group_size_z
      - .offset:         1306
        .size:           2
        .value_kind:     hidden_remainder_x
      - .offset:         1308
        .size:           2
        .value_kind:     hidden_remainder_y
      - .offset:         1310
        .size:           2
        .value_kind:     hidden_remainder_z
      - .offset:         1328
        .size:           8
        .value_kind:     hidden_global_offset_x
      - .offset:         1336
        .size:           8
        .value_kind:     hidden_global_offset_y
      - .offset:         1344
        .size:           8
        .value_kind:     hidden_global_offset_z
      - .offset:         1352
        .size:           2
        .value_kind:     hidden_grid_dims
      - .offset:         1408
        .size:           4
        .value_kind:     hidden_dynamic_lds_size
    .group_segment_fixed_size: 0
    .kernarg_segment_align: 8
    .kernarg_segment_size: 1544
    .language:       OpenCL C
    .language_version:
      - 2
      - 0
    .max_flat_workgroup_size: 512
    .name:           _ZN2at4cuda17kernelHistogram1DIdilLi1ELi2ELin1ELNS0_23CUDAHistogramMemoryTypeE0EZNS0_21CUDA_tensor_histogramIdiLb1EEEbNS_6TensorES4_S4_lNS_14AccumulateTypeIT0_Lb1EE4typeES8_NS0_13TensorArgTypeES9_S9_EUllE0_EEvNS0_6detail10TensorInfoIT_T1_EESF_NSC_IKS6_SE_EElS8_S8_SE_T6_
    .private_segment_fixed_size: 0
    .sgpr_count:     56
    .sgpr_spill_count: 0
    .symbol:         _ZN2at4cuda17kernelHistogram1DIdilLi1ELi2ELin1ELNS0_23CUDAHistogramMemoryTypeE0EZNS0_21CUDA_tensor_histogramIdiLb1EEEbNS_6TensorES4_S4_lNS_14AccumulateTypeIT0_Lb1EE4typeES8_NS0_13TensorArgTypeES9_S9_EUllE0_EEvNS0_6detail10TensorInfoIT_T1_EESF_NSC_IKS6_SE_EElS8_S8_SE_T6_.kd
    .uniform_work_group_size: 1
    .uses_dynamic_stack: false
    .vgpr_count:     22
    .vgpr_spill_count: 0
    .wavefront_size: 64
  - .args:
      - .offset:         0
        .size:           416
        .value_kind:     by_value
      - .offset:         416
        .size:           416
        .value_kind:     by_value
      - .offset:         832
        .size:           416
        .value_kind:     by_value
      - .offset:         1248
        .size:           8
        .value_kind:     by_value
      - .offset:         1256
        .size:           8
        .value_kind:     by_value
      - .offset:         1264
        .size:           8
        .value_kind:     by_value
      - .offset:         1272
        .size:           8
        .value_kind:     by_value
      - .offset:         1280
        .size:           1
        .value_kind:     by_value
      - .offset:         1288
        .size:           4
        .value_kind:     hidden_block_count_x
      - .offset:         1292
        .size:           4
        .value_kind:     hidden_block_count_y
      - .offset:         1296
        .size:           4
        .value_kind:     hidden_block_count_z
      - .offset:         1300
        .size:           2
        .value_kind:     hidden_group_size_x
      - .offset:         1302
        .size:           2
        .value_kind:     hidden_group_size_y
      - .offset:         1304
        .size:           2
        .value_kind:     hidden_group_size_z
      - .offset:         1306
        .size:           2
        .value_kind:     hidden_remainder_x
      - .offset:         1308
        .size:           2
        .value_kind:     hidden_remainder_y
      - .offset:         1310
        .size:           2
        .value_kind:     hidden_remainder_z
      - .offset:         1328
        .size:           8
        .value_kind:     hidden_global_offset_x
      - .offset:         1336
        .size:           8
        .value_kind:     hidden_global_offset_y
      - .offset:         1344
        .size:           8
        .value_kind:     hidden_global_offset_z
      - .offset:         1352
        .size:           2
        .value_kind:     hidden_grid_dims
    .group_segment_fixed_size: 0
    .kernarg_segment_align: 8
    .kernarg_segment_size: 1544
    .language:       OpenCL C
    .language_version:
      - 2
      - 0
    .max_flat_workgroup_size: 512
    .name:           _ZN2at4cuda17kernelHistogram1DIdilLi1ELi2ELin1ELNS0_23CUDAHistogramMemoryTypeE1EZNS0_21CUDA_tensor_histogramIdiLb1EEEbNS_6TensorES4_S4_lNS_14AccumulateTypeIT0_Lb1EE4typeES8_NS0_13TensorArgTypeES9_S9_EUllE0_EEvNS0_6detail10TensorInfoIT_T1_EESF_NSC_IKS6_SE_EElS8_S8_SE_T6_
    .private_segment_fixed_size: 0
    .sgpr_count:     51
    .sgpr_spill_count: 0
    .symbol:         _ZN2at4cuda17kernelHistogram1DIdilLi1ELi2ELin1ELNS0_23CUDAHistogramMemoryTypeE1EZNS0_21CUDA_tensor_histogramIdiLb1EEEbNS_6TensorES4_S4_lNS_14AccumulateTypeIT0_Lb1EE4typeES8_NS0_13TensorArgTypeES9_S9_EUllE0_EEvNS0_6detail10TensorInfoIT_T1_EESF_NSC_IKS6_SE_EElS8_S8_SE_T6_.kd
    .uniform_work_group_size: 1
    .uses_dynamic_stack: false
    .vgpr_count:     18
    .vgpr_spill_count: 0
    .wavefront_size: 64
  - .args:
      - .offset:         0
        .size:           416
        .value_kind:     by_value
      - .offset:         416
        .size:           416
        .value_kind:     by_value
      - .offset:         832
        .size:           416
        .value_kind:     by_value
      - .offset:         1248
        .size:           8
        .value_kind:     by_value
      - .offset:         1256
        .size:           8
        .value_kind:     by_value
      - .offset:         1264
        .size:           8
        .value_kind:     by_value
      - .offset:         1272
        .size:           8
        .value_kind:     by_value
      - .offset:         1280
        .size:           416
        .value_kind:     by_value
      - .offset:         1696
        .size:           4
        .value_kind:     hidden_block_count_x
      - .offset:         1700
        .size:           4
        .value_kind:     hidden_block_count_y
      - .offset:         1704
        .size:           4
        .value_kind:     hidden_block_count_z
      - .offset:         1708
        .size:           2
        .value_kind:     hidden_group_size_x
      - .offset:         1710
        .size:           2
        .value_kind:     hidden_group_size_y
      - .offset:         1712
        .size:           2
        .value_kind:     hidden_group_size_z
      - .offset:         1714
        .size:           2
        .value_kind:     hidden_remainder_x
      - .offset:         1716
        .size:           2
        .value_kind:     hidden_remainder_y
      - .offset:         1718
        .size:           2
        .value_kind:     hidden_remainder_z
      - .offset:         1736
        .size:           8
        .value_kind:     hidden_global_offset_x
      - .offset:         1744
        .size:           8
        .value_kind:     hidden_global_offset_y
      - .offset:         1752
        .size:           8
        .value_kind:     hidden_global_offset_z
      - .offset:         1760
        .size:           2
        .value_kind:     hidden_grid_dims
      - .offset:         1816
        .size:           4
        .value_kind:     hidden_dynamic_lds_size
    .group_segment_fixed_size: 0
    .kernarg_segment_align: 8
    .kernarg_segment_size: 1952
    .language:       OpenCL C
    .language_version:
      - 2
      - 0
    .max_flat_workgroup_size: 512
    .name:           _ZN2at4cuda17kernelHistogram1DIfllLi1ELi2ELin1ELNS0_23CUDAHistogramMemoryTypeE0EZNS0_21CUDA_tensor_histogramIflLb1EEEbNS_6TensorES4_S4_lNS_14AccumulateTypeIT0_Lb1EE4typeES8_NS0_13TensorArgTypeES9_S9_EUllE_EEvNS0_6detail10TensorInfoIT_T1_EESF_NSC_IKS6_SE_EElS8_S8_SE_T6_
    .private_segment_fixed_size: 0
    .sgpr_count:     60
    .sgpr_spill_count: 0
    .symbol:         _ZN2at4cuda17kernelHistogram1DIfllLi1ELi2ELin1ELNS0_23CUDAHistogramMemoryTypeE0EZNS0_21CUDA_tensor_histogramIflLb1EEEbNS_6TensorES4_S4_lNS_14AccumulateTypeIT0_Lb1EE4typeES8_NS0_13TensorArgTypeES9_S9_EUllE_EEvNS0_6detail10TensorInfoIT_T1_EESF_NSC_IKS6_SE_EElS8_S8_SE_T6_.kd
    .uniform_work_group_size: 1
    .uses_dynamic_stack: false
    .vgpr_count:     22
    .vgpr_spill_count: 0
    .wavefront_size: 64
  - .args:
      - .offset:         0
        .size:           416
        .value_kind:     by_value
      - .offset:         416
        .size:           416
        .value_kind:     by_value
      - .offset:         832
        .size:           416
        .value_kind:     by_value
      - .offset:         1248
        .size:           8
        .value_kind:     by_value
      - .offset:         1256
        .size:           8
        .value_kind:     by_value
      - .offset:         1264
        .size:           8
        .value_kind:     by_value
      - .offset:         1272
        .size:           8
        .value_kind:     by_value
      - .offset:         1280
        .size:           416
        .value_kind:     by_value
      - .offset:         1696
        .size:           4
        .value_kind:     hidden_block_count_x
      - .offset:         1700
        .size:           4
        .value_kind:     hidden_block_count_y
      - .offset:         1704
        .size:           4
        .value_kind:     hidden_block_count_z
      - .offset:         1708
        .size:           2
        .value_kind:     hidden_group_size_x
      - .offset:         1710
        .size:           2
        .value_kind:     hidden_group_size_y
      - .offset:         1712
        .size:           2
        .value_kind:     hidden_group_size_z
      - .offset:         1714
        .size:           2
        .value_kind:     hidden_remainder_x
      - .offset:         1716
        .size:           2
        .value_kind:     hidden_remainder_y
      - .offset:         1718
        .size:           2
        .value_kind:     hidden_remainder_z
      - .offset:         1736
        .size:           8
        .value_kind:     hidden_global_offset_x
      - .offset:         1744
        .size:           8
        .value_kind:     hidden_global_offset_y
      - .offset:         1752
        .size:           8
        .value_kind:     hidden_global_offset_z
      - .offset:         1760
        .size:           2
        .value_kind:     hidden_grid_dims
    .group_segment_fixed_size: 0
    .kernarg_segment_align: 8
    .kernarg_segment_size: 1952
    .language:       OpenCL C
    .language_version:
      - 2
      - 0
    .max_flat_workgroup_size: 512
    .name:           _ZN2at4cuda17kernelHistogram1DIfllLi1ELi2ELin1ELNS0_23CUDAHistogramMemoryTypeE1EZNS0_21CUDA_tensor_histogramIflLb1EEEbNS_6TensorES4_S4_lNS_14AccumulateTypeIT0_Lb1EE4typeES8_NS0_13TensorArgTypeES9_S9_EUllE_EEvNS0_6detail10TensorInfoIT_T1_EESF_NSC_IKS6_SE_EElS8_S8_SE_T6_
    .private_segment_fixed_size: 0
    .sgpr_count:     55
    .sgpr_spill_count: 0
    .symbol:         _ZN2at4cuda17kernelHistogram1DIfllLi1ELi2ELin1ELNS0_23CUDAHistogramMemoryTypeE1EZNS0_21CUDA_tensor_histogramIflLb1EEEbNS_6TensorES4_S4_lNS_14AccumulateTypeIT0_Lb1EE4typeES8_NS0_13TensorArgTypeES9_S9_EUllE_EEvNS0_6detail10TensorInfoIT_T1_EESF_NSC_IKS6_SE_EElS8_S8_SE_T6_.kd
    .uniform_work_group_size: 1
    .uses_dynamic_stack: false
    .vgpr_count:     18
    .vgpr_spill_count: 0
    .wavefront_size: 64
  - .args:
      - .offset:         0
        .size:           416
        .value_kind:     by_value
      - .offset:         416
        .size:           416
        .value_kind:     by_value
      - .offset:         832
        .size:           416
        .value_kind:     by_value
      - .offset:         1248
        .size:           8
        .value_kind:     by_value
      - .offset:         1256
        .size:           8
        .value_kind:     by_value
      - .offset:         1264
        .size:           8
        .value_kind:     by_value
      - .offset:         1272
        .size:           8
        .value_kind:     by_value
      - .offset:         1280
        .size:           1
        .value_kind:     by_value
      - .offset:         1288
        .size:           4
        .value_kind:     hidden_block_count_x
      - .offset:         1292
        .size:           4
        .value_kind:     hidden_block_count_y
      - .offset:         1296
        .size:           4
        .value_kind:     hidden_block_count_z
      - .offset:         1300
        .size:           2
        .value_kind:     hidden_group_size_x
      - .offset:         1302
        .size:           2
        .value_kind:     hidden_group_size_y
      - .offset:         1304
        .size:           2
        .value_kind:     hidden_group_size_z
      - .offset:         1306
        .size:           2
        .value_kind:     hidden_remainder_x
      - .offset:         1308
        .size:           2
        .value_kind:     hidden_remainder_y
      - .offset:         1310
        .size:           2
        .value_kind:     hidden_remainder_z
      - .offset:         1328
        .size:           8
        .value_kind:     hidden_global_offset_x
      - .offset:         1336
        .size:           8
        .value_kind:     hidden_global_offset_y
      - .offset:         1344
        .size:           8
        .value_kind:     hidden_global_offset_z
      - .offset:         1352
        .size:           2
        .value_kind:     hidden_grid_dims
      - .offset:         1408
        .size:           4
        .value_kind:     hidden_dynamic_lds_size
    .group_segment_fixed_size: 0
    .kernarg_segment_align: 8
    .kernarg_segment_size: 1544
    .language:       OpenCL C
    .language_version:
      - 2
      - 0
    .max_flat_workgroup_size: 512
    .name:           _ZN2at4cuda17kernelHistogram1DIfllLi1ELi2ELin1ELNS0_23CUDAHistogramMemoryTypeE0EZNS0_21CUDA_tensor_histogramIflLb1EEEbNS_6TensorES4_S4_lNS_14AccumulateTypeIT0_Lb1EE4typeES8_NS0_13TensorArgTypeES9_S9_EUllE0_EEvNS0_6detail10TensorInfoIT_T1_EESF_NSC_IKS6_SE_EElS8_S8_SE_T6_
    .private_segment_fixed_size: 0
    .sgpr_count:     56
    .sgpr_spill_count: 0
    .symbol:         _ZN2at4cuda17kernelHistogram1DIfllLi1ELi2ELin1ELNS0_23CUDAHistogramMemoryTypeE0EZNS0_21CUDA_tensor_histogramIflLb1EEEbNS_6TensorES4_S4_lNS_14AccumulateTypeIT0_Lb1EE4typeES8_NS0_13TensorArgTypeES9_S9_EUllE0_EEvNS0_6detail10TensorInfoIT_T1_EESF_NSC_IKS6_SE_EElS8_S8_SE_T6_.kd
    .uniform_work_group_size: 1
    .uses_dynamic_stack: false
    .vgpr_count:     23
    .vgpr_spill_count: 0
    .wavefront_size: 64
  - .args:
      - .offset:         0
        .size:           416
        .value_kind:     by_value
      - .offset:         416
        .size:           416
        .value_kind:     by_value
      - .offset:         832
        .size:           416
        .value_kind:     by_value
      - .offset:         1248
        .size:           8
        .value_kind:     by_value
      - .offset:         1256
        .size:           8
        .value_kind:     by_value
      - .offset:         1264
        .size:           8
        .value_kind:     by_value
      - .offset:         1272
        .size:           8
        .value_kind:     by_value
      - .offset:         1280
        .size:           1
        .value_kind:     by_value
      - .offset:         1288
        .size:           4
        .value_kind:     hidden_block_count_x
      - .offset:         1292
        .size:           4
        .value_kind:     hidden_block_count_y
      - .offset:         1296
        .size:           4
        .value_kind:     hidden_block_count_z
      - .offset:         1300
        .size:           2
        .value_kind:     hidden_group_size_x
      - .offset:         1302
        .size:           2
        .value_kind:     hidden_group_size_y
      - .offset:         1304
        .size:           2
        .value_kind:     hidden_group_size_z
      - .offset:         1306
        .size:           2
        .value_kind:     hidden_remainder_x
      - .offset:         1308
        .size:           2
        .value_kind:     hidden_remainder_y
      - .offset:         1310
        .size:           2
        .value_kind:     hidden_remainder_z
      - .offset:         1328
        .size:           8
        .value_kind:     hidden_global_offset_x
      - .offset:         1336
        .size:           8
        .value_kind:     hidden_global_offset_y
      - .offset:         1344
        .size:           8
        .value_kind:     hidden_global_offset_z
      - .offset:         1352
        .size:           2
        .value_kind:     hidden_grid_dims
    .group_segment_fixed_size: 0
    .kernarg_segment_align: 8
    .kernarg_segment_size: 1544
    .language:       OpenCL C
    .language_version:
      - 2
      - 0
    .max_flat_workgroup_size: 512
    .name:           _ZN2at4cuda17kernelHistogram1DIfllLi1ELi2ELin1ELNS0_23CUDAHistogramMemoryTypeE1EZNS0_21CUDA_tensor_histogramIflLb1EEEbNS_6TensorES4_S4_lNS_14AccumulateTypeIT0_Lb1EE4typeES8_NS0_13TensorArgTypeES9_S9_EUllE0_EEvNS0_6detail10TensorInfoIT_T1_EESF_NSC_IKS6_SE_EElS8_S8_SE_T6_
    .private_segment_fixed_size: 0
    .sgpr_count:     51
    .sgpr_spill_count: 0
    .symbol:         _ZN2at4cuda17kernelHistogram1DIfllLi1ELi2ELin1ELNS0_23CUDAHistogramMemoryTypeE1EZNS0_21CUDA_tensor_histogramIflLb1EEEbNS_6TensorES4_S4_lNS_14AccumulateTypeIT0_Lb1EE4typeES8_NS0_13TensorArgTypeES9_S9_EUllE0_EEvNS0_6detail10TensorInfoIT_T1_EESF_NSC_IKS6_SE_EElS8_S8_SE_T6_.kd
    .uniform_work_group_size: 1
    .uses_dynamic_stack: false
    .vgpr_count:     18
    .vgpr_spill_count: 0
    .wavefront_size: 64
  - .args:
      - .offset:         0
        .size:           416
        .value_kind:     by_value
      - .offset:         416
        .size:           416
        .value_kind:     by_value
      - .offset:         832
        .size:           416
        .value_kind:     by_value
      - .offset:         1248
        .size:           8
        .value_kind:     by_value
      - .offset:         1256
        .size:           8
        .value_kind:     by_value
      - .offset:         1264
        .size:           8
        .value_kind:     by_value
      - .offset:         1272
        .size:           8
        .value_kind:     by_value
      - .offset:         1280
        .size:           416
        .value_kind:     by_value
      - .offset:         1696
        .size:           4
        .value_kind:     hidden_block_count_x
      - .offset:         1700
        .size:           4
        .value_kind:     hidden_block_count_y
      - .offset:         1704
        .size:           4
        .value_kind:     hidden_block_count_z
      - .offset:         1708
        .size:           2
        .value_kind:     hidden_group_size_x
      - .offset:         1710
        .size:           2
        .value_kind:     hidden_group_size_y
      - .offset:         1712
        .size:           2
        .value_kind:     hidden_group_size_z
      - .offset:         1714
        .size:           2
        .value_kind:     hidden_remainder_x
      - .offset:         1716
        .size:           2
        .value_kind:     hidden_remainder_y
      - .offset:         1718
        .size:           2
        .value_kind:     hidden_remainder_z
      - .offset:         1736
        .size:           8
        .value_kind:     hidden_global_offset_x
      - .offset:         1744
        .size:           8
        .value_kind:     hidden_global_offset_y
      - .offset:         1752
        .size:           8
        .value_kind:     hidden_global_offset_z
      - .offset:         1760
        .size:           2
        .value_kind:     hidden_grid_dims
      - .offset:         1816
        .size:           4
        .value_kind:     hidden_dynamic_lds_size
    .group_segment_fixed_size: 0
    .kernarg_segment_align: 8
    .kernarg_segment_size: 1952
    .language:       OpenCL C
    .language_version:
      - 2
      - 0
    .max_flat_workgroup_size: 512
    .name:           _ZN2at4cuda17kernelHistogram1DIlllLi1ELi2ELin1ELNS0_23CUDAHistogramMemoryTypeE0EZNS0_21CUDA_tensor_histogramIllLb0EEEbNS_6TensorES4_S4_lNS_14AccumulateTypeIT0_Lb1EE4typeES8_NS0_13TensorArgTypeES9_S9_EUllE_EEvNS0_6detail10TensorInfoIT_T1_EESF_NSC_IKS6_SE_EElS8_S8_SE_T6_
    .private_segment_fixed_size: 0
    .sgpr_count:     60
    .sgpr_spill_count: 0
    .symbol:         _ZN2at4cuda17kernelHistogram1DIlllLi1ELi2ELin1ELNS0_23CUDAHistogramMemoryTypeE0EZNS0_21CUDA_tensor_histogramIllLb0EEEbNS_6TensorES4_S4_lNS_14AccumulateTypeIT0_Lb1EE4typeES8_NS0_13TensorArgTypeES9_S9_EUllE_EEvNS0_6detail10TensorInfoIT_T1_EESF_NSC_IKS6_SE_EElS8_S8_SE_T6_.kd
    .uniform_work_group_size: 1
    .uses_dynamic_stack: false
    .vgpr_count:     24
    .vgpr_spill_count: 0
    .wavefront_size: 64
  - .args:
      - .offset:         0
        .size:           416
        .value_kind:     by_value
      - .offset:         416
        .size:           416
        .value_kind:     by_value
      - .offset:         832
        .size:           416
        .value_kind:     by_value
      - .offset:         1248
        .size:           8
        .value_kind:     by_value
      - .offset:         1256
        .size:           8
        .value_kind:     by_value
      - .offset:         1264
        .size:           8
        .value_kind:     by_value
      - .offset:         1272
        .size:           8
        .value_kind:     by_value
      - .offset:         1280
        .size:           416
        .value_kind:     by_value
      - .offset:         1696
        .size:           4
        .value_kind:     hidden_block_count_x
      - .offset:         1700
        .size:           4
        .value_kind:     hidden_block_count_y
      - .offset:         1704
        .size:           4
        .value_kind:     hidden_block_count_z
      - .offset:         1708
        .size:           2
        .value_kind:     hidden_group_size_x
      - .offset:         1710
        .size:           2
        .value_kind:     hidden_group_size_y
      - .offset:         1712
        .size:           2
        .value_kind:     hidden_group_size_z
      - .offset:         1714
        .size:           2
        .value_kind:     hidden_remainder_x
      - .offset:         1716
        .size:           2
        .value_kind:     hidden_remainder_y
      - .offset:         1718
        .size:           2
        .value_kind:     hidden_remainder_z
      - .offset:         1736
        .size:           8
        .value_kind:     hidden_global_offset_x
      - .offset:         1744
        .size:           8
        .value_kind:     hidden_global_offset_y
      - .offset:         1752
        .size:           8
        .value_kind:     hidden_global_offset_z
      - .offset:         1760
        .size:           2
        .value_kind:     hidden_grid_dims
    .group_segment_fixed_size: 0
    .kernarg_segment_align: 8
    .kernarg_segment_size: 1952
    .language:       OpenCL C
    .language_version:
      - 2
      - 0
    .max_flat_workgroup_size: 512
    .name:           _ZN2at4cuda17kernelHistogram1DIlllLi1ELi2ELin1ELNS0_23CUDAHistogramMemoryTypeE1EZNS0_21CUDA_tensor_histogramIllLb0EEEbNS_6TensorES4_S4_lNS_14AccumulateTypeIT0_Lb1EE4typeES8_NS0_13TensorArgTypeES9_S9_EUllE_EEvNS0_6detail10TensorInfoIT_T1_EESF_NSC_IKS6_SE_EElS8_S8_SE_T6_
    .private_segment_fixed_size: 0
    .sgpr_count:     55
    .sgpr_spill_count: 0
    .symbol:         _ZN2at4cuda17kernelHistogram1DIlllLi1ELi2ELin1ELNS0_23CUDAHistogramMemoryTypeE1EZNS0_21CUDA_tensor_histogramIllLb0EEEbNS_6TensorES4_S4_lNS_14AccumulateTypeIT0_Lb1EE4typeES8_NS0_13TensorArgTypeES9_S9_EUllE_EEvNS0_6detail10TensorInfoIT_T1_EESF_NSC_IKS6_SE_EElS8_S8_SE_T6_.kd
    .uniform_work_group_size: 1
    .uses_dynamic_stack: false
    .vgpr_count:     18
    .vgpr_spill_count: 0
    .wavefront_size: 64
  - .args:
      - .offset:         0
        .size:           416
        .value_kind:     by_value
      - .offset:         416
        .size:           416
        .value_kind:     by_value
      - .offset:         832
        .size:           416
        .value_kind:     by_value
      - .offset:         1248
        .size:           8
        .value_kind:     by_value
      - .offset:         1256
        .size:           8
        .value_kind:     by_value
      - .offset:         1264
        .size:           8
        .value_kind:     by_value
      - .offset:         1272
        .size:           8
        .value_kind:     by_value
      - .offset:         1280
        .size:           1
        .value_kind:     by_value
      - .offset:         1288
        .size:           4
        .value_kind:     hidden_block_count_x
      - .offset:         1292
        .size:           4
        .value_kind:     hidden_block_count_y
      - .offset:         1296
        .size:           4
        .value_kind:     hidden_block_count_z
      - .offset:         1300
        .size:           2
        .value_kind:     hidden_group_size_x
      - .offset:         1302
        .size:           2
        .value_kind:     hidden_group_size_y
      - .offset:         1304
        .size:           2
        .value_kind:     hidden_group_size_z
      - .offset:         1306
        .size:           2
        .value_kind:     hidden_remainder_x
      - .offset:         1308
        .size:           2
        .value_kind:     hidden_remainder_y
      - .offset:         1310
        .size:           2
        .value_kind:     hidden_remainder_z
      - .offset:         1328
        .size:           8
        .value_kind:     hidden_global_offset_x
      - .offset:         1336
        .size:           8
        .value_kind:     hidden_global_offset_y
      - .offset:         1344
        .size:           8
        .value_kind:     hidden_global_offset_z
      - .offset:         1352
        .size:           2
        .value_kind:     hidden_grid_dims
      - .offset:         1408
        .size:           4
        .value_kind:     hidden_dynamic_lds_size
    .group_segment_fixed_size: 0
    .kernarg_segment_align: 8
    .kernarg_segment_size: 1544
    .language:       OpenCL C
    .language_version:
      - 2
      - 0
    .max_flat_workgroup_size: 512
    .name:           _ZN2at4cuda17kernelHistogram1DIlllLi1ELi2ELin1ELNS0_23CUDAHistogramMemoryTypeE0EZNS0_21CUDA_tensor_histogramIllLb0EEEbNS_6TensorES4_S4_lNS_14AccumulateTypeIT0_Lb1EE4typeES8_NS0_13TensorArgTypeES9_S9_EUllE0_EEvNS0_6detail10TensorInfoIT_T1_EESF_NSC_IKS6_SE_EElS8_S8_SE_T6_
    .private_segment_fixed_size: 0
    .sgpr_count:     56
    .sgpr_spill_count: 0
    .symbol:         _ZN2at4cuda17kernelHistogram1DIlllLi1ELi2ELin1ELNS0_23CUDAHistogramMemoryTypeE0EZNS0_21CUDA_tensor_histogramIllLb0EEEbNS_6TensorES4_S4_lNS_14AccumulateTypeIT0_Lb1EE4typeES8_NS0_13TensorArgTypeES9_S9_EUllE0_EEvNS0_6detail10TensorInfoIT_T1_EESF_NSC_IKS6_SE_EElS8_S8_SE_T6_.kd
    .uniform_work_group_size: 1
    .uses_dynamic_stack: false
    .vgpr_count:     24
    .vgpr_spill_count: 0
    .wavefront_size: 64
  - .args:
      - .offset:         0
        .size:           416
        .value_kind:     by_value
      - .offset:         416
        .size:           416
        .value_kind:     by_value
      - .offset:         832
        .size:           416
        .value_kind:     by_value
      - .offset:         1248
        .size:           8
        .value_kind:     by_value
      - .offset:         1256
        .size:           8
        .value_kind:     by_value
      - .offset:         1264
        .size:           8
        .value_kind:     by_value
      - .offset:         1272
        .size:           8
        .value_kind:     by_value
      - .offset:         1280
        .size:           1
        .value_kind:     by_value
      - .offset:         1288
        .size:           4
        .value_kind:     hidden_block_count_x
      - .offset:         1292
        .size:           4
        .value_kind:     hidden_block_count_y
      - .offset:         1296
        .size:           4
        .value_kind:     hidden_block_count_z
      - .offset:         1300
        .size:           2
        .value_kind:     hidden_group_size_x
      - .offset:         1302
        .size:           2
        .value_kind:     hidden_group_size_y
      - .offset:         1304
        .size:           2
        .value_kind:     hidden_group_size_z
      - .offset:         1306
        .size:           2
        .value_kind:     hidden_remainder_x
      - .offset:         1308
        .size:           2
        .value_kind:     hidden_remainder_y
      - .offset:         1310
        .size:           2
        .value_kind:     hidden_remainder_z
      - .offset:         1328
        .size:           8
        .value_kind:     hidden_global_offset_x
      - .offset:         1336
        .size:           8
        .value_kind:     hidden_global_offset_y
      - .offset:         1344
        .size:           8
        .value_kind:     hidden_global_offset_z
      - .offset:         1352
        .size:           2
        .value_kind:     hidden_grid_dims
    .group_segment_fixed_size: 0
    .kernarg_segment_align: 8
    .kernarg_segment_size: 1544
    .language:       OpenCL C
    .language_version:
      - 2
      - 0
    .max_flat_workgroup_size: 512
    .name:           _ZN2at4cuda17kernelHistogram1DIlllLi1ELi2ELin1ELNS0_23CUDAHistogramMemoryTypeE1EZNS0_21CUDA_tensor_histogramIllLb0EEEbNS_6TensorES4_S4_lNS_14AccumulateTypeIT0_Lb1EE4typeES8_NS0_13TensorArgTypeES9_S9_EUllE0_EEvNS0_6detail10TensorInfoIT_T1_EESF_NSC_IKS6_SE_EElS8_S8_SE_T6_
    .private_segment_fixed_size: 0
    .sgpr_count:     51
    .sgpr_spill_count: 0
    .symbol:         _ZN2at4cuda17kernelHistogram1DIlllLi1ELi2ELin1ELNS0_23CUDAHistogramMemoryTypeE1EZNS0_21CUDA_tensor_histogramIllLb0EEEbNS_6TensorES4_S4_lNS_14AccumulateTypeIT0_Lb1EE4typeES8_NS0_13TensorArgTypeES9_S9_EUllE0_EEvNS0_6detail10TensorInfoIT_T1_EESF_NSC_IKS6_SE_EElS8_S8_SE_T6_.kd
    .uniform_work_group_size: 1
    .uses_dynamic_stack: false
    .vgpr_count:     20
    .vgpr_spill_count: 0
    .wavefront_size: 64
  - .args:
      - .offset:         0
        .size:           416
        .value_kind:     by_value
      - .offset:         416
        .size:           416
        .value_kind:     by_value
      - .offset:         832
        .size:           416
        .value_kind:     by_value
      - .offset:         1248
        .size:           8
        .value_kind:     by_value
      - .offset:         1256
        .size:           8
        .value_kind:     by_value
      - .offset:         1264
        .size:           8
        .value_kind:     by_value
      - .offset:         1272
        .size:           8
        .value_kind:     by_value
      - .offset:         1280
        .size:           416
        .value_kind:     by_value
      - .offset:         1696
        .size:           4
        .value_kind:     hidden_block_count_x
      - .offset:         1700
        .size:           4
        .value_kind:     hidden_block_count_y
      - .offset:         1704
        .size:           4
        .value_kind:     hidden_block_count_z
      - .offset:         1708
        .size:           2
        .value_kind:     hidden_group_size_x
      - .offset:         1710
        .size:           2
        .value_kind:     hidden_group_size_y
      - .offset:         1712
        .size:           2
        .value_kind:     hidden_group_size_z
      - .offset:         1714
        .size:           2
        .value_kind:     hidden_remainder_x
      - .offset:         1716
        .size:           2
        .value_kind:     hidden_remainder_y
      - .offset:         1718
        .size:           2
        .value_kind:     hidden_remainder_z
      - .offset:         1736
        .size:           8
        .value_kind:     hidden_global_offset_x
      - .offset:         1744
        .size:           8
        .value_kind:     hidden_global_offset_y
      - .offset:         1752
        .size:           8
        .value_kind:     hidden_global_offset_z
      - .offset:         1760
        .size:           2
        .value_kind:     hidden_grid_dims
      - .offset:         1816
        .size:           4
        .value_kind:     hidden_dynamic_lds_size
    .group_segment_fixed_size: 0
    .kernarg_segment_align: 8
    .kernarg_segment_size: 1952
    .language:       OpenCL C
    .language_version:
      - 2
      - 0
    .max_flat_workgroup_size: 512
    .name:           _ZN2at4cuda17kernelHistogram1DIdllLi1ELi2ELin1ELNS0_23CUDAHistogramMemoryTypeE0EZNS0_21CUDA_tensor_histogramIdlLb1EEEbNS_6TensorES4_S4_lNS_14AccumulateTypeIT0_Lb1EE4typeES8_NS0_13TensorArgTypeES9_S9_EUllE_EEvNS0_6detail10TensorInfoIT_T1_EESF_NSC_IKS6_SE_EElS8_S8_SE_T6_
    .private_segment_fixed_size: 0
    .sgpr_count:     60
    .sgpr_spill_count: 0
    .symbol:         _ZN2at4cuda17kernelHistogram1DIdllLi1ELi2ELin1ELNS0_23CUDAHistogramMemoryTypeE0EZNS0_21CUDA_tensor_histogramIdlLb1EEEbNS_6TensorES4_S4_lNS_14AccumulateTypeIT0_Lb1EE4typeES8_NS0_13TensorArgTypeES9_S9_EUllE_EEvNS0_6detail10TensorInfoIT_T1_EESF_NSC_IKS6_SE_EElS8_S8_SE_T6_.kd
    .uniform_work_group_size: 1
    .uses_dynamic_stack: false
    .vgpr_count:     22
    .vgpr_spill_count: 0
    .wavefront_size: 64
  - .args:
      - .offset:         0
        .size:           416
        .value_kind:     by_value
      - .offset:         416
        .size:           416
        .value_kind:     by_value
      - .offset:         832
        .size:           416
        .value_kind:     by_value
      - .offset:         1248
        .size:           8
        .value_kind:     by_value
      - .offset:         1256
        .size:           8
        .value_kind:     by_value
      - .offset:         1264
        .size:           8
        .value_kind:     by_value
      - .offset:         1272
        .size:           8
        .value_kind:     by_value
      - .offset:         1280
        .size:           416
        .value_kind:     by_value
      - .offset:         1696
        .size:           4
        .value_kind:     hidden_block_count_x
      - .offset:         1700
        .size:           4
        .value_kind:     hidden_block_count_y
      - .offset:         1704
        .size:           4
        .value_kind:     hidden_block_count_z
      - .offset:         1708
        .size:           2
        .value_kind:     hidden_group_size_x
      - .offset:         1710
        .size:           2
        .value_kind:     hidden_group_size_y
      - .offset:         1712
        .size:           2
        .value_kind:     hidden_group_size_z
      - .offset:         1714
        .size:           2
        .value_kind:     hidden_remainder_x
      - .offset:         1716
        .size:           2
        .value_kind:     hidden_remainder_y
      - .offset:         1718
        .size:           2
        .value_kind:     hidden_remainder_z
      - .offset:         1736
        .size:           8
        .value_kind:     hidden_global_offset_x
      - .offset:         1744
        .size:           8
        .value_kind:     hidden_global_offset_y
      - .offset:         1752
        .size:           8
        .value_kind:     hidden_global_offset_z
      - .offset:         1760
        .size:           2
        .value_kind:     hidden_grid_dims
    .group_segment_fixed_size: 0
    .kernarg_segment_align: 8
    .kernarg_segment_size: 1952
    .language:       OpenCL C
    .language_version:
      - 2
      - 0
    .max_flat_workgroup_size: 512
    .name:           _ZN2at4cuda17kernelHistogram1DIdllLi1ELi2ELin1ELNS0_23CUDAHistogramMemoryTypeE1EZNS0_21CUDA_tensor_histogramIdlLb1EEEbNS_6TensorES4_S4_lNS_14AccumulateTypeIT0_Lb1EE4typeES8_NS0_13TensorArgTypeES9_S9_EUllE_EEvNS0_6detail10TensorInfoIT_T1_EESF_NSC_IKS6_SE_EElS8_S8_SE_T6_
    .private_segment_fixed_size: 0
    .sgpr_count:     55
    .sgpr_spill_count: 0
    .symbol:         _ZN2at4cuda17kernelHistogram1DIdllLi1ELi2ELin1ELNS0_23CUDAHistogramMemoryTypeE1EZNS0_21CUDA_tensor_histogramIdlLb1EEEbNS_6TensorES4_S4_lNS_14AccumulateTypeIT0_Lb1EE4typeES8_NS0_13TensorArgTypeES9_S9_EUllE_EEvNS0_6detail10TensorInfoIT_T1_EESF_NSC_IKS6_SE_EElS8_S8_SE_T6_.kd
    .uniform_work_group_size: 1
    .uses_dynamic_stack: false
    .vgpr_count:     18
    .vgpr_spill_count: 0
    .wavefront_size: 64
  - .args:
      - .offset:         0
        .size:           416
        .value_kind:     by_value
      - .offset:         416
        .size:           416
        .value_kind:     by_value
      - .offset:         832
        .size:           416
        .value_kind:     by_value
      - .offset:         1248
        .size:           8
        .value_kind:     by_value
      - .offset:         1256
        .size:           8
        .value_kind:     by_value
      - .offset:         1264
        .size:           8
        .value_kind:     by_value
      - .offset:         1272
        .size:           8
        .value_kind:     by_value
      - .offset:         1280
        .size:           1
        .value_kind:     by_value
      - .offset:         1288
        .size:           4
        .value_kind:     hidden_block_count_x
      - .offset:         1292
        .size:           4
        .value_kind:     hidden_block_count_y
      - .offset:         1296
        .size:           4
        .value_kind:     hidden_block_count_z
      - .offset:         1300
        .size:           2
        .value_kind:     hidden_group_size_x
      - .offset:         1302
        .size:           2
        .value_kind:     hidden_group_size_y
      - .offset:         1304
        .size:           2
        .value_kind:     hidden_group_size_z
      - .offset:         1306
        .size:           2
        .value_kind:     hidden_remainder_x
      - .offset:         1308
        .size:           2
        .value_kind:     hidden_remainder_y
      - .offset:         1310
        .size:           2
        .value_kind:     hidden_remainder_z
      - .offset:         1328
        .size:           8
        .value_kind:     hidden_global_offset_x
      - .offset:         1336
        .size:           8
        .value_kind:     hidden_global_offset_y
      - .offset:         1344
        .size:           8
        .value_kind:     hidden_global_offset_z
      - .offset:         1352
        .size:           2
        .value_kind:     hidden_grid_dims
      - .offset:         1408
        .size:           4
        .value_kind:     hidden_dynamic_lds_size
    .group_segment_fixed_size: 0
    .kernarg_segment_align: 8
    .kernarg_segment_size: 1544
    .language:       OpenCL C
    .language_version:
      - 2
      - 0
    .max_flat_workgroup_size: 512
    .name:           _ZN2at4cuda17kernelHistogram1DIdllLi1ELi2ELin1ELNS0_23CUDAHistogramMemoryTypeE0EZNS0_21CUDA_tensor_histogramIdlLb1EEEbNS_6TensorES4_S4_lNS_14AccumulateTypeIT0_Lb1EE4typeES8_NS0_13TensorArgTypeES9_S9_EUllE0_EEvNS0_6detail10TensorInfoIT_T1_EESF_NSC_IKS6_SE_EElS8_S8_SE_T6_
    .private_segment_fixed_size: 0
    .sgpr_count:     56
    .sgpr_spill_count: 0
    .symbol:         _ZN2at4cuda17kernelHistogram1DIdllLi1ELi2ELin1ELNS0_23CUDAHistogramMemoryTypeE0EZNS0_21CUDA_tensor_histogramIdlLb1EEEbNS_6TensorES4_S4_lNS_14AccumulateTypeIT0_Lb1EE4typeES8_NS0_13TensorArgTypeES9_S9_EUllE0_EEvNS0_6detail10TensorInfoIT_T1_EESF_NSC_IKS6_SE_EElS8_S8_SE_T6_.kd
    .uniform_work_group_size: 1
    .uses_dynamic_stack: false
    .vgpr_count:     22
    .vgpr_spill_count: 0
    .wavefront_size: 64
  - .args:
      - .offset:         0
        .size:           416
        .value_kind:     by_value
      - .offset:         416
        .size:           416
        .value_kind:     by_value
      - .offset:         832
        .size:           416
        .value_kind:     by_value
      - .offset:         1248
        .size:           8
        .value_kind:     by_value
      - .offset:         1256
        .size:           8
        .value_kind:     by_value
      - .offset:         1264
        .size:           8
        .value_kind:     by_value
      - .offset:         1272
        .size:           8
        .value_kind:     by_value
      - .offset:         1280
        .size:           1
        .value_kind:     by_value
      - .offset:         1288
        .size:           4
        .value_kind:     hidden_block_count_x
      - .offset:         1292
        .size:           4
        .value_kind:     hidden_block_count_y
      - .offset:         1296
        .size:           4
        .value_kind:     hidden_block_count_z
      - .offset:         1300
        .size:           2
        .value_kind:     hidden_group_size_x
      - .offset:         1302
        .size:           2
        .value_kind:     hidden_group_size_y
      - .offset:         1304
        .size:           2
        .value_kind:     hidden_group_size_z
      - .offset:         1306
        .size:           2
        .value_kind:     hidden_remainder_x
      - .offset:         1308
        .size:           2
        .value_kind:     hidden_remainder_y
      - .offset:         1310
        .size:           2
        .value_kind:     hidden_remainder_z
      - .offset:         1328
        .size:           8
        .value_kind:     hidden_global_offset_x
      - .offset:         1336
        .size:           8
        .value_kind:     hidden_global_offset_y
      - .offset:         1344
        .size:           8
        .value_kind:     hidden_global_offset_z
      - .offset:         1352
        .size:           2
        .value_kind:     hidden_grid_dims
    .group_segment_fixed_size: 0
    .kernarg_segment_align: 8
    .kernarg_segment_size: 1544
    .language:       OpenCL C
    .language_version:
      - 2
      - 0
    .max_flat_workgroup_size: 512
    .name:           _ZN2at4cuda17kernelHistogram1DIdllLi1ELi2ELin1ELNS0_23CUDAHistogramMemoryTypeE1EZNS0_21CUDA_tensor_histogramIdlLb1EEEbNS_6TensorES4_S4_lNS_14AccumulateTypeIT0_Lb1EE4typeES8_NS0_13TensorArgTypeES9_S9_EUllE0_EEvNS0_6detail10TensorInfoIT_T1_EESF_NSC_IKS6_SE_EElS8_S8_SE_T6_
    .private_segment_fixed_size: 0
    .sgpr_count:     51
    .sgpr_spill_count: 0
    .symbol:         _ZN2at4cuda17kernelHistogram1DIdllLi1ELi2ELin1ELNS0_23CUDAHistogramMemoryTypeE1EZNS0_21CUDA_tensor_histogramIdlLb1EEEbNS_6TensorES4_S4_lNS_14AccumulateTypeIT0_Lb1EE4typeES8_NS0_13TensorArgTypeES9_S9_EUllE0_EEvNS0_6detail10TensorInfoIT_T1_EESF_NSC_IKS6_SE_EElS8_S8_SE_T6_.kd
    .uniform_work_group_size: 1
    .uses_dynamic_stack: false
    .vgpr_count:     18
    .vgpr_spill_count: 0
    .wavefront_size: 64
  - .args:
      - .offset:         0
        .size:           416
        .value_kind:     by_value
      - .offset:         416
        .size:           416
        .value_kind:     by_value
      - .offset:         832
        .size:           416
        .value_kind:     by_value
      - .offset:         1248
        .size:           8
        .value_kind:     by_value
      - .offset:         1256
        .size:           8
        .value_kind:     by_value
      - .offset:         1264
        .size:           8
        .value_kind:     by_value
      - .offset:         1272
        .size:           8
        .value_kind:     by_value
      - .offset:         1280
        .size:           416
        .value_kind:     by_value
      - .offset:         1696
        .size:           4
        .value_kind:     hidden_block_count_x
      - .offset:         1700
        .size:           4
        .value_kind:     hidden_block_count_y
      - .offset:         1704
        .size:           4
        .value_kind:     hidden_block_count_z
      - .offset:         1708
        .size:           2
        .value_kind:     hidden_group_size_x
      - .offset:         1710
        .size:           2
        .value_kind:     hidden_group_size_y
      - .offset:         1712
        .size:           2
        .value_kind:     hidden_group_size_z
      - .offset:         1714
        .size:           2
        .value_kind:     hidden_remainder_x
      - .offset:         1716
        .size:           2
        .value_kind:     hidden_remainder_y
      - .offset:         1718
        .size:           2
        .value_kind:     hidden_remainder_z
      - .offset:         1736
        .size:           8
        .value_kind:     hidden_global_offset_x
      - .offset:         1744
        .size:           8
        .value_kind:     hidden_global_offset_y
      - .offset:         1752
        .size:           8
        .value_kind:     hidden_global_offset_z
      - .offset:         1760
        .size:           2
        .value_kind:     hidden_grid_dims
      - .offset:         1816
        .size:           4
        .value_kind:     hidden_dynamic_lds_size
    .group_segment_fixed_size: 0
    .kernarg_segment_align: 8
    .kernarg_segment_size: 1952
    .language:       OpenCL C
    .language_version:
      - 2
      - 0
    .max_flat_workgroup_size: 512
    .name:           _ZN2at4cuda17kernelHistogram1DIfslLi1ELi2ELin1ELNS0_23CUDAHistogramMemoryTypeE0EZNS0_21CUDA_tensor_histogramIfsLb1EEEbNS_6TensorES4_S4_lNS_14AccumulateTypeIT0_Lb1EE4typeES8_NS0_13TensorArgTypeES9_S9_EUllE_EEvNS0_6detail10TensorInfoIT_T1_EESF_NSC_IKS6_SE_EElS8_S8_SE_T6_
    .private_segment_fixed_size: 0
    .sgpr_count:     60
    .sgpr_spill_count: 0
    .symbol:         _ZN2at4cuda17kernelHistogram1DIfslLi1ELi2ELin1ELNS0_23CUDAHistogramMemoryTypeE0EZNS0_21CUDA_tensor_histogramIfsLb1EEEbNS_6TensorES4_S4_lNS_14AccumulateTypeIT0_Lb1EE4typeES8_NS0_13TensorArgTypeES9_S9_EUllE_EEvNS0_6detail10TensorInfoIT_T1_EESF_NSC_IKS6_SE_EElS8_S8_SE_T6_.kd
    .uniform_work_group_size: 1
    .uses_dynamic_stack: false
    .vgpr_count:     22
    .vgpr_spill_count: 0
    .wavefront_size: 64
  - .args:
      - .offset:         0
        .size:           416
        .value_kind:     by_value
      - .offset:         416
        .size:           416
        .value_kind:     by_value
      - .offset:         832
        .size:           416
        .value_kind:     by_value
      - .offset:         1248
        .size:           8
        .value_kind:     by_value
      - .offset:         1256
        .size:           8
        .value_kind:     by_value
      - .offset:         1264
        .size:           8
        .value_kind:     by_value
      - .offset:         1272
        .size:           8
        .value_kind:     by_value
      - .offset:         1280
        .size:           416
        .value_kind:     by_value
      - .offset:         1696
        .size:           4
        .value_kind:     hidden_block_count_x
      - .offset:         1700
        .size:           4
        .value_kind:     hidden_block_count_y
      - .offset:         1704
        .size:           4
        .value_kind:     hidden_block_count_z
      - .offset:         1708
        .size:           2
        .value_kind:     hidden_group_size_x
      - .offset:         1710
        .size:           2
        .value_kind:     hidden_group_size_y
      - .offset:         1712
        .size:           2
        .value_kind:     hidden_group_size_z
      - .offset:         1714
        .size:           2
        .value_kind:     hidden_remainder_x
      - .offset:         1716
        .size:           2
        .value_kind:     hidden_remainder_y
      - .offset:         1718
        .size:           2
        .value_kind:     hidden_remainder_z
      - .offset:         1736
        .size:           8
        .value_kind:     hidden_global_offset_x
      - .offset:         1744
        .size:           8
        .value_kind:     hidden_global_offset_y
      - .offset:         1752
        .size:           8
        .value_kind:     hidden_global_offset_z
      - .offset:         1760
        .size:           2
        .value_kind:     hidden_grid_dims
    .group_segment_fixed_size: 0
    .kernarg_segment_align: 8
    .kernarg_segment_size: 1952
    .language:       OpenCL C
    .language_version:
      - 2
      - 0
    .max_flat_workgroup_size: 512
    .name:           _ZN2at4cuda17kernelHistogram1DIfslLi1ELi2ELin1ELNS0_23CUDAHistogramMemoryTypeE1EZNS0_21CUDA_tensor_histogramIfsLb1EEEbNS_6TensorES4_S4_lNS_14AccumulateTypeIT0_Lb1EE4typeES8_NS0_13TensorArgTypeES9_S9_EUllE_EEvNS0_6detail10TensorInfoIT_T1_EESF_NSC_IKS6_SE_EElS8_S8_SE_T6_
    .private_segment_fixed_size: 0
    .sgpr_count:     55
    .sgpr_spill_count: 0
    .symbol:         _ZN2at4cuda17kernelHistogram1DIfslLi1ELi2ELin1ELNS0_23CUDAHistogramMemoryTypeE1EZNS0_21CUDA_tensor_histogramIfsLb1EEEbNS_6TensorES4_S4_lNS_14AccumulateTypeIT0_Lb1EE4typeES8_NS0_13TensorArgTypeES9_S9_EUllE_EEvNS0_6detail10TensorInfoIT_T1_EESF_NSC_IKS6_SE_EElS8_S8_SE_T6_.kd
    .uniform_work_group_size: 1
    .uses_dynamic_stack: false
    .vgpr_count:     18
    .vgpr_spill_count: 0
    .wavefront_size: 64
  - .args:
      - .offset:         0
        .size:           416
        .value_kind:     by_value
      - .offset:         416
        .size:           416
        .value_kind:     by_value
      - .offset:         832
        .size:           416
        .value_kind:     by_value
      - .offset:         1248
        .size:           8
        .value_kind:     by_value
      - .offset:         1256
        .size:           8
        .value_kind:     by_value
      - .offset:         1264
        .size:           8
        .value_kind:     by_value
      - .offset:         1272
        .size:           8
        .value_kind:     by_value
      - .offset:         1280
        .size:           1
        .value_kind:     by_value
      - .offset:         1288
        .size:           4
        .value_kind:     hidden_block_count_x
      - .offset:         1292
        .size:           4
        .value_kind:     hidden_block_count_y
      - .offset:         1296
        .size:           4
        .value_kind:     hidden_block_count_z
      - .offset:         1300
        .size:           2
        .value_kind:     hidden_group_size_x
      - .offset:         1302
        .size:           2
        .value_kind:     hidden_group_size_y
      - .offset:         1304
        .size:           2
        .value_kind:     hidden_group_size_z
      - .offset:         1306
        .size:           2
        .value_kind:     hidden_remainder_x
      - .offset:         1308
        .size:           2
        .value_kind:     hidden_remainder_y
      - .offset:         1310
        .size:           2
        .value_kind:     hidden_remainder_z
      - .offset:         1328
        .size:           8
        .value_kind:     hidden_global_offset_x
      - .offset:         1336
        .size:           8
        .value_kind:     hidden_global_offset_y
      - .offset:         1344
        .size:           8
        .value_kind:     hidden_global_offset_z
      - .offset:         1352
        .size:           2
        .value_kind:     hidden_grid_dims
      - .offset:         1408
        .size:           4
        .value_kind:     hidden_dynamic_lds_size
    .group_segment_fixed_size: 0
    .kernarg_segment_align: 8
    .kernarg_segment_size: 1544
    .language:       OpenCL C
    .language_version:
      - 2
      - 0
    .max_flat_workgroup_size: 512
    .name:           _ZN2at4cuda17kernelHistogram1DIfslLi1ELi2ELin1ELNS0_23CUDAHistogramMemoryTypeE0EZNS0_21CUDA_tensor_histogramIfsLb1EEEbNS_6TensorES4_S4_lNS_14AccumulateTypeIT0_Lb1EE4typeES8_NS0_13TensorArgTypeES9_S9_EUllE0_EEvNS0_6detail10TensorInfoIT_T1_EESF_NSC_IKS6_SE_EElS8_S8_SE_T6_
    .private_segment_fixed_size: 0
    .sgpr_count:     56
    .sgpr_spill_count: 0
    .symbol:         _ZN2at4cuda17kernelHistogram1DIfslLi1ELi2ELin1ELNS0_23CUDAHistogramMemoryTypeE0EZNS0_21CUDA_tensor_histogramIfsLb1EEEbNS_6TensorES4_S4_lNS_14AccumulateTypeIT0_Lb1EE4typeES8_NS0_13TensorArgTypeES9_S9_EUllE0_EEvNS0_6detail10TensorInfoIT_T1_EESF_NSC_IKS6_SE_EElS8_S8_SE_T6_.kd
    .uniform_work_group_size: 1
    .uses_dynamic_stack: false
    .vgpr_count:     23
    .vgpr_spill_count: 0
    .wavefront_size: 64
  - .args:
      - .offset:         0
        .size:           416
        .value_kind:     by_value
      - .offset:         416
        .size:           416
        .value_kind:     by_value
      - .offset:         832
        .size:           416
        .value_kind:     by_value
      - .offset:         1248
        .size:           8
        .value_kind:     by_value
      - .offset:         1256
        .size:           8
        .value_kind:     by_value
      - .offset:         1264
        .size:           8
        .value_kind:     by_value
      - .offset:         1272
        .size:           8
        .value_kind:     by_value
      - .offset:         1280
        .size:           1
        .value_kind:     by_value
      - .offset:         1288
        .size:           4
        .value_kind:     hidden_block_count_x
      - .offset:         1292
        .size:           4
        .value_kind:     hidden_block_count_y
      - .offset:         1296
        .size:           4
        .value_kind:     hidden_block_count_z
      - .offset:         1300
        .size:           2
        .value_kind:     hidden_group_size_x
      - .offset:         1302
        .size:           2
        .value_kind:     hidden_group_size_y
      - .offset:         1304
        .size:           2
        .value_kind:     hidden_group_size_z
      - .offset:         1306
        .size:           2
        .value_kind:     hidden_remainder_x
      - .offset:         1308
        .size:           2
        .value_kind:     hidden_remainder_y
      - .offset:         1310
        .size:           2
        .value_kind:     hidden_remainder_z
      - .offset:         1328
        .size:           8
        .value_kind:     hidden_global_offset_x
      - .offset:         1336
        .size:           8
        .value_kind:     hidden_global_offset_y
      - .offset:         1344
        .size:           8
        .value_kind:     hidden_global_offset_z
      - .offset:         1352
        .size:           2
        .value_kind:     hidden_grid_dims
    .group_segment_fixed_size: 0
    .kernarg_segment_align: 8
    .kernarg_segment_size: 1544
    .language:       OpenCL C
    .language_version:
      - 2
      - 0
    .max_flat_workgroup_size: 512
    .name:           _ZN2at4cuda17kernelHistogram1DIfslLi1ELi2ELin1ELNS0_23CUDAHistogramMemoryTypeE1EZNS0_21CUDA_tensor_histogramIfsLb1EEEbNS_6TensorES4_S4_lNS_14AccumulateTypeIT0_Lb1EE4typeES8_NS0_13TensorArgTypeES9_S9_EUllE0_EEvNS0_6detail10TensorInfoIT_T1_EESF_NSC_IKS6_SE_EElS8_S8_SE_T6_
    .private_segment_fixed_size: 0
    .sgpr_count:     51
    .sgpr_spill_count: 0
    .symbol:         _ZN2at4cuda17kernelHistogram1DIfslLi1ELi2ELin1ELNS0_23CUDAHistogramMemoryTypeE1EZNS0_21CUDA_tensor_histogramIfsLb1EEEbNS_6TensorES4_S4_lNS_14AccumulateTypeIT0_Lb1EE4typeES8_NS0_13TensorArgTypeES9_S9_EUllE0_EEvNS0_6detail10TensorInfoIT_T1_EESF_NSC_IKS6_SE_EElS8_S8_SE_T6_.kd
    .uniform_work_group_size: 1
    .uses_dynamic_stack: false
    .vgpr_count:     18
    .vgpr_spill_count: 0
    .wavefront_size: 64
  - .args:
      - .offset:         0
        .size:           416
        .value_kind:     by_value
      - .offset:         416
        .size:           416
        .value_kind:     by_value
      - .offset:         832
        .size:           416
        .value_kind:     by_value
      - .offset:         1248
        .size:           8
        .value_kind:     by_value
      - .offset:         1256
        .size:           8
        .value_kind:     by_value
      - .offset:         1264
        .size:           8
        .value_kind:     by_value
      - .offset:         1272
        .size:           8
        .value_kind:     by_value
      - .offset:         1280
        .size:           416
        .value_kind:     by_value
      - .offset:         1696
        .size:           4
        .value_kind:     hidden_block_count_x
      - .offset:         1700
        .size:           4
        .value_kind:     hidden_block_count_y
      - .offset:         1704
        .size:           4
        .value_kind:     hidden_block_count_z
      - .offset:         1708
        .size:           2
        .value_kind:     hidden_group_size_x
      - .offset:         1710
        .size:           2
        .value_kind:     hidden_group_size_y
      - .offset:         1712
        .size:           2
        .value_kind:     hidden_group_size_z
      - .offset:         1714
        .size:           2
        .value_kind:     hidden_remainder_x
      - .offset:         1716
        .size:           2
        .value_kind:     hidden_remainder_y
      - .offset:         1718
        .size:           2
        .value_kind:     hidden_remainder_z
      - .offset:         1736
        .size:           8
        .value_kind:     hidden_global_offset_x
      - .offset:         1744
        .size:           8
        .value_kind:     hidden_global_offset_y
      - .offset:         1752
        .size:           8
        .value_kind:     hidden_global_offset_z
      - .offset:         1760
        .size:           2
        .value_kind:     hidden_grid_dims
      - .offset:         1816
        .size:           4
        .value_kind:     hidden_dynamic_lds_size
    .group_segment_fixed_size: 0
    .kernarg_segment_align: 8
    .kernarg_segment_size: 1952
    .language:       OpenCL C
    .language_version:
      - 2
      - 0
    .max_flat_workgroup_size: 512
    .name:           _ZN2at4cuda17kernelHistogram1DIlslLi1ELi2ELin1ELNS0_23CUDAHistogramMemoryTypeE0EZNS0_21CUDA_tensor_histogramIlsLb0EEEbNS_6TensorES4_S4_lNS_14AccumulateTypeIT0_Lb1EE4typeES8_NS0_13TensorArgTypeES9_S9_EUllE_EEvNS0_6detail10TensorInfoIT_T1_EESF_NSC_IKS6_SE_EElS8_S8_SE_T6_
    .private_segment_fixed_size: 0
    .sgpr_count:     60
    .sgpr_spill_count: 0
    .symbol:         _ZN2at4cuda17kernelHistogram1DIlslLi1ELi2ELin1ELNS0_23CUDAHistogramMemoryTypeE0EZNS0_21CUDA_tensor_histogramIlsLb0EEEbNS_6TensorES4_S4_lNS_14AccumulateTypeIT0_Lb1EE4typeES8_NS0_13TensorArgTypeES9_S9_EUllE_EEvNS0_6detail10TensorInfoIT_T1_EESF_NSC_IKS6_SE_EElS8_S8_SE_T6_.kd
    .uniform_work_group_size: 1
    .uses_dynamic_stack: false
    .vgpr_count:     24
    .vgpr_spill_count: 0
    .wavefront_size: 64
  - .args:
      - .offset:         0
        .size:           416
        .value_kind:     by_value
      - .offset:         416
        .size:           416
        .value_kind:     by_value
      - .offset:         832
        .size:           416
        .value_kind:     by_value
      - .offset:         1248
        .size:           8
        .value_kind:     by_value
      - .offset:         1256
        .size:           8
        .value_kind:     by_value
      - .offset:         1264
        .size:           8
        .value_kind:     by_value
      - .offset:         1272
        .size:           8
        .value_kind:     by_value
      - .offset:         1280
        .size:           416
        .value_kind:     by_value
      - .offset:         1696
        .size:           4
        .value_kind:     hidden_block_count_x
      - .offset:         1700
        .size:           4
        .value_kind:     hidden_block_count_y
      - .offset:         1704
        .size:           4
        .value_kind:     hidden_block_count_z
      - .offset:         1708
        .size:           2
        .value_kind:     hidden_group_size_x
      - .offset:         1710
        .size:           2
        .value_kind:     hidden_group_size_y
      - .offset:         1712
        .size:           2
        .value_kind:     hidden_group_size_z
      - .offset:         1714
        .size:           2
        .value_kind:     hidden_remainder_x
      - .offset:         1716
        .size:           2
        .value_kind:     hidden_remainder_y
      - .offset:         1718
        .size:           2
        .value_kind:     hidden_remainder_z
      - .offset:         1736
        .size:           8
        .value_kind:     hidden_global_offset_x
      - .offset:         1744
        .size:           8
        .value_kind:     hidden_global_offset_y
      - .offset:         1752
        .size:           8
        .value_kind:     hidden_global_offset_z
      - .offset:         1760
        .size:           2
        .value_kind:     hidden_grid_dims
    .group_segment_fixed_size: 0
    .kernarg_segment_align: 8
    .kernarg_segment_size: 1952
    .language:       OpenCL C
    .language_version:
      - 2
      - 0
    .max_flat_workgroup_size: 512
    .name:           _ZN2at4cuda17kernelHistogram1DIlslLi1ELi2ELin1ELNS0_23CUDAHistogramMemoryTypeE1EZNS0_21CUDA_tensor_histogramIlsLb0EEEbNS_6TensorES4_S4_lNS_14AccumulateTypeIT0_Lb1EE4typeES8_NS0_13TensorArgTypeES9_S9_EUllE_EEvNS0_6detail10TensorInfoIT_T1_EESF_NSC_IKS6_SE_EElS8_S8_SE_T6_
    .private_segment_fixed_size: 0
    .sgpr_count:     55
    .sgpr_spill_count: 0
    .symbol:         _ZN2at4cuda17kernelHistogram1DIlslLi1ELi2ELin1ELNS0_23CUDAHistogramMemoryTypeE1EZNS0_21CUDA_tensor_histogramIlsLb0EEEbNS_6TensorES4_S4_lNS_14AccumulateTypeIT0_Lb1EE4typeES8_NS0_13TensorArgTypeES9_S9_EUllE_EEvNS0_6detail10TensorInfoIT_T1_EESF_NSC_IKS6_SE_EElS8_S8_SE_T6_.kd
    .uniform_work_group_size: 1
    .uses_dynamic_stack: false
    .vgpr_count:     18
    .vgpr_spill_count: 0
    .wavefront_size: 64
  - .args:
      - .offset:         0
        .size:           416
        .value_kind:     by_value
      - .offset:         416
        .size:           416
        .value_kind:     by_value
      - .offset:         832
        .size:           416
        .value_kind:     by_value
      - .offset:         1248
        .size:           8
        .value_kind:     by_value
      - .offset:         1256
        .size:           8
        .value_kind:     by_value
      - .offset:         1264
        .size:           8
        .value_kind:     by_value
      - .offset:         1272
        .size:           8
        .value_kind:     by_value
      - .offset:         1280
        .size:           1
        .value_kind:     by_value
      - .offset:         1288
        .size:           4
        .value_kind:     hidden_block_count_x
      - .offset:         1292
        .size:           4
        .value_kind:     hidden_block_count_y
      - .offset:         1296
        .size:           4
        .value_kind:     hidden_block_count_z
      - .offset:         1300
        .size:           2
        .value_kind:     hidden_group_size_x
      - .offset:         1302
        .size:           2
        .value_kind:     hidden_group_size_y
      - .offset:         1304
        .size:           2
        .value_kind:     hidden_group_size_z
      - .offset:         1306
        .size:           2
        .value_kind:     hidden_remainder_x
      - .offset:         1308
        .size:           2
        .value_kind:     hidden_remainder_y
      - .offset:         1310
        .size:           2
        .value_kind:     hidden_remainder_z
      - .offset:         1328
        .size:           8
        .value_kind:     hidden_global_offset_x
      - .offset:         1336
        .size:           8
        .value_kind:     hidden_global_offset_y
      - .offset:         1344
        .size:           8
        .value_kind:     hidden_global_offset_z
      - .offset:         1352
        .size:           2
        .value_kind:     hidden_grid_dims
      - .offset:         1408
        .size:           4
        .value_kind:     hidden_dynamic_lds_size
    .group_segment_fixed_size: 0
    .kernarg_segment_align: 8
    .kernarg_segment_size: 1544
    .language:       OpenCL C
    .language_version:
      - 2
      - 0
    .max_flat_workgroup_size: 512
    .name:           _ZN2at4cuda17kernelHistogram1DIlslLi1ELi2ELin1ELNS0_23CUDAHistogramMemoryTypeE0EZNS0_21CUDA_tensor_histogramIlsLb0EEEbNS_6TensorES4_S4_lNS_14AccumulateTypeIT0_Lb1EE4typeES8_NS0_13TensorArgTypeES9_S9_EUllE0_EEvNS0_6detail10TensorInfoIT_T1_EESF_NSC_IKS6_SE_EElS8_S8_SE_T6_
    .private_segment_fixed_size: 0
    .sgpr_count:     56
    .sgpr_spill_count: 0
    .symbol:         _ZN2at4cuda17kernelHistogram1DIlslLi1ELi2ELin1ELNS0_23CUDAHistogramMemoryTypeE0EZNS0_21CUDA_tensor_histogramIlsLb0EEEbNS_6TensorES4_S4_lNS_14AccumulateTypeIT0_Lb1EE4typeES8_NS0_13TensorArgTypeES9_S9_EUllE0_EEvNS0_6detail10TensorInfoIT_T1_EESF_NSC_IKS6_SE_EElS8_S8_SE_T6_.kd
    .uniform_work_group_size: 1
    .uses_dynamic_stack: false
    .vgpr_count:     24
    .vgpr_spill_count: 0
    .wavefront_size: 64
  - .args:
      - .offset:         0
        .size:           416
        .value_kind:     by_value
      - .offset:         416
        .size:           416
        .value_kind:     by_value
      - .offset:         832
        .size:           416
        .value_kind:     by_value
      - .offset:         1248
        .size:           8
        .value_kind:     by_value
      - .offset:         1256
        .size:           8
        .value_kind:     by_value
      - .offset:         1264
        .size:           8
        .value_kind:     by_value
      - .offset:         1272
        .size:           8
        .value_kind:     by_value
      - .offset:         1280
        .size:           1
        .value_kind:     by_value
      - .offset:         1288
        .size:           4
        .value_kind:     hidden_block_count_x
      - .offset:         1292
        .size:           4
        .value_kind:     hidden_block_count_y
      - .offset:         1296
        .size:           4
        .value_kind:     hidden_block_count_z
      - .offset:         1300
        .size:           2
        .value_kind:     hidden_group_size_x
      - .offset:         1302
        .size:           2
        .value_kind:     hidden_group_size_y
      - .offset:         1304
        .size:           2
        .value_kind:     hidden_group_size_z
      - .offset:         1306
        .size:           2
        .value_kind:     hidden_remainder_x
      - .offset:         1308
        .size:           2
        .value_kind:     hidden_remainder_y
      - .offset:         1310
        .size:           2
        .value_kind:     hidden_remainder_z
      - .offset:         1328
        .size:           8
        .value_kind:     hidden_global_offset_x
      - .offset:         1336
        .size:           8
        .value_kind:     hidden_global_offset_y
      - .offset:         1344
        .size:           8
        .value_kind:     hidden_global_offset_z
      - .offset:         1352
        .size:           2
        .value_kind:     hidden_grid_dims
    .group_segment_fixed_size: 0
    .kernarg_segment_align: 8
    .kernarg_segment_size: 1544
    .language:       OpenCL C
    .language_version:
      - 2
      - 0
    .max_flat_workgroup_size: 512
    .name:           _ZN2at4cuda17kernelHistogram1DIlslLi1ELi2ELin1ELNS0_23CUDAHistogramMemoryTypeE1EZNS0_21CUDA_tensor_histogramIlsLb0EEEbNS_6TensorES4_S4_lNS_14AccumulateTypeIT0_Lb1EE4typeES8_NS0_13TensorArgTypeES9_S9_EUllE0_EEvNS0_6detail10TensorInfoIT_T1_EESF_NSC_IKS6_SE_EElS8_S8_SE_T6_
    .private_segment_fixed_size: 0
    .sgpr_count:     51
    .sgpr_spill_count: 0
    .symbol:         _ZN2at4cuda17kernelHistogram1DIlslLi1ELi2ELin1ELNS0_23CUDAHistogramMemoryTypeE1EZNS0_21CUDA_tensor_histogramIlsLb0EEEbNS_6TensorES4_S4_lNS_14AccumulateTypeIT0_Lb1EE4typeES8_NS0_13TensorArgTypeES9_S9_EUllE0_EEvNS0_6detail10TensorInfoIT_T1_EESF_NSC_IKS6_SE_EElS8_S8_SE_T6_.kd
    .uniform_work_group_size: 1
    .uses_dynamic_stack: false
    .vgpr_count:     20
    .vgpr_spill_count: 0
    .wavefront_size: 64
  - .args:
      - .offset:         0
        .size:           416
        .value_kind:     by_value
      - .offset:         416
        .size:           416
        .value_kind:     by_value
      - .offset:         832
        .size:           416
        .value_kind:     by_value
      - .offset:         1248
        .size:           8
        .value_kind:     by_value
      - .offset:         1256
        .size:           8
        .value_kind:     by_value
      - .offset:         1264
        .size:           8
        .value_kind:     by_value
      - .offset:         1272
        .size:           8
        .value_kind:     by_value
      - .offset:         1280
        .size:           416
        .value_kind:     by_value
      - .offset:         1696
        .size:           4
        .value_kind:     hidden_block_count_x
      - .offset:         1700
        .size:           4
        .value_kind:     hidden_block_count_y
      - .offset:         1704
        .size:           4
        .value_kind:     hidden_block_count_z
      - .offset:         1708
        .size:           2
        .value_kind:     hidden_group_size_x
      - .offset:         1710
        .size:           2
        .value_kind:     hidden_group_size_y
      - .offset:         1712
        .size:           2
        .value_kind:     hidden_group_size_z
      - .offset:         1714
        .size:           2
        .value_kind:     hidden_remainder_x
      - .offset:         1716
        .size:           2
        .value_kind:     hidden_remainder_y
      - .offset:         1718
        .size:           2
        .value_kind:     hidden_remainder_z
      - .offset:         1736
        .size:           8
        .value_kind:     hidden_global_offset_x
      - .offset:         1744
        .size:           8
        .value_kind:     hidden_global_offset_y
      - .offset:         1752
        .size:           8
        .value_kind:     hidden_global_offset_z
      - .offset:         1760
        .size:           2
        .value_kind:     hidden_grid_dims
      - .offset:         1816
        .size:           4
        .value_kind:     hidden_dynamic_lds_size
    .group_segment_fixed_size: 0
    .kernarg_segment_align: 8
    .kernarg_segment_size: 1952
    .language:       OpenCL C
    .language_version:
      - 2
      - 0
    .max_flat_workgroup_size: 512
    .name:           _ZN2at4cuda17kernelHistogram1DIdslLi1ELi2ELin1ELNS0_23CUDAHistogramMemoryTypeE0EZNS0_21CUDA_tensor_histogramIdsLb1EEEbNS_6TensorES4_S4_lNS_14AccumulateTypeIT0_Lb1EE4typeES8_NS0_13TensorArgTypeES9_S9_EUllE_EEvNS0_6detail10TensorInfoIT_T1_EESF_NSC_IKS6_SE_EElS8_S8_SE_T6_
    .private_segment_fixed_size: 0
    .sgpr_count:     60
    .sgpr_spill_count: 0
    .symbol:         _ZN2at4cuda17kernelHistogram1DIdslLi1ELi2ELin1ELNS0_23CUDAHistogramMemoryTypeE0EZNS0_21CUDA_tensor_histogramIdsLb1EEEbNS_6TensorES4_S4_lNS_14AccumulateTypeIT0_Lb1EE4typeES8_NS0_13TensorArgTypeES9_S9_EUllE_EEvNS0_6detail10TensorInfoIT_T1_EESF_NSC_IKS6_SE_EElS8_S8_SE_T6_.kd
    .uniform_work_group_size: 1
    .uses_dynamic_stack: false
    .vgpr_count:     22
    .vgpr_spill_count: 0
    .wavefront_size: 64
  - .args:
      - .offset:         0
        .size:           416
        .value_kind:     by_value
      - .offset:         416
        .size:           416
        .value_kind:     by_value
      - .offset:         832
        .size:           416
        .value_kind:     by_value
      - .offset:         1248
        .size:           8
        .value_kind:     by_value
      - .offset:         1256
        .size:           8
        .value_kind:     by_value
      - .offset:         1264
        .size:           8
        .value_kind:     by_value
      - .offset:         1272
        .size:           8
        .value_kind:     by_value
      - .offset:         1280
        .size:           416
        .value_kind:     by_value
      - .offset:         1696
        .size:           4
        .value_kind:     hidden_block_count_x
      - .offset:         1700
        .size:           4
        .value_kind:     hidden_block_count_y
      - .offset:         1704
        .size:           4
        .value_kind:     hidden_block_count_z
      - .offset:         1708
        .size:           2
        .value_kind:     hidden_group_size_x
      - .offset:         1710
        .size:           2
        .value_kind:     hidden_group_size_y
      - .offset:         1712
        .size:           2
        .value_kind:     hidden_group_size_z
      - .offset:         1714
        .size:           2
        .value_kind:     hidden_remainder_x
      - .offset:         1716
        .size:           2
        .value_kind:     hidden_remainder_y
      - .offset:         1718
        .size:           2
        .value_kind:     hidden_remainder_z
      - .offset:         1736
        .size:           8
        .value_kind:     hidden_global_offset_x
      - .offset:         1744
        .size:           8
        .value_kind:     hidden_global_offset_y
      - .offset:         1752
        .size:           8
        .value_kind:     hidden_global_offset_z
      - .offset:         1760
        .size:           2
        .value_kind:     hidden_grid_dims
    .group_segment_fixed_size: 0
    .kernarg_segment_align: 8
    .kernarg_segment_size: 1952
    .language:       OpenCL C
    .language_version:
      - 2
      - 0
    .max_flat_workgroup_size: 512
    .name:           _ZN2at4cuda17kernelHistogram1DIdslLi1ELi2ELin1ELNS0_23CUDAHistogramMemoryTypeE1EZNS0_21CUDA_tensor_histogramIdsLb1EEEbNS_6TensorES4_S4_lNS_14AccumulateTypeIT0_Lb1EE4typeES8_NS0_13TensorArgTypeES9_S9_EUllE_EEvNS0_6detail10TensorInfoIT_T1_EESF_NSC_IKS6_SE_EElS8_S8_SE_T6_
    .private_segment_fixed_size: 0
    .sgpr_count:     55
    .sgpr_spill_count: 0
    .symbol:         _ZN2at4cuda17kernelHistogram1DIdslLi1ELi2ELin1ELNS0_23CUDAHistogramMemoryTypeE1EZNS0_21CUDA_tensor_histogramIdsLb1EEEbNS_6TensorES4_S4_lNS_14AccumulateTypeIT0_Lb1EE4typeES8_NS0_13TensorArgTypeES9_S9_EUllE_EEvNS0_6detail10TensorInfoIT_T1_EESF_NSC_IKS6_SE_EElS8_S8_SE_T6_.kd
    .uniform_work_group_size: 1
    .uses_dynamic_stack: false
    .vgpr_count:     18
    .vgpr_spill_count: 0
    .wavefront_size: 64
  - .args:
      - .offset:         0
        .size:           416
        .value_kind:     by_value
      - .offset:         416
        .size:           416
        .value_kind:     by_value
      - .offset:         832
        .size:           416
        .value_kind:     by_value
      - .offset:         1248
        .size:           8
        .value_kind:     by_value
      - .offset:         1256
        .size:           8
        .value_kind:     by_value
      - .offset:         1264
        .size:           8
        .value_kind:     by_value
      - .offset:         1272
        .size:           8
        .value_kind:     by_value
      - .offset:         1280
        .size:           1
        .value_kind:     by_value
      - .offset:         1288
        .size:           4
        .value_kind:     hidden_block_count_x
      - .offset:         1292
        .size:           4
        .value_kind:     hidden_block_count_y
      - .offset:         1296
        .size:           4
        .value_kind:     hidden_block_count_z
      - .offset:         1300
        .size:           2
        .value_kind:     hidden_group_size_x
      - .offset:         1302
        .size:           2
        .value_kind:     hidden_group_size_y
      - .offset:         1304
        .size:           2
        .value_kind:     hidden_group_size_z
      - .offset:         1306
        .size:           2
        .value_kind:     hidden_remainder_x
      - .offset:         1308
        .size:           2
        .value_kind:     hidden_remainder_y
      - .offset:         1310
        .size:           2
        .value_kind:     hidden_remainder_z
      - .offset:         1328
        .size:           8
        .value_kind:     hidden_global_offset_x
      - .offset:         1336
        .size:           8
        .value_kind:     hidden_global_offset_y
      - .offset:         1344
        .size:           8
        .value_kind:     hidden_global_offset_z
      - .offset:         1352
        .size:           2
        .value_kind:     hidden_grid_dims
      - .offset:         1408
        .size:           4
        .value_kind:     hidden_dynamic_lds_size
    .group_segment_fixed_size: 0
    .kernarg_segment_align: 8
    .kernarg_segment_size: 1544
    .language:       OpenCL C
    .language_version:
      - 2
      - 0
    .max_flat_workgroup_size: 512
    .name:           _ZN2at4cuda17kernelHistogram1DIdslLi1ELi2ELin1ELNS0_23CUDAHistogramMemoryTypeE0EZNS0_21CUDA_tensor_histogramIdsLb1EEEbNS_6TensorES4_S4_lNS_14AccumulateTypeIT0_Lb1EE4typeES8_NS0_13TensorArgTypeES9_S9_EUllE0_EEvNS0_6detail10TensorInfoIT_T1_EESF_NSC_IKS6_SE_EElS8_S8_SE_T6_
    .private_segment_fixed_size: 0
    .sgpr_count:     56
    .sgpr_spill_count: 0
    .symbol:         _ZN2at4cuda17kernelHistogram1DIdslLi1ELi2ELin1ELNS0_23CUDAHistogramMemoryTypeE0EZNS0_21CUDA_tensor_histogramIdsLb1EEEbNS_6TensorES4_S4_lNS_14AccumulateTypeIT0_Lb1EE4typeES8_NS0_13TensorArgTypeES9_S9_EUllE0_EEvNS0_6detail10TensorInfoIT_T1_EESF_NSC_IKS6_SE_EElS8_S8_SE_T6_.kd
    .uniform_work_group_size: 1
    .uses_dynamic_stack: false
    .vgpr_count:     22
    .vgpr_spill_count: 0
    .wavefront_size: 64
  - .args:
      - .offset:         0
        .size:           416
        .value_kind:     by_value
      - .offset:         416
        .size:           416
        .value_kind:     by_value
      - .offset:         832
        .size:           416
        .value_kind:     by_value
      - .offset:         1248
        .size:           8
        .value_kind:     by_value
      - .offset:         1256
        .size:           8
        .value_kind:     by_value
      - .offset:         1264
        .size:           8
        .value_kind:     by_value
      - .offset:         1272
        .size:           8
        .value_kind:     by_value
      - .offset:         1280
        .size:           1
        .value_kind:     by_value
      - .offset:         1288
        .size:           4
        .value_kind:     hidden_block_count_x
      - .offset:         1292
        .size:           4
        .value_kind:     hidden_block_count_y
      - .offset:         1296
        .size:           4
        .value_kind:     hidden_block_count_z
      - .offset:         1300
        .size:           2
        .value_kind:     hidden_group_size_x
      - .offset:         1302
        .size:           2
        .value_kind:     hidden_group_size_y
      - .offset:         1304
        .size:           2
        .value_kind:     hidden_group_size_z
      - .offset:         1306
        .size:           2
        .value_kind:     hidden_remainder_x
      - .offset:         1308
        .size:           2
        .value_kind:     hidden_remainder_y
      - .offset:         1310
        .size:           2
        .value_kind:     hidden_remainder_z
      - .offset:         1328
        .size:           8
        .value_kind:     hidden_global_offset_x
      - .offset:         1336
        .size:           8
        .value_kind:     hidden_global_offset_y
      - .offset:         1344
        .size:           8
        .value_kind:     hidden_global_offset_z
      - .offset:         1352
        .size:           2
        .value_kind:     hidden_grid_dims
    .group_segment_fixed_size: 0
    .kernarg_segment_align: 8
    .kernarg_segment_size: 1544
    .language:       OpenCL C
    .language_version:
      - 2
      - 0
    .max_flat_workgroup_size: 512
    .name:           _ZN2at4cuda17kernelHistogram1DIdslLi1ELi2ELin1ELNS0_23CUDAHistogramMemoryTypeE1EZNS0_21CUDA_tensor_histogramIdsLb1EEEbNS_6TensorES4_S4_lNS_14AccumulateTypeIT0_Lb1EE4typeES8_NS0_13TensorArgTypeES9_S9_EUllE0_EEvNS0_6detail10TensorInfoIT_T1_EESF_NSC_IKS6_SE_EElS8_S8_SE_T6_
    .private_segment_fixed_size: 0
    .sgpr_count:     51
    .sgpr_spill_count: 0
    .symbol:         _ZN2at4cuda17kernelHistogram1DIdslLi1ELi2ELin1ELNS0_23CUDAHistogramMemoryTypeE1EZNS0_21CUDA_tensor_histogramIdsLb1EEEbNS_6TensorES4_S4_lNS_14AccumulateTypeIT0_Lb1EE4typeES8_NS0_13TensorArgTypeES9_S9_EUllE0_EEvNS0_6detail10TensorInfoIT_T1_EESF_NSC_IKS6_SE_EElS8_S8_SE_T6_.kd
    .uniform_work_group_size: 1
    .uses_dynamic_stack: false
    .vgpr_count:     18
    .vgpr_spill_count: 0
    .wavefront_size: 64
  - .args:
      - .offset:         0
        .size:           416
        .value_kind:     by_value
      - .offset:         416
        .size:           416
        .value_kind:     by_value
      - .offset:         832
        .size:           416
        .value_kind:     by_value
      - .offset:         1248
        .size:           8
        .value_kind:     by_value
      - .offset:         1256
        .size:           8
        .value_kind:     by_value
      - .offset:         1264
        .size:           8
        .value_kind:     by_value
      - .offset:         1272
        .size:           8
        .value_kind:     by_value
      - .offset:         1280
        .size:           416
        .value_kind:     by_value
      - .offset:         1696
        .size:           4
        .value_kind:     hidden_block_count_x
      - .offset:         1700
        .size:           4
        .value_kind:     hidden_block_count_y
      - .offset:         1704
        .size:           4
        .value_kind:     hidden_block_count_z
      - .offset:         1708
        .size:           2
        .value_kind:     hidden_group_size_x
      - .offset:         1710
        .size:           2
        .value_kind:     hidden_group_size_y
      - .offset:         1712
        .size:           2
        .value_kind:     hidden_group_size_z
      - .offset:         1714
        .size:           2
        .value_kind:     hidden_remainder_x
      - .offset:         1716
        .size:           2
        .value_kind:     hidden_remainder_y
      - .offset:         1718
        .size:           2
        .value_kind:     hidden_remainder_z
      - .offset:         1736
        .size:           8
        .value_kind:     hidden_global_offset_x
      - .offset:         1744
        .size:           8
        .value_kind:     hidden_global_offset_y
      - .offset:         1752
        .size:           8
        .value_kind:     hidden_global_offset_z
      - .offset:         1760
        .size:           2
        .value_kind:     hidden_grid_dims
      - .offset:         1816
        .size:           4
        .value_kind:     hidden_dynamic_lds_size
    .group_segment_fixed_size: 0
    .kernarg_segment_align: 8
    .kernarg_segment_size: 1952
    .language:       OpenCL C
    .language_version:
      - 2
      - 0
    .max_flat_workgroup_size: 512
    .name:           _ZN2at4cuda17kernelHistogram1DIhhlLi1ELi2ELin1ELNS0_23CUDAHistogramMemoryTypeE0EZNS0_21CUDA_tensor_histogramIhhLb0EEEbNS_6TensorES4_S4_lNS_14AccumulateTypeIT0_Lb1EE4typeES8_NS0_13TensorArgTypeES9_S9_EUllE_EEvNS0_6detail10TensorInfoIT_T1_EESF_NSC_IKS6_SE_EElS8_S8_SE_T6_
    .private_segment_fixed_size: 0
    .sgpr_count:     62
    .sgpr_spill_count: 0
    .symbol:         _ZN2at4cuda17kernelHistogram1DIhhlLi1ELi2ELin1ELNS0_23CUDAHistogramMemoryTypeE0EZNS0_21CUDA_tensor_histogramIhhLb0EEEbNS_6TensorES4_S4_lNS_14AccumulateTypeIT0_Lb1EE4typeES8_NS0_13TensorArgTypeES9_S9_EUllE_EEvNS0_6detail10TensorInfoIT_T1_EESF_NSC_IKS6_SE_EElS8_S8_SE_T6_.kd
    .uniform_work_group_size: 1
    .uses_dynamic_stack: false
    .vgpr_count:     22
    .vgpr_spill_count: 0
    .wavefront_size: 64
  - .args:
      - .offset:         0
        .size:           416
        .value_kind:     by_value
      - .offset:         416
        .size:           416
        .value_kind:     by_value
      - .offset:         832
        .size:           416
        .value_kind:     by_value
      - .offset:         1248
        .size:           8
        .value_kind:     by_value
      - .offset:         1256
        .size:           8
        .value_kind:     by_value
      - .offset:         1264
        .size:           8
        .value_kind:     by_value
      - .offset:         1272
        .size:           8
        .value_kind:     by_value
      - .offset:         1280
        .size:           416
        .value_kind:     by_value
      - .offset:         1696
        .size:           4
        .value_kind:     hidden_block_count_x
      - .offset:         1700
        .size:           4
        .value_kind:     hidden_block_count_y
      - .offset:         1704
        .size:           4
        .value_kind:     hidden_block_count_z
      - .offset:         1708
        .size:           2
        .value_kind:     hidden_group_size_x
      - .offset:         1710
        .size:           2
        .value_kind:     hidden_group_size_y
      - .offset:         1712
        .size:           2
        .value_kind:     hidden_group_size_z
      - .offset:         1714
        .size:           2
        .value_kind:     hidden_remainder_x
      - .offset:         1716
        .size:           2
        .value_kind:     hidden_remainder_y
      - .offset:         1718
        .size:           2
        .value_kind:     hidden_remainder_z
      - .offset:         1736
        .size:           8
        .value_kind:     hidden_global_offset_x
      - .offset:         1744
        .size:           8
        .value_kind:     hidden_global_offset_y
      - .offset:         1752
        .size:           8
        .value_kind:     hidden_global_offset_z
      - .offset:         1760
        .size:           2
        .value_kind:     hidden_grid_dims
    .group_segment_fixed_size: 0
    .kernarg_segment_align: 8
    .kernarg_segment_size: 1952
    .language:       OpenCL C
    .language_version:
      - 2
      - 0
    .max_flat_workgroup_size: 512
    .name:           _ZN2at4cuda17kernelHistogram1DIhhlLi1ELi2ELin1ELNS0_23CUDAHistogramMemoryTypeE1EZNS0_21CUDA_tensor_histogramIhhLb0EEEbNS_6TensorES4_S4_lNS_14AccumulateTypeIT0_Lb1EE4typeES8_NS0_13TensorArgTypeES9_S9_EUllE_EEvNS0_6detail10TensorInfoIT_T1_EESF_NSC_IKS6_SE_EElS8_S8_SE_T6_
    .private_segment_fixed_size: 0
    .sgpr_count:     57
    .sgpr_spill_count: 0
    .symbol:         _ZN2at4cuda17kernelHistogram1DIhhlLi1ELi2ELin1ELNS0_23CUDAHistogramMemoryTypeE1EZNS0_21CUDA_tensor_histogramIhhLb0EEEbNS_6TensorES4_S4_lNS_14AccumulateTypeIT0_Lb1EE4typeES8_NS0_13TensorArgTypeES9_S9_EUllE_EEvNS0_6detail10TensorInfoIT_T1_EESF_NSC_IKS6_SE_EElS8_S8_SE_T6_.kd
    .uniform_work_group_size: 1
    .uses_dynamic_stack: false
    .vgpr_count:     18
    .vgpr_spill_count: 0
    .wavefront_size: 64
  - .args:
      - .offset:         0
        .size:           416
        .value_kind:     by_value
      - .offset:         416
        .size:           416
        .value_kind:     by_value
      - .offset:         832
        .size:           416
        .value_kind:     by_value
      - .offset:         1248
        .size:           8
        .value_kind:     by_value
      - .offset:         1256
        .size:           8
        .value_kind:     by_value
      - .offset:         1264
        .size:           8
        .value_kind:     by_value
      - .offset:         1272
        .size:           8
        .value_kind:     by_value
      - .offset:         1280
        .size:           1
        .value_kind:     by_value
      - .offset:         1288
        .size:           4
        .value_kind:     hidden_block_count_x
      - .offset:         1292
        .size:           4
        .value_kind:     hidden_block_count_y
      - .offset:         1296
        .size:           4
        .value_kind:     hidden_block_count_z
      - .offset:         1300
        .size:           2
        .value_kind:     hidden_group_size_x
      - .offset:         1302
        .size:           2
        .value_kind:     hidden_group_size_y
      - .offset:         1304
        .size:           2
        .value_kind:     hidden_group_size_z
      - .offset:         1306
        .size:           2
        .value_kind:     hidden_remainder_x
      - .offset:         1308
        .size:           2
        .value_kind:     hidden_remainder_y
      - .offset:         1310
        .size:           2
        .value_kind:     hidden_remainder_z
      - .offset:         1328
        .size:           8
        .value_kind:     hidden_global_offset_x
      - .offset:         1336
        .size:           8
        .value_kind:     hidden_global_offset_y
      - .offset:         1344
        .size:           8
        .value_kind:     hidden_global_offset_z
      - .offset:         1352
        .size:           2
        .value_kind:     hidden_grid_dims
      - .offset:         1408
        .size:           4
        .value_kind:     hidden_dynamic_lds_size
    .group_segment_fixed_size: 0
    .kernarg_segment_align: 8
    .kernarg_segment_size: 1544
    .language:       OpenCL C
    .language_version:
      - 2
      - 0
    .max_flat_workgroup_size: 512
    .name:           _ZN2at4cuda17kernelHistogram1DIhhlLi1ELi2ELin1ELNS0_23CUDAHistogramMemoryTypeE0EZNS0_21CUDA_tensor_histogramIhhLb0EEEbNS_6TensorES4_S4_lNS_14AccumulateTypeIT0_Lb1EE4typeES8_NS0_13TensorArgTypeES9_S9_EUllE0_EEvNS0_6detail10TensorInfoIT_T1_EESF_NSC_IKS6_SE_EElS8_S8_SE_T6_
    .private_segment_fixed_size: 0
    .sgpr_count:     58
    .sgpr_spill_count: 0
    .symbol:         _ZN2at4cuda17kernelHistogram1DIhhlLi1ELi2ELin1ELNS0_23CUDAHistogramMemoryTypeE0EZNS0_21CUDA_tensor_histogramIhhLb0EEEbNS_6TensorES4_S4_lNS_14AccumulateTypeIT0_Lb1EE4typeES8_NS0_13TensorArgTypeES9_S9_EUllE0_EEvNS0_6detail10TensorInfoIT_T1_EESF_NSC_IKS6_SE_EElS8_S8_SE_T6_.kd
    .uniform_work_group_size: 1
    .uses_dynamic_stack: false
    .vgpr_count:     22
    .vgpr_spill_count: 0
    .wavefront_size: 64
  - .args:
      - .offset:         0
        .size:           416
        .value_kind:     by_value
      - .offset:         416
        .size:           416
        .value_kind:     by_value
      - .offset:         832
        .size:           416
        .value_kind:     by_value
      - .offset:         1248
        .size:           8
        .value_kind:     by_value
      - .offset:         1256
        .size:           8
        .value_kind:     by_value
      - .offset:         1264
        .size:           8
        .value_kind:     by_value
      - .offset:         1272
        .size:           8
        .value_kind:     by_value
      - .offset:         1280
        .size:           1
        .value_kind:     by_value
      - .offset:         1288
        .size:           4
        .value_kind:     hidden_block_count_x
      - .offset:         1292
        .size:           4
        .value_kind:     hidden_block_count_y
      - .offset:         1296
        .size:           4
        .value_kind:     hidden_block_count_z
      - .offset:         1300
        .size:           2
        .value_kind:     hidden_group_size_x
      - .offset:         1302
        .size:           2
        .value_kind:     hidden_group_size_y
      - .offset:         1304
        .size:           2
        .value_kind:     hidden_group_size_z
      - .offset:         1306
        .size:           2
        .value_kind:     hidden_remainder_x
      - .offset:         1308
        .size:           2
        .value_kind:     hidden_remainder_y
      - .offset:         1310
        .size:           2
        .value_kind:     hidden_remainder_z
      - .offset:         1328
        .size:           8
        .value_kind:     hidden_global_offset_x
      - .offset:         1336
        .size:           8
        .value_kind:     hidden_global_offset_y
      - .offset:         1344
        .size:           8
        .value_kind:     hidden_global_offset_z
      - .offset:         1352
        .size:           2
        .value_kind:     hidden_grid_dims
    .group_segment_fixed_size: 0
    .kernarg_segment_align: 8
    .kernarg_segment_size: 1544
    .language:       OpenCL C
    .language_version:
      - 2
      - 0
    .max_flat_workgroup_size: 512
    .name:           _ZN2at4cuda17kernelHistogram1DIhhlLi1ELi2ELin1ELNS0_23CUDAHistogramMemoryTypeE1EZNS0_21CUDA_tensor_histogramIhhLb0EEEbNS_6TensorES4_S4_lNS_14AccumulateTypeIT0_Lb1EE4typeES8_NS0_13TensorArgTypeES9_S9_EUllE0_EEvNS0_6detail10TensorInfoIT_T1_EESF_NSC_IKS6_SE_EElS8_S8_SE_T6_
    .private_segment_fixed_size: 0
    .sgpr_count:     53
    .sgpr_spill_count: 0
    .symbol:         _ZN2at4cuda17kernelHistogram1DIhhlLi1ELi2ELin1ELNS0_23CUDAHistogramMemoryTypeE1EZNS0_21CUDA_tensor_histogramIhhLb0EEEbNS_6TensorES4_S4_lNS_14AccumulateTypeIT0_Lb1EE4typeES8_NS0_13TensorArgTypeES9_S9_EUllE0_EEvNS0_6detail10TensorInfoIT_T1_EESF_NSC_IKS6_SE_EElS8_S8_SE_T6_.kd
    .uniform_work_group_size: 1
    .uses_dynamic_stack: false
    .vgpr_count:     18
    .vgpr_spill_count: 0
    .wavefront_size: 64
  - .args:
      - .offset:         0
        .size:           416
        .value_kind:     by_value
      - .offset:         416
        .size:           416
        .value_kind:     by_value
      - .offset:         832
        .size:           416
        .value_kind:     by_value
      - .offset:         1248
        .size:           8
        .value_kind:     by_value
      - .offset:         1256
        .size:           8
        .value_kind:     by_value
      - .offset:         1264
        .size:           8
        .value_kind:     by_value
      - .offset:         1272
        .size:           8
        .value_kind:     by_value
      - .offset:         1280
        .size:           416
        .value_kind:     by_value
      - .offset:         1696
        .size:           4
        .value_kind:     hidden_block_count_x
      - .offset:         1700
        .size:           4
        .value_kind:     hidden_block_count_y
      - .offset:         1704
        .size:           4
        .value_kind:     hidden_block_count_z
      - .offset:         1708
        .size:           2
        .value_kind:     hidden_group_size_x
      - .offset:         1710
        .size:           2
        .value_kind:     hidden_group_size_y
      - .offset:         1712
        .size:           2
        .value_kind:     hidden_group_size_z
      - .offset:         1714
        .size:           2
        .value_kind:     hidden_remainder_x
      - .offset:         1716
        .size:           2
        .value_kind:     hidden_remainder_y
      - .offset:         1718
        .size:           2
        .value_kind:     hidden_remainder_z
      - .offset:         1736
        .size:           8
        .value_kind:     hidden_global_offset_x
      - .offset:         1744
        .size:           8
        .value_kind:     hidden_global_offset_y
      - .offset:         1752
        .size:           8
        .value_kind:     hidden_global_offset_z
      - .offset:         1760
        .size:           2
        .value_kind:     hidden_grid_dims
      - .offset:         1816
        .size:           4
        .value_kind:     hidden_dynamic_lds_size
    .group_segment_fixed_size: 0
    .kernarg_segment_align: 8
    .kernarg_segment_size: 1952
    .language:       OpenCL C
    .language_version:
      - 2
      - 0
    .max_flat_workgroup_size: 512
    .name:           _ZN2at4cuda17kernelHistogram1DIaalLi1ELi2ELin1ELNS0_23CUDAHistogramMemoryTypeE0EZNS0_21CUDA_tensor_histogramIaaLb0EEEbNS_6TensorES4_S4_lNS_14AccumulateTypeIT0_Lb1EE4typeES8_NS0_13TensorArgTypeES9_S9_EUllE_EEvNS0_6detail10TensorInfoIT_T1_EESF_NSC_IKS6_SE_EElS8_S8_SE_T6_
    .private_segment_fixed_size: 0
    .sgpr_count:     61
    .sgpr_spill_count: 0
    .symbol:         _ZN2at4cuda17kernelHistogram1DIaalLi1ELi2ELin1ELNS0_23CUDAHistogramMemoryTypeE0EZNS0_21CUDA_tensor_histogramIaaLb0EEEbNS_6TensorES4_S4_lNS_14AccumulateTypeIT0_Lb1EE4typeES8_NS0_13TensorArgTypeES9_S9_EUllE_EEvNS0_6detail10TensorInfoIT_T1_EESF_NSC_IKS6_SE_EElS8_S8_SE_T6_.kd
    .uniform_work_group_size: 1
    .uses_dynamic_stack: false
    .vgpr_count:     22
    .vgpr_spill_count: 0
    .wavefront_size: 64
  - .args:
      - .offset:         0
        .size:           416
        .value_kind:     by_value
      - .offset:         416
        .size:           416
        .value_kind:     by_value
      - .offset:         832
        .size:           416
        .value_kind:     by_value
      - .offset:         1248
        .size:           8
        .value_kind:     by_value
      - .offset:         1256
        .size:           8
        .value_kind:     by_value
      - .offset:         1264
        .size:           8
        .value_kind:     by_value
      - .offset:         1272
        .size:           8
        .value_kind:     by_value
      - .offset:         1280
        .size:           416
        .value_kind:     by_value
      - .offset:         1696
        .size:           4
        .value_kind:     hidden_block_count_x
      - .offset:         1700
        .size:           4
        .value_kind:     hidden_block_count_y
      - .offset:         1704
        .size:           4
        .value_kind:     hidden_block_count_z
      - .offset:         1708
        .size:           2
        .value_kind:     hidden_group_size_x
      - .offset:         1710
        .size:           2
        .value_kind:     hidden_group_size_y
      - .offset:         1712
        .size:           2
        .value_kind:     hidden_group_size_z
      - .offset:         1714
        .size:           2
        .value_kind:     hidden_remainder_x
      - .offset:         1716
        .size:           2
        .value_kind:     hidden_remainder_y
      - .offset:         1718
        .size:           2
        .value_kind:     hidden_remainder_z
      - .offset:         1736
        .size:           8
        .value_kind:     hidden_global_offset_x
      - .offset:         1744
        .size:           8
        .value_kind:     hidden_global_offset_y
      - .offset:         1752
        .size:           8
        .value_kind:     hidden_global_offset_z
      - .offset:         1760
        .size:           2
        .value_kind:     hidden_grid_dims
    .group_segment_fixed_size: 0
    .kernarg_segment_align: 8
    .kernarg_segment_size: 1952
    .language:       OpenCL C
    .language_version:
      - 2
      - 0
    .max_flat_workgroup_size: 512
    .name:           _ZN2at4cuda17kernelHistogram1DIaalLi1ELi2ELin1ELNS0_23CUDAHistogramMemoryTypeE1EZNS0_21CUDA_tensor_histogramIaaLb0EEEbNS_6TensorES4_S4_lNS_14AccumulateTypeIT0_Lb1EE4typeES8_NS0_13TensorArgTypeES9_S9_EUllE_EEvNS0_6detail10TensorInfoIT_T1_EESF_NSC_IKS6_SE_EElS8_S8_SE_T6_
    .private_segment_fixed_size: 0
    .sgpr_count:     56
    .sgpr_spill_count: 0
    .symbol:         _ZN2at4cuda17kernelHistogram1DIaalLi1ELi2ELin1ELNS0_23CUDAHistogramMemoryTypeE1EZNS0_21CUDA_tensor_histogramIaaLb0EEEbNS_6TensorES4_S4_lNS_14AccumulateTypeIT0_Lb1EE4typeES8_NS0_13TensorArgTypeES9_S9_EUllE_EEvNS0_6detail10TensorInfoIT_T1_EESF_NSC_IKS6_SE_EElS8_S8_SE_T6_.kd
    .uniform_work_group_size: 1
    .uses_dynamic_stack: false
    .vgpr_count:     18
    .vgpr_spill_count: 0
    .wavefront_size: 64
  - .args:
      - .offset:         0
        .size:           416
        .value_kind:     by_value
      - .offset:         416
        .size:           416
        .value_kind:     by_value
      - .offset:         832
        .size:           416
        .value_kind:     by_value
      - .offset:         1248
        .size:           8
        .value_kind:     by_value
      - .offset:         1256
        .size:           8
        .value_kind:     by_value
      - .offset:         1264
        .size:           8
        .value_kind:     by_value
      - .offset:         1272
        .size:           8
        .value_kind:     by_value
      - .offset:         1280
        .size:           1
        .value_kind:     by_value
      - .offset:         1288
        .size:           4
        .value_kind:     hidden_block_count_x
      - .offset:         1292
        .size:           4
        .value_kind:     hidden_block_count_y
      - .offset:         1296
        .size:           4
        .value_kind:     hidden_block_count_z
      - .offset:         1300
        .size:           2
        .value_kind:     hidden_group_size_x
      - .offset:         1302
        .size:           2
        .value_kind:     hidden_group_size_y
      - .offset:         1304
        .size:           2
        .value_kind:     hidden_group_size_z
      - .offset:         1306
        .size:           2
        .value_kind:     hidden_remainder_x
      - .offset:         1308
        .size:           2
        .value_kind:     hidden_remainder_y
      - .offset:         1310
        .size:           2
        .value_kind:     hidden_remainder_z
      - .offset:         1328
        .size:           8
        .value_kind:     hidden_global_offset_x
      - .offset:         1336
        .size:           8
        .value_kind:     hidden_global_offset_y
      - .offset:         1344
        .size:           8
        .value_kind:     hidden_global_offset_z
      - .offset:         1352
        .size:           2
        .value_kind:     hidden_grid_dims
      - .offset:         1408
        .size:           4
        .value_kind:     hidden_dynamic_lds_size
    .group_segment_fixed_size: 0
    .kernarg_segment_align: 8
    .kernarg_segment_size: 1544
    .language:       OpenCL C
    .language_version:
      - 2
      - 0
    .max_flat_workgroup_size: 512
    .name:           _ZN2at4cuda17kernelHistogram1DIaalLi1ELi2ELin1ELNS0_23CUDAHistogramMemoryTypeE0EZNS0_21CUDA_tensor_histogramIaaLb0EEEbNS_6TensorES4_S4_lNS_14AccumulateTypeIT0_Lb1EE4typeES8_NS0_13TensorArgTypeES9_S9_EUllE0_EEvNS0_6detail10TensorInfoIT_T1_EESF_NSC_IKS6_SE_EElS8_S8_SE_T6_
    .private_segment_fixed_size: 0
    .sgpr_count:     57
    .sgpr_spill_count: 0
    .symbol:         _ZN2at4cuda17kernelHistogram1DIaalLi1ELi2ELin1ELNS0_23CUDAHistogramMemoryTypeE0EZNS0_21CUDA_tensor_histogramIaaLb0EEEbNS_6TensorES4_S4_lNS_14AccumulateTypeIT0_Lb1EE4typeES8_NS0_13TensorArgTypeES9_S9_EUllE0_EEvNS0_6detail10TensorInfoIT_T1_EESF_NSC_IKS6_SE_EElS8_S8_SE_T6_.kd
    .uniform_work_group_size: 1
    .uses_dynamic_stack: false
    .vgpr_count:     22
    .vgpr_spill_count: 0
    .wavefront_size: 64
  - .args:
      - .offset:         0
        .size:           416
        .value_kind:     by_value
      - .offset:         416
        .size:           416
        .value_kind:     by_value
      - .offset:         832
        .size:           416
        .value_kind:     by_value
      - .offset:         1248
        .size:           8
        .value_kind:     by_value
      - .offset:         1256
        .size:           8
        .value_kind:     by_value
      - .offset:         1264
        .size:           8
        .value_kind:     by_value
      - .offset:         1272
        .size:           8
        .value_kind:     by_value
      - .offset:         1280
        .size:           1
        .value_kind:     by_value
      - .offset:         1288
        .size:           4
        .value_kind:     hidden_block_count_x
      - .offset:         1292
        .size:           4
        .value_kind:     hidden_block_count_y
      - .offset:         1296
        .size:           4
        .value_kind:     hidden_block_count_z
      - .offset:         1300
        .size:           2
        .value_kind:     hidden_group_size_x
      - .offset:         1302
        .size:           2
        .value_kind:     hidden_group_size_y
      - .offset:         1304
        .size:           2
        .value_kind:     hidden_group_size_z
      - .offset:         1306
        .size:           2
        .value_kind:     hidden_remainder_x
      - .offset:         1308
        .size:           2
        .value_kind:     hidden_remainder_y
      - .offset:         1310
        .size:           2
        .value_kind:     hidden_remainder_z
      - .offset:         1328
        .size:           8
        .value_kind:     hidden_global_offset_x
      - .offset:         1336
        .size:           8
        .value_kind:     hidden_global_offset_y
      - .offset:         1344
        .size:           8
        .value_kind:     hidden_global_offset_z
      - .offset:         1352
        .size:           2
        .value_kind:     hidden_grid_dims
    .group_segment_fixed_size: 0
    .kernarg_segment_align: 8
    .kernarg_segment_size: 1544
    .language:       OpenCL C
    .language_version:
      - 2
      - 0
    .max_flat_workgroup_size: 512
    .name:           _ZN2at4cuda17kernelHistogram1DIaalLi1ELi2ELin1ELNS0_23CUDAHistogramMemoryTypeE1EZNS0_21CUDA_tensor_histogramIaaLb0EEEbNS_6TensorES4_S4_lNS_14AccumulateTypeIT0_Lb1EE4typeES8_NS0_13TensorArgTypeES9_S9_EUllE0_EEvNS0_6detail10TensorInfoIT_T1_EESF_NSC_IKS6_SE_EElS8_S8_SE_T6_
    .private_segment_fixed_size: 0
    .sgpr_count:     52
    .sgpr_spill_count: 0
    .symbol:         _ZN2at4cuda17kernelHistogram1DIaalLi1ELi2ELin1ELNS0_23CUDAHistogramMemoryTypeE1EZNS0_21CUDA_tensor_histogramIaaLb0EEEbNS_6TensorES4_S4_lNS_14AccumulateTypeIT0_Lb1EE4typeES8_NS0_13TensorArgTypeES9_S9_EUllE0_EEvNS0_6detail10TensorInfoIT_T1_EESF_NSC_IKS6_SE_EElS8_S8_SE_T6_.kd
    .uniform_work_group_size: 1
    .uses_dynamic_stack: false
    .vgpr_count:     18
    .vgpr_spill_count: 0
    .wavefront_size: 64
  - .args:
      - .offset:         0
        .size:           416
        .value_kind:     by_value
      - .offset:         416
        .size:           416
        .value_kind:     by_value
      - .offset:         832
        .size:           416
        .value_kind:     by_value
      - .offset:         1248
        .size:           8
        .value_kind:     by_value
      - .offset:         1256
        .size:           8
        .value_kind:     by_value
      - .offset:         1264
        .size:           8
        .value_kind:     by_value
      - .offset:         1272
        .size:           8
        .value_kind:     by_value
      - .offset:         1280
        .size:           416
        .value_kind:     by_value
      - .offset:         1696
        .size:           4
        .value_kind:     hidden_block_count_x
      - .offset:         1700
        .size:           4
        .value_kind:     hidden_block_count_y
      - .offset:         1704
        .size:           4
        .value_kind:     hidden_block_count_z
      - .offset:         1708
        .size:           2
        .value_kind:     hidden_group_size_x
      - .offset:         1710
        .size:           2
        .value_kind:     hidden_group_size_y
      - .offset:         1712
        .size:           2
        .value_kind:     hidden_group_size_z
      - .offset:         1714
        .size:           2
        .value_kind:     hidden_remainder_x
      - .offset:         1716
        .size:           2
        .value_kind:     hidden_remainder_y
      - .offset:         1718
        .size:           2
        .value_kind:     hidden_remainder_z
      - .offset:         1736
        .size:           8
        .value_kind:     hidden_global_offset_x
      - .offset:         1744
        .size:           8
        .value_kind:     hidden_global_offset_y
      - .offset:         1752
        .size:           8
        .value_kind:     hidden_global_offset_z
      - .offset:         1760
        .size:           2
        .value_kind:     hidden_grid_dims
      - .offset:         1816
        .size:           4
        .value_kind:     hidden_dynamic_lds_size
    .group_segment_fixed_size: 0
    .kernarg_segment_align: 8
    .kernarg_segment_size: 1952
    .language:       OpenCL C
    .language_version:
      - 2
      - 0
    .max_flat_workgroup_size: 512
    .name:           _ZN2at4cuda17kernelHistogram1DIiilLi1ELi2ELin1ELNS0_23CUDAHistogramMemoryTypeE0EZNS0_21CUDA_tensor_histogramIiiLb0EEEbNS_6TensorES4_S4_lNS_14AccumulateTypeIT0_Lb1EE4typeES8_NS0_13TensorArgTypeES9_S9_EUllE_EEvNS0_6detail10TensorInfoIT_T1_EESF_NSC_IKS6_SE_EElS8_S8_SE_T6_
    .private_segment_fixed_size: 0
    .sgpr_count:     60
    .sgpr_spill_count: 0
    .symbol:         _ZN2at4cuda17kernelHistogram1DIiilLi1ELi2ELin1ELNS0_23CUDAHistogramMemoryTypeE0EZNS0_21CUDA_tensor_histogramIiiLb0EEEbNS_6TensorES4_S4_lNS_14AccumulateTypeIT0_Lb1EE4typeES8_NS0_13TensorArgTypeES9_S9_EUllE_EEvNS0_6detail10TensorInfoIT_T1_EESF_NSC_IKS6_SE_EElS8_S8_SE_T6_.kd
    .uniform_work_group_size: 1
    .uses_dynamic_stack: false
    .vgpr_count:     24
    .vgpr_spill_count: 0
    .wavefront_size: 64
  - .args:
      - .offset:         0
        .size:           416
        .value_kind:     by_value
      - .offset:         416
        .size:           416
        .value_kind:     by_value
      - .offset:         832
        .size:           416
        .value_kind:     by_value
      - .offset:         1248
        .size:           8
        .value_kind:     by_value
      - .offset:         1256
        .size:           8
        .value_kind:     by_value
      - .offset:         1264
        .size:           8
        .value_kind:     by_value
      - .offset:         1272
        .size:           8
        .value_kind:     by_value
      - .offset:         1280
        .size:           416
        .value_kind:     by_value
      - .offset:         1696
        .size:           4
        .value_kind:     hidden_block_count_x
      - .offset:         1700
        .size:           4
        .value_kind:     hidden_block_count_y
      - .offset:         1704
        .size:           4
        .value_kind:     hidden_block_count_z
      - .offset:         1708
        .size:           2
        .value_kind:     hidden_group_size_x
      - .offset:         1710
        .size:           2
        .value_kind:     hidden_group_size_y
      - .offset:         1712
        .size:           2
        .value_kind:     hidden_group_size_z
      - .offset:         1714
        .size:           2
        .value_kind:     hidden_remainder_x
      - .offset:         1716
        .size:           2
        .value_kind:     hidden_remainder_y
      - .offset:         1718
        .size:           2
        .value_kind:     hidden_remainder_z
      - .offset:         1736
        .size:           8
        .value_kind:     hidden_global_offset_x
      - .offset:         1744
        .size:           8
        .value_kind:     hidden_global_offset_y
      - .offset:         1752
        .size:           8
        .value_kind:     hidden_global_offset_z
      - .offset:         1760
        .size:           2
        .value_kind:     hidden_grid_dims
    .group_segment_fixed_size: 0
    .kernarg_segment_align: 8
    .kernarg_segment_size: 1952
    .language:       OpenCL C
    .language_version:
      - 2
      - 0
    .max_flat_workgroup_size: 512
    .name:           _ZN2at4cuda17kernelHistogram1DIiilLi1ELi2ELin1ELNS0_23CUDAHistogramMemoryTypeE1EZNS0_21CUDA_tensor_histogramIiiLb0EEEbNS_6TensorES4_S4_lNS_14AccumulateTypeIT0_Lb1EE4typeES8_NS0_13TensorArgTypeES9_S9_EUllE_EEvNS0_6detail10TensorInfoIT_T1_EESF_NSC_IKS6_SE_EElS8_S8_SE_T6_
    .private_segment_fixed_size: 0
    .sgpr_count:     55
    .sgpr_spill_count: 0
    .symbol:         _ZN2at4cuda17kernelHistogram1DIiilLi1ELi2ELin1ELNS0_23CUDAHistogramMemoryTypeE1EZNS0_21CUDA_tensor_histogramIiiLb0EEEbNS_6TensorES4_S4_lNS_14AccumulateTypeIT0_Lb1EE4typeES8_NS0_13TensorArgTypeES9_S9_EUllE_EEvNS0_6detail10TensorInfoIT_T1_EESF_NSC_IKS6_SE_EElS8_S8_SE_T6_.kd
    .uniform_work_group_size: 1
    .uses_dynamic_stack: false
    .vgpr_count:     18
    .vgpr_spill_count: 0
    .wavefront_size: 64
  - .args:
      - .offset:         0
        .size:           416
        .value_kind:     by_value
      - .offset:         416
        .size:           416
        .value_kind:     by_value
      - .offset:         832
        .size:           416
        .value_kind:     by_value
      - .offset:         1248
        .size:           8
        .value_kind:     by_value
      - .offset:         1256
        .size:           8
        .value_kind:     by_value
      - .offset:         1264
        .size:           8
        .value_kind:     by_value
      - .offset:         1272
        .size:           8
        .value_kind:     by_value
      - .offset:         1280
        .size:           1
        .value_kind:     by_value
      - .offset:         1288
        .size:           4
        .value_kind:     hidden_block_count_x
      - .offset:         1292
        .size:           4
        .value_kind:     hidden_block_count_y
      - .offset:         1296
        .size:           4
        .value_kind:     hidden_block_count_z
      - .offset:         1300
        .size:           2
        .value_kind:     hidden_group_size_x
      - .offset:         1302
        .size:           2
        .value_kind:     hidden_group_size_y
      - .offset:         1304
        .size:           2
        .value_kind:     hidden_group_size_z
      - .offset:         1306
        .size:           2
        .value_kind:     hidden_remainder_x
      - .offset:         1308
        .size:           2
        .value_kind:     hidden_remainder_y
      - .offset:         1310
        .size:           2
        .value_kind:     hidden_remainder_z
      - .offset:         1328
        .size:           8
        .value_kind:     hidden_global_offset_x
      - .offset:         1336
        .size:           8
        .value_kind:     hidden_global_offset_y
      - .offset:         1344
        .size:           8
        .value_kind:     hidden_global_offset_z
      - .offset:         1352
        .size:           2
        .value_kind:     hidden_grid_dims
      - .offset:         1408
        .size:           4
        .value_kind:     hidden_dynamic_lds_size
    .group_segment_fixed_size: 0
    .kernarg_segment_align: 8
    .kernarg_segment_size: 1544
    .language:       OpenCL C
    .language_version:
      - 2
      - 0
    .max_flat_workgroup_size: 512
    .name:           _ZN2at4cuda17kernelHistogram1DIiilLi1ELi2ELin1ELNS0_23CUDAHistogramMemoryTypeE0EZNS0_21CUDA_tensor_histogramIiiLb0EEEbNS_6TensorES4_S4_lNS_14AccumulateTypeIT0_Lb1EE4typeES8_NS0_13TensorArgTypeES9_S9_EUllE0_EEvNS0_6detail10TensorInfoIT_T1_EESF_NSC_IKS6_SE_EElS8_S8_SE_T6_
    .private_segment_fixed_size: 0
    .sgpr_count:     56
    .sgpr_spill_count: 0
    .symbol:         _ZN2at4cuda17kernelHistogram1DIiilLi1ELi2ELin1ELNS0_23CUDAHistogramMemoryTypeE0EZNS0_21CUDA_tensor_histogramIiiLb0EEEbNS_6TensorES4_S4_lNS_14AccumulateTypeIT0_Lb1EE4typeES8_NS0_13TensorArgTypeES9_S9_EUllE0_EEvNS0_6detail10TensorInfoIT_T1_EESF_NSC_IKS6_SE_EElS8_S8_SE_T6_.kd
    .uniform_work_group_size: 1
    .uses_dynamic_stack: false
    .vgpr_count:     24
    .vgpr_spill_count: 0
    .wavefront_size: 64
  - .args:
      - .offset:         0
        .size:           416
        .value_kind:     by_value
      - .offset:         416
        .size:           416
        .value_kind:     by_value
      - .offset:         832
        .size:           416
        .value_kind:     by_value
      - .offset:         1248
        .size:           8
        .value_kind:     by_value
      - .offset:         1256
        .size:           8
        .value_kind:     by_value
      - .offset:         1264
        .size:           8
        .value_kind:     by_value
      - .offset:         1272
        .size:           8
        .value_kind:     by_value
      - .offset:         1280
        .size:           1
        .value_kind:     by_value
      - .offset:         1288
        .size:           4
        .value_kind:     hidden_block_count_x
      - .offset:         1292
        .size:           4
        .value_kind:     hidden_block_count_y
      - .offset:         1296
        .size:           4
        .value_kind:     hidden_block_count_z
      - .offset:         1300
        .size:           2
        .value_kind:     hidden_group_size_x
      - .offset:         1302
        .size:           2
        .value_kind:     hidden_group_size_y
      - .offset:         1304
        .size:           2
        .value_kind:     hidden_group_size_z
      - .offset:         1306
        .size:           2
        .value_kind:     hidden_remainder_x
      - .offset:         1308
        .size:           2
        .value_kind:     hidden_remainder_y
      - .offset:         1310
        .size:           2
        .value_kind:     hidden_remainder_z
      - .offset:         1328
        .size:           8
        .value_kind:     hidden_global_offset_x
      - .offset:         1336
        .size:           8
        .value_kind:     hidden_global_offset_y
      - .offset:         1344
        .size:           8
        .value_kind:     hidden_global_offset_z
      - .offset:         1352
        .size:           2
        .value_kind:     hidden_grid_dims
    .group_segment_fixed_size: 0
    .kernarg_segment_align: 8
    .kernarg_segment_size: 1544
    .language:       OpenCL C
    .language_version:
      - 2
      - 0
    .max_flat_workgroup_size: 512
    .name:           _ZN2at4cuda17kernelHistogram1DIiilLi1ELi2ELin1ELNS0_23CUDAHistogramMemoryTypeE1EZNS0_21CUDA_tensor_histogramIiiLb0EEEbNS_6TensorES4_S4_lNS_14AccumulateTypeIT0_Lb1EE4typeES8_NS0_13TensorArgTypeES9_S9_EUllE0_EEvNS0_6detail10TensorInfoIT_T1_EESF_NSC_IKS6_SE_EElS8_S8_SE_T6_
    .private_segment_fixed_size: 0
    .sgpr_count:     51
    .sgpr_spill_count: 0
    .symbol:         _ZN2at4cuda17kernelHistogram1DIiilLi1ELi2ELin1ELNS0_23CUDAHistogramMemoryTypeE1EZNS0_21CUDA_tensor_histogramIiiLb0EEEbNS_6TensorES4_S4_lNS_14AccumulateTypeIT0_Lb1EE4typeES8_NS0_13TensorArgTypeES9_S9_EUllE0_EEvNS0_6detail10TensorInfoIT_T1_EESF_NSC_IKS6_SE_EElS8_S8_SE_T6_.kd
    .uniform_work_group_size: 1
    .uses_dynamic_stack: false
    .vgpr_count:     19
    .vgpr_spill_count: 0
    .wavefront_size: 64
  - .args:
      - .offset:         0
        .size:           416
        .value_kind:     by_value
      - .offset:         416
        .size:           416
        .value_kind:     by_value
      - .offset:         832
        .size:           416
        .value_kind:     by_value
      - .offset:         1248
        .size:           8
        .value_kind:     by_value
      - .offset:         1256
        .size:           8
        .value_kind:     by_value
      - .offset:         1264
        .size:           8
        .value_kind:     by_value
      - .offset:         1272
        .size:           8
        .value_kind:     by_value
      - .offset:         1280
        .size:           416
        .value_kind:     by_value
      - .offset:         1696
        .size:           4
        .value_kind:     hidden_block_count_x
      - .offset:         1700
        .size:           4
        .value_kind:     hidden_block_count_y
      - .offset:         1704
        .size:           4
        .value_kind:     hidden_block_count_z
      - .offset:         1708
        .size:           2
        .value_kind:     hidden_group_size_x
      - .offset:         1710
        .size:           2
        .value_kind:     hidden_group_size_y
      - .offset:         1712
        .size:           2
        .value_kind:     hidden_group_size_z
      - .offset:         1714
        .size:           2
        .value_kind:     hidden_remainder_x
      - .offset:         1716
        .size:           2
        .value_kind:     hidden_remainder_y
      - .offset:         1718
        .size:           2
        .value_kind:     hidden_remainder_z
      - .offset:         1736
        .size:           8
        .value_kind:     hidden_global_offset_x
      - .offset:         1744
        .size:           8
        .value_kind:     hidden_global_offset_y
      - .offset:         1752
        .size:           8
        .value_kind:     hidden_global_offset_z
      - .offset:         1760
        .size:           2
        .value_kind:     hidden_grid_dims
      - .offset:         1816
        .size:           4
        .value_kind:     hidden_dynamic_lds_size
    .group_segment_fixed_size: 0
    .kernarg_segment_align: 8
    .kernarg_segment_size: 1952
    .language:       OpenCL C
    .language_version:
      - 2
      - 0
    .max_flat_workgroup_size: 512
    .name:           _ZN2at4cuda17kernelHistogram1DIsslLi1ELi2ELin1ELNS0_23CUDAHistogramMemoryTypeE0EZNS0_21CUDA_tensor_histogramIssLb0EEEbNS_6TensorES4_S4_lNS_14AccumulateTypeIT0_Lb1EE4typeES8_NS0_13TensorArgTypeES9_S9_EUllE_EEvNS0_6detail10TensorInfoIT_T1_EESF_NSC_IKS6_SE_EElS8_S8_SE_T6_
    .private_segment_fixed_size: 0
    .sgpr_count:     61
    .sgpr_spill_count: 0
    .symbol:         _ZN2at4cuda17kernelHistogram1DIsslLi1ELi2ELin1ELNS0_23CUDAHistogramMemoryTypeE0EZNS0_21CUDA_tensor_histogramIssLb0EEEbNS_6TensorES4_S4_lNS_14AccumulateTypeIT0_Lb1EE4typeES8_NS0_13TensorArgTypeES9_S9_EUllE_EEvNS0_6detail10TensorInfoIT_T1_EESF_NSC_IKS6_SE_EElS8_S8_SE_T6_.kd
    .uniform_work_group_size: 1
    .uses_dynamic_stack: false
    .vgpr_count:     22
    .vgpr_spill_count: 0
    .wavefront_size: 64
  - .args:
      - .offset:         0
        .size:           416
        .value_kind:     by_value
      - .offset:         416
        .size:           416
        .value_kind:     by_value
      - .offset:         832
        .size:           416
        .value_kind:     by_value
      - .offset:         1248
        .size:           8
        .value_kind:     by_value
      - .offset:         1256
        .size:           8
        .value_kind:     by_value
      - .offset:         1264
        .size:           8
        .value_kind:     by_value
      - .offset:         1272
        .size:           8
        .value_kind:     by_value
      - .offset:         1280
        .size:           416
        .value_kind:     by_value
      - .offset:         1696
        .size:           4
        .value_kind:     hidden_block_count_x
      - .offset:         1700
        .size:           4
        .value_kind:     hidden_block_count_y
      - .offset:         1704
        .size:           4
        .value_kind:     hidden_block_count_z
      - .offset:         1708
        .size:           2
        .value_kind:     hidden_group_size_x
      - .offset:         1710
        .size:           2
        .value_kind:     hidden_group_size_y
      - .offset:         1712
        .size:           2
        .value_kind:     hidden_group_size_z
      - .offset:         1714
        .size:           2
        .value_kind:     hidden_remainder_x
      - .offset:         1716
        .size:           2
        .value_kind:     hidden_remainder_y
      - .offset:         1718
        .size:           2
        .value_kind:     hidden_remainder_z
      - .offset:         1736
        .size:           8
        .value_kind:     hidden_global_offset_x
      - .offset:         1744
        .size:           8
        .value_kind:     hidden_global_offset_y
      - .offset:         1752
        .size:           8
        .value_kind:     hidden_global_offset_z
      - .offset:         1760
        .size:           2
        .value_kind:     hidden_grid_dims
    .group_segment_fixed_size: 0
    .kernarg_segment_align: 8
    .kernarg_segment_size: 1952
    .language:       OpenCL C
    .language_version:
      - 2
      - 0
    .max_flat_workgroup_size: 512
    .name:           _ZN2at4cuda17kernelHistogram1DIsslLi1ELi2ELin1ELNS0_23CUDAHistogramMemoryTypeE1EZNS0_21CUDA_tensor_histogramIssLb0EEEbNS_6TensorES4_S4_lNS_14AccumulateTypeIT0_Lb1EE4typeES8_NS0_13TensorArgTypeES9_S9_EUllE_EEvNS0_6detail10TensorInfoIT_T1_EESF_NSC_IKS6_SE_EElS8_S8_SE_T6_
    .private_segment_fixed_size: 0
    .sgpr_count:     56
    .sgpr_spill_count: 0
    .symbol:         _ZN2at4cuda17kernelHistogram1DIsslLi1ELi2ELin1ELNS0_23CUDAHistogramMemoryTypeE1EZNS0_21CUDA_tensor_histogramIssLb0EEEbNS_6TensorES4_S4_lNS_14AccumulateTypeIT0_Lb1EE4typeES8_NS0_13TensorArgTypeES9_S9_EUllE_EEvNS0_6detail10TensorInfoIT_T1_EESF_NSC_IKS6_SE_EElS8_S8_SE_T6_.kd
    .uniform_work_group_size: 1
    .uses_dynamic_stack: false
    .vgpr_count:     18
    .vgpr_spill_count: 0
    .wavefront_size: 64
  - .args:
      - .offset:         0
        .size:           416
        .value_kind:     by_value
      - .offset:         416
        .size:           416
        .value_kind:     by_value
      - .offset:         832
        .size:           416
        .value_kind:     by_value
      - .offset:         1248
        .size:           8
        .value_kind:     by_value
      - .offset:         1256
        .size:           8
        .value_kind:     by_value
      - .offset:         1264
        .size:           8
        .value_kind:     by_value
      - .offset:         1272
        .size:           8
        .value_kind:     by_value
      - .offset:         1280
        .size:           1
        .value_kind:     by_value
      - .offset:         1288
        .size:           4
        .value_kind:     hidden_block_count_x
      - .offset:         1292
        .size:           4
        .value_kind:     hidden_block_count_y
      - .offset:         1296
        .size:           4
        .value_kind:     hidden_block_count_z
      - .offset:         1300
        .size:           2
        .value_kind:     hidden_group_size_x
      - .offset:         1302
        .size:           2
        .value_kind:     hidden_group_size_y
      - .offset:         1304
        .size:           2
        .value_kind:     hidden_group_size_z
      - .offset:         1306
        .size:           2
        .value_kind:     hidden_remainder_x
      - .offset:         1308
        .size:           2
        .value_kind:     hidden_remainder_y
      - .offset:         1310
        .size:           2
        .value_kind:     hidden_remainder_z
      - .offset:         1328
        .size:           8
        .value_kind:     hidden_global_offset_x
      - .offset:         1336
        .size:           8
        .value_kind:     hidden_global_offset_y
      - .offset:         1344
        .size:           8
        .value_kind:     hidden_global_offset_z
      - .offset:         1352
        .size:           2
        .value_kind:     hidden_grid_dims
      - .offset:         1408
        .size:           4
        .value_kind:     hidden_dynamic_lds_size
    .group_segment_fixed_size: 0
    .kernarg_segment_align: 8
    .kernarg_segment_size: 1544
    .language:       OpenCL C
    .language_version:
      - 2
      - 0
    .max_flat_workgroup_size: 512
    .name:           _ZN2at4cuda17kernelHistogram1DIsslLi1ELi2ELin1ELNS0_23CUDAHistogramMemoryTypeE0EZNS0_21CUDA_tensor_histogramIssLb0EEEbNS_6TensorES4_S4_lNS_14AccumulateTypeIT0_Lb1EE4typeES8_NS0_13TensorArgTypeES9_S9_EUllE0_EEvNS0_6detail10TensorInfoIT_T1_EESF_NSC_IKS6_SE_EElS8_S8_SE_T6_
    .private_segment_fixed_size: 0
    .sgpr_count:     57
    .sgpr_spill_count: 0
    .symbol:         _ZN2at4cuda17kernelHistogram1DIsslLi1ELi2ELin1ELNS0_23CUDAHistogramMemoryTypeE0EZNS0_21CUDA_tensor_histogramIssLb0EEEbNS_6TensorES4_S4_lNS_14AccumulateTypeIT0_Lb1EE4typeES8_NS0_13TensorArgTypeES9_S9_EUllE0_EEvNS0_6detail10TensorInfoIT_T1_EESF_NSC_IKS6_SE_EElS8_S8_SE_T6_.kd
    .uniform_work_group_size: 1
    .uses_dynamic_stack: false
    .vgpr_count:     22
    .vgpr_spill_count: 0
    .wavefront_size: 64
  - .args:
      - .offset:         0
        .size:           416
        .value_kind:     by_value
      - .offset:         416
        .size:           416
        .value_kind:     by_value
      - .offset:         832
        .size:           416
        .value_kind:     by_value
      - .offset:         1248
        .size:           8
        .value_kind:     by_value
      - .offset:         1256
        .size:           8
        .value_kind:     by_value
      - .offset:         1264
        .size:           8
        .value_kind:     by_value
      - .offset:         1272
        .size:           8
        .value_kind:     by_value
      - .offset:         1280
        .size:           1
        .value_kind:     by_value
      - .offset:         1288
        .size:           4
        .value_kind:     hidden_block_count_x
      - .offset:         1292
        .size:           4
        .value_kind:     hidden_block_count_y
      - .offset:         1296
        .size:           4
        .value_kind:     hidden_block_count_z
      - .offset:         1300
        .size:           2
        .value_kind:     hidden_group_size_x
      - .offset:         1302
        .size:           2
        .value_kind:     hidden_group_size_y
      - .offset:         1304
        .size:           2
        .value_kind:     hidden_group_size_z
      - .offset:         1306
        .size:           2
        .value_kind:     hidden_remainder_x
      - .offset:         1308
        .size:           2
        .value_kind:     hidden_remainder_y
      - .offset:         1310
        .size:           2
        .value_kind:     hidden_remainder_z
      - .offset:         1328
        .size:           8
        .value_kind:     hidden_global_offset_x
      - .offset:         1336
        .size:           8
        .value_kind:     hidden_global_offset_y
      - .offset:         1344
        .size:           8
        .value_kind:     hidden_global_offset_z
      - .offset:         1352
        .size:           2
        .value_kind:     hidden_grid_dims
    .group_segment_fixed_size: 0
    .kernarg_segment_align: 8
    .kernarg_segment_size: 1544
    .language:       OpenCL C
    .language_version:
      - 2
      - 0
    .max_flat_workgroup_size: 512
    .name:           _ZN2at4cuda17kernelHistogram1DIsslLi1ELi2ELin1ELNS0_23CUDAHistogramMemoryTypeE1EZNS0_21CUDA_tensor_histogramIssLb0EEEbNS_6TensorES4_S4_lNS_14AccumulateTypeIT0_Lb1EE4typeES8_NS0_13TensorArgTypeES9_S9_EUllE0_EEvNS0_6detail10TensorInfoIT_T1_EESF_NSC_IKS6_SE_EElS8_S8_SE_T6_
    .private_segment_fixed_size: 0
    .sgpr_count:     52
    .sgpr_spill_count: 0
    .symbol:         _ZN2at4cuda17kernelHistogram1DIsslLi1ELi2ELin1ELNS0_23CUDAHistogramMemoryTypeE1EZNS0_21CUDA_tensor_histogramIssLb0EEEbNS_6TensorES4_S4_lNS_14AccumulateTypeIT0_Lb1EE4typeES8_NS0_13TensorArgTypeES9_S9_EUllE0_EEvNS0_6detail10TensorInfoIT_T1_EESF_NSC_IKS6_SE_EElS8_S8_SE_T6_.kd
    .uniform_work_group_size: 1
    .uses_dynamic_stack: false
    .vgpr_count:     18
    .vgpr_spill_count: 0
    .wavefront_size: 64
  - .args:
      - .offset:         0
        .size:           416
        .value_kind:     by_value
      - .offset:         416
        .size:           416
        .value_kind:     by_value
      - .offset:         832
        .size:           416
        .value_kind:     by_value
      - .offset:         1248
        .size:           8
        .value_kind:     by_value
      - .offset:         1256
        .size:           8
        .value_kind:     by_value
      - .offset:         1264
        .size:           8
        .value_kind:     by_value
      - .offset:         1272
        .size:           8
        .value_kind:     by_value
      - .offset:         1280
        .size:           416
        .value_kind:     by_value
      - .offset:         1696
        .size:           4
        .value_kind:     hidden_block_count_x
      - .offset:         1700
        .size:           4
        .value_kind:     hidden_block_count_y
      - .offset:         1704
        .size:           4
        .value_kind:     hidden_block_count_z
      - .offset:         1708
        .size:           2
        .value_kind:     hidden_group_size_x
      - .offset:         1710
        .size:           2
        .value_kind:     hidden_group_size_y
      - .offset:         1712
        .size:           2
        .value_kind:     hidden_group_size_z
      - .offset:         1714
        .size:           2
        .value_kind:     hidden_remainder_x
      - .offset:         1716
        .size:           2
        .value_kind:     hidden_remainder_y
      - .offset:         1718
        .size:           2
        .value_kind:     hidden_remainder_z
      - .offset:         1736
        .size:           8
        .value_kind:     hidden_global_offset_x
      - .offset:         1744
        .size:           8
        .value_kind:     hidden_global_offset_y
      - .offset:         1752
        .size:           8
        .value_kind:     hidden_global_offset_z
      - .offset:         1760
        .size:           2
        .value_kind:     hidden_grid_dims
      - .offset:         1816
        .size:           4
        .value_kind:     hidden_dynamic_lds_size
    .group_segment_fixed_size: 0
    .kernarg_segment_align: 8
    .kernarg_segment_size: 1952
    .language:       OpenCL C
    .language_version:
      - 2
      - 0
    .max_flat_workgroup_size: 512
    .name:           _ZN2at4cuda17kernelHistogram1DIddlLi1ELi2ELin1ELNS0_23CUDAHistogramMemoryTypeE0EZNS0_21CUDA_tensor_histogramIddLb0EEEbNS_6TensorES4_S4_lNS_14AccumulateTypeIT0_Lb1EE4typeES8_NS0_13TensorArgTypeES9_S9_EUllE_EEvNS0_6detail10TensorInfoIT_T1_EESF_NSC_IKS6_SE_EElS8_S8_SE_T6_
    .private_segment_fixed_size: 0
    .sgpr_count:     58
    .sgpr_spill_count: 0
    .symbol:         _ZN2at4cuda17kernelHistogram1DIddlLi1ELi2ELin1ELNS0_23CUDAHistogramMemoryTypeE0EZNS0_21CUDA_tensor_histogramIddLb0EEEbNS_6TensorES4_S4_lNS_14AccumulateTypeIT0_Lb1EE4typeES8_NS0_13TensorArgTypeES9_S9_EUllE_EEvNS0_6detail10TensorInfoIT_T1_EESF_NSC_IKS6_SE_EElS8_S8_SE_T6_.kd
    .uniform_work_group_size: 1
    .uses_dynamic_stack: false
    .vgpr_count:     26
    .vgpr_spill_count: 0
    .wavefront_size: 64
  - .args:
      - .offset:         0
        .size:           416
        .value_kind:     by_value
      - .offset:         416
        .size:           416
        .value_kind:     by_value
      - .offset:         832
        .size:           416
        .value_kind:     by_value
      - .offset:         1248
        .size:           8
        .value_kind:     by_value
      - .offset:         1256
        .size:           8
        .value_kind:     by_value
      - .offset:         1264
        .size:           8
        .value_kind:     by_value
      - .offset:         1272
        .size:           8
        .value_kind:     by_value
      - .offset:         1280
        .size:           416
        .value_kind:     by_value
      - .offset:         1696
        .size:           4
        .value_kind:     hidden_block_count_x
      - .offset:         1700
        .size:           4
        .value_kind:     hidden_block_count_y
      - .offset:         1704
        .size:           4
        .value_kind:     hidden_block_count_z
      - .offset:         1708
        .size:           2
        .value_kind:     hidden_group_size_x
      - .offset:         1710
        .size:           2
        .value_kind:     hidden_group_size_y
      - .offset:         1712
        .size:           2
        .value_kind:     hidden_group_size_z
      - .offset:         1714
        .size:           2
        .value_kind:     hidden_remainder_x
      - .offset:         1716
        .size:           2
        .value_kind:     hidden_remainder_y
      - .offset:         1718
        .size:           2
        .value_kind:     hidden_remainder_z
      - .offset:         1736
        .size:           8
        .value_kind:     hidden_global_offset_x
      - .offset:         1744
        .size:           8
        .value_kind:     hidden_global_offset_y
      - .offset:         1752
        .size:           8
        .value_kind:     hidden_global_offset_z
      - .offset:         1760
        .size:           2
        .value_kind:     hidden_grid_dims
    .group_segment_fixed_size: 0
    .kernarg_segment_align: 8
    .kernarg_segment_size: 1952
    .language:       OpenCL C
    .language_version:
      - 2
      - 0
    .max_flat_workgroup_size: 512
    .name:           _ZN2at4cuda17kernelHistogram1DIddlLi1ELi2ELin1ELNS0_23CUDAHistogramMemoryTypeE1EZNS0_21CUDA_tensor_histogramIddLb0EEEbNS_6TensorES4_S4_lNS_14AccumulateTypeIT0_Lb1EE4typeES8_NS0_13TensorArgTypeES9_S9_EUllE_EEvNS0_6detail10TensorInfoIT_T1_EESF_NSC_IKS6_SE_EElS8_S8_SE_T6_
    .private_segment_fixed_size: 0
    .sgpr_count:     53
    .sgpr_spill_count: 0
    .symbol:         _ZN2at4cuda17kernelHistogram1DIddlLi1ELi2ELin1ELNS0_23CUDAHistogramMemoryTypeE1EZNS0_21CUDA_tensor_histogramIddLb0EEEbNS_6TensorES4_S4_lNS_14AccumulateTypeIT0_Lb1EE4typeES8_NS0_13TensorArgTypeES9_S9_EUllE_EEvNS0_6detail10TensorInfoIT_T1_EESF_NSC_IKS6_SE_EElS8_S8_SE_T6_.kd
    .uniform_work_group_size: 1
    .uses_dynamic_stack: false
    .vgpr_count:     22
    .vgpr_spill_count: 0
    .wavefront_size: 64
  - .args:
      - .offset:         0
        .size:           416
        .value_kind:     by_value
      - .offset:         416
        .size:           416
        .value_kind:     by_value
      - .offset:         832
        .size:           416
        .value_kind:     by_value
      - .offset:         1248
        .size:           8
        .value_kind:     by_value
      - .offset:         1256
        .size:           8
        .value_kind:     by_value
      - .offset:         1264
        .size:           8
        .value_kind:     by_value
      - .offset:         1272
        .size:           8
        .value_kind:     by_value
      - .offset:         1280
        .size:           1
        .value_kind:     by_value
      - .offset:         1288
        .size:           4
        .value_kind:     hidden_block_count_x
      - .offset:         1292
        .size:           4
        .value_kind:     hidden_block_count_y
      - .offset:         1296
        .size:           4
        .value_kind:     hidden_block_count_z
      - .offset:         1300
        .size:           2
        .value_kind:     hidden_group_size_x
      - .offset:         1302
        .size:           2
        .value_kind:     hidden_group_size_y
      - .offset:         1304
        .size:           2
        .value_kind:     hidden_group_size_z
      - .offset:         1306
        .size:           2
        .value_kind:     hidden_remainder_x
      - .offset:         1308
        .size:           2
        .value_kind:     hidden_remainder_y
      - .offset:         1310
        .size:           2
        .value_kind:     hidden_remainder_z
      - .offset:         1328
        .size:           8
        .value_kind:     hidden_global_offset_x
      - .offset:         1336
        .size:           8
        .value_kind:     hidden_global_offset_y
      - .offset:         1344
        .size:           8
        .value_kind:     hidden_global_offset_z
      - .offset:         1352
        .size:           2
        .value_kind:     hidden_grid_dims
      - .offset:         1408
        .size:           4
        .value_kind:     hidden_dynamic_lds_size
    .group_segment_fixed_size: 0
    .kernarg_segment_align: 8
    .kernarg_segment_size: 1544
    .language:       OpenCL C
    .language_version:
      - 2
      - 0
    .max_flat_workgroup_size: 512
    .name:           _ZN2at4cuda17kernelHistogram1DIddlLi1ELi2ELin1ELNS0_23CUDAHistogramMemoryTypeE0EZNS0_21CUDA_tensor_histogramIddLb0EEEbNS_6TensorES4_S4_lNS_14AccumulateTypeIT0_Lb1EE4typeES8_NS0_13TensorArgTypeES9_S9_EUllE0_EEvNS0_6detail10TensorInfoIT_T1_EESF_NSC_IKS6_SE_EElS8_S8_SE_T6_
    .private_segment_fixed_size: 0
    .sgpr_count:     54
    .sgpr_spill_count: 0
    .symbol:         _ZN2at4cuda17kernelHistogram1DIddlLi1ELi2ELin1ELNS0_23CUDAHistogramMemoryTypeE0EZNS0_21CUDA_tensor_histogramIddLb0EEEbNS_6TensorES4_S4_lNS_14AccumulateTypeIT0_Lb1EE4typeES8_NS0_13TensorArgTypeES9_S9_EUllE0_EEvNS0_6detail10TensorInfoIT_T1_EESF_NSC_IKS6_SE_EElS8_S8_SE_T6_.kd
    .uniform_work_group_size: 1
    .uses_dynamic_stack: false
    .vgpr_count:     26
    .vgpr_spill_count: 0
    .wavefront_size: 64
  - .args:
      - .offset:         0
        .size:           416
        .value_kind:     by_value
      - .offset:         416
        .size:           416
        .value_kind:     by_value
      - .offset:         832
        .size:           416
        .value_kind:     by_value
      - .offset:         1248
        .size:           8
        .value_kind:     by_value
      - .offset:         1256
        .size:           8
        .value_kind:     by_value
      - .offset:         1264
        .size:           8
        .value_kind:     by_value
      - .offset:         1272
        .size:           8
        .value_kind:     by_value
      - .offset:         1280
        .size:           1
        .value_kind:     by_value
      - .offset:         1288
        .size:           4
        .value_kind:     hidden_block_count_x
      - .offset:         1292
        .size:           4
        .value_kind:     hidden_block_count_y
      - .offset:         1296
        .size:           4
        .value_kind:     hidden_block_count_z
      - .offset:         1300
        .size:           2
        .value_kind:     hidden_group_size_x
      - .offset:         1302
        .size:           2
        .value_kind:     hidden_group_size_y
      - .offset:         1304
        .size:           2
        .value_kind:     hidden_group_size_z
      - .offset:         1306
        .size:           2
        .value_kind:     hidden_remainder_x
      - .offset:         1308
        .size:           2
        .value_kind:     hidden_remainder_y
      - .offset:         1310
        .size:           2
        .value_kind:     hidden_remainder_z
      - .offset:         1328
        .size:           8
        .value_kind:     hidden_global_offset_x
      - .offset:         1336
        .size:           8
        .value_kind:     hidden_global_offset_y
      - .offset:         1344
        .size:           8
        .value_kind:     hidden_global_offset_z
      - .offset:         1352
        .size:           2
        .value_kind:     hidden_grid_dims
    .group_segment_fixed_size: 0
    .kernarg_segment_align: 8
    .kernarg_segment_size: 1544
    .language:       OpenCL C
    .language_version:
      - 2
      - 0
    .max_flat_workgroup_size: 512
    .name:           _ZN2at4cuda17kernelHistogram1DIddlLi1ELi2ELin1ELNS0_23CUDAHistogramMemoryTypeE1EZNS0_21CUDA_tensor_histogramIddLb0EEEbNS_6TensorES4_S4_lNS_14AccumulateTypeIT0_Lb1EE4typeES8_NS0_13TensorArgTypeES9_S9_EUllE0_EEvNS0_6detail10TensorInfoIT_T1_EESF_NSC_IKS6_SE_EElS8_S8_SE_T6_
    .private_segment_fixed_size: 0
    .sgpr_count:     49
    .sgpr_spill_count: 0
    .symbol:         _ZN2at4cuda17kernelHistogram1DIddlLi1ELi2ELin1ELNS0_23CUDAHistogramMemoryTypeE1EZNS0_21CUDA_tensor_histogramIddLb0EEEbNS_6TensorES4_S4_lNS_14AccumulateTypeIT0_Lb1EE4typeES8_NS0_13TensorArgTypeES9_S9_EUllE0_EEvNS0_6detail10TensorInfoIT_T1_EESF_NSC_IKS6_SE_EElS8_S8_SE_T6_.kd
    .uniform_work_group_size: 1
    .uses_dynamic_stack: false
    .vgpr_count:     22
    .vgpr_spill_count: 0
    .wavefront_size: 64
  - .args:
      - .offset:         0
        .size:           416
        .value_kind:     by_value
      - .offset:         416
        .size:           416
        .value_kind:     by_value
      - .offset:         832
        .size:           416
        .value_kind:     by_value
      - .offset:         1248
        .size:           8
        .value_kind:     by_value
      - .offset:         1256
        .size:           4
        .value_kind:     by_value
      - .offset:         1260
        .size:           4
        .value_kind:     by_value
      - .offset:         1264
        .size:           8
        .value_kind:     by_value
      - .offset:         1272
        .size:           416
        .value_kind:     by_value
      - .offset:         1688
        .size:           4
        .value_kind:     hidden_block_count_x
      - .offset:         1692
        .size:           4
        .value_kind:     hidden_block_count_y
      - .offset:         1696
        .size:           4
        .value_kind:     hidden_block_count_z
      - .offset:         1700
        .size:           2
        .value_kind:     hidden_group_size_x
      - .offset:         1702
        .size:           2
        .value_kind:     hidden_group_size_y
      - .offset:         1704
        .size:           2
        .value_kind:     hidden_group_size_z
      - .offset:         1706
        .size:           2
        .value_kind:     hidden_remainder_x
      - .offset:         1708
        .size:           2
        .value_kind:     hidden_remainder_y
      - .offset:         1710
        .size:           2
        .value_kind:     hidden_remainder_z
      - .offset:         1728
        .size:           8
        .value_kind:     hidden_global_offset_x
      - .offset:         1736
        .size:           8
        .value_kind:     hidden_global_offset_y
      - .offset:         1744
        .size:           8
        .value_kind:     hidden_global_offset_z
      - .offset:         1752
        .size:           2
        .value_kind:     hidden_grid_dims
      - .offset:         1808
        .size:           4
        .value_kind:     hidden_dynamic_lds_size
    .group_segment_fixed_size: 0
    .kernarg_segment_align: 8
    .kernarg_segment_size: 1944
    .language:       OpenCL C
    .language_version:
      - 2
      - 0
    .max_flat_workgroup_size: 512
    .name:           _ZN2at4cuda17kernelHistogram1DIfflLi1ELi2ELin1ELNS0_23CUDAHistogramMemoryTypeE0EZNS0_21CUDA_tensor_histogramIffLb0EEEbNS_6TensorES4_S4_lNS_14AccumulateTypeIT0_Lb1EE4typeES8_NS0_13TensorArgTypeES9_S9_EUllE_EEvNS0_6detail10TensorInfoIT_T1_EESF_NSC_IKS6_SE_EElS8_S8_SE_T6_
    .private_segment_fixed_size: 0
    .sgpr_count:     56
    .sgpr_spill_count: 0
    .symbol:         _ZN2at4cuda17kernelHistogram1DIfflLi1ELi2ELin1ELNS0_23CUDAHistogramMemoryTypeE0EZNS0_21CUDA_tensor_histogramIffLb0EEEbNS_6TensorES4_S4_lNS_14AccumulateTypeIT0_Lb1EE4typeES8_NS0_13TensorArgTypeES9_S9_EUllE_EEvNS0_6detail10TensorInfoIT_T1_EESF_NSC_IKS6_SE_EElS8_S8_SE_T6_.kd
    .uniform_work_group_size: 1
    .uses_dynamic_stack: false
    .vgpr_count:     24
    .vgpr_spill_count: 0
    .wavefront_size: 64
  - .args:
      - .offset:         0
        .size:           416
        .value_kind:     by_value
      - .offset:         416
        .size:           416
        .value_kind:     by_value
      - .offset:         832
        .size:           416
        .value_kind:     by_value
      - .offset:         1248
        .size:           8
        .value_kind:     by_value
      - .offset:         1256
        .size:           4
        .value_kind:     by_value
      - .offset:         1260
        .size:           4
        .value_kind:     by_value
      - .offset:         1264
        .size:           8
        .value_kind:     by_value
      - .offset:         1272
        .size:           416
        .value_kind:     by_value
      - .offset:         1688
        .size:           4
        .value_kind:     hidden_block_count_x
      - .offset:         1692
        .size:           4
        .value_kind:     hidden_block_count_y
      - .offset:         1696
        .size:           4
        .value_kind:     hidden_block_count_z
      - .offset:         1700
        .size:           2
        .value_kind:     hidden_group_size_x
      - .offset:         1702
        .size:           2
        .value_kind:     hidden_group_size_y
      - .offset:         1704
        .size:           2
        .value_kind:     hidden_group_size_z
      - .offset:         1706
        .size:           2
        .value_kind:     hidden_remainder_x
      - .offset:         1708
        .size:           2
        .value_kind:     hidden_remainder_y
      - .offset:         1710
        .size:           2
        .value_kind:     hidden_remainder_z
      - .offset:         1728
        .size:           8
        .value_kind:     hidden_global_offset_x
      - .offset:         1736
        .size:           8
        .value_kind:     hidden_global_offset_y
      - .offset:         1744
        .size:           8
        .value_kind:     hidden_global_offset_z
      - .offset:         1752
        .size:           2
        .value_kind:     hidden_grid_dims
    .group_segment_fixed_size: 0
    .kernarg_segment_align: 8
    .kernarg_segment_size: 1944
    .language:       OpenCL C
    .language_version:
      - 2
      - 0
    .max_flat_workgroup_size: 512
    .name:           _ZN2at4cuda17kernelHistogram1DIfflLi1ELi2ELin1ELNS0_23CUDAHistogramMemoryTypeE1EZNS0_21CUDA_tensor_histogramIffLb0EEEbNS_6TensorES4_S4_lNS_14AccumulateTypeIT0_Lb1EE4typeES8_NS0_13TensorArgTypeES9_S9_EUllE_EEvNS0_6detail10TensorInfoIT_T1_EESF_NSC_IKS6_SE_EElS8_S8_SE_T6_
    .private_segment_fixed_size: 0
    .sgpr_count:     51
    .sgpr_spill_count: 0
    .symbol:         _ZN2at4cuda17kernelHistogram1DIfflLi1ELi2ELin1ELNS0_23CUDAHistogramMemoryTypeE1EZNS0_21CUDA_tensor_histogramIffLb0EEEbNS_6TensorES4_S4_lNS_14AccumulateTypeIT0_Lb1EE4typeES8_NS0_13TensorArgTypeES9_S9_EUllE_EEvNS0_6detail10TensorInfoIT_T1_EESF_NSC_IKS6_SE_EElS8_S8_SE_T6_.kd
    .uniform_work_group_size: 1
    .uses_dynamic_stack: false
    .vgpr_count:     20
    .vgpr_spill_count: 0
    .wavefront_size: 64
  - .args:
      - .offset:         0
        .size:           416
        .value_kind:     by_value
      - .offset:         416
        .size:           416
        .value_kind:     by_value
      - .offset:         832
        .size:           416
        .value_kind:     by_value
      - .offset:         1248
        .size:           8
        .value_kind:     by_value
      - .offset:         1256
        .size:           4
        .value_kind:     by_value
      - .offset:         1260
        .size:           4
        .value_kind:     by_value
      - .offset:         1264
        .size:           8
        .value_kind:     by_value
      - .offset:         1272
        .size:           1
        .value_kind:     by_value
      - .offset:         1280
        .size:           4
        .value_kind:     hidden_block_count_x
      - .offset:         1284
        .size:           4
        .value_kind:     hidden_block_count_y
      - .offset:         1288
        .size:           4
        .value_kind:     hidden_block_count_z
      - .offset:         1292
        .size:           2
        .value_kind:     hidden_group_size_x
      - .offset:         1294
        .size:           2
        .value_kind:     hidden_group_size_y
      - .offset:         1296
        .size:           2
        .value_kind:     hidden_group_size_z
      - .offset:         1298
        .size:           2
        .value_kind:     hidden_remainder_x
      - .offset:         1300
        .size:           2
        .value_kind:     hidden_remainder_y
      - .offset:         1302
        .size:           2
        .value_kind:     hidden_remainder_z
      - .offset:         1320
        .size:           8
        .value_kind:     hidden_global_offset_x
      - .offset:         1328
        .size:           8
        .value_kind:     hidden_global_offset_y
      - .offset:         1336
        .size:           8
        .value_kind:     hidden_global_offset_z
      - .offset:         1344
        .size:           2
        .value_kind:     hidden_grid_dims
      - .offset:         1400
        .size:           4
        .value_kind:     hidden_dynamic_lds_size
    .group_segment_fixed_size: 0
    .kernarg_segment_align: 8
    .kernarg_segment_size: 1536
    .language:       OpenCL C
    .language_version:
      - 2
      - 0
    .max_flat_workgroup_size: 512
    .name:           _ZN2at4cuda17kernelHistogram1DIfflLi1ELi2ELin1ELNS0_23CUDAHistogramMemoryTypeE0EZNS0_21CUDA_tensor_histogramIffLb0EEEbNS_6TensorES4_S4_lNS_14AccumulateTypeIT0_Lb1EE4typeES8_NS0_13TensorArgTypeES9_S9_EUllE0_EEvNS0_6detail10TensorInfoIT_T1_EESF_NSC_IKS6_SE_EElS8_S8_SE_T6_
    .private_segment_fixed_size: 0
    .sgpr_count:     52
    .sgpr_spill_count: 0
    .symbol:         _ZN2at4cuda17kernelHistogram1DIfflLi1ELi2ELin1ELNS0_23CUDAHistogramMemoryTypeE0EZNS0_21CUDA_tensor_histogramIffLb0EEEbNS_6TensorES4_S4_lNS_14AccumulateTypeIT0_Lb1EE4typeES8_NS0_13TensorArgTypeES9_S9_EUllE0_EEvNS0_6detail10TensorInfoIT_T1_EESF_NSC_IKS6_SE_EElS8_S8_SE_T6_.kd
    .uniform_work_group_size: 1
    .uses_dynamic_stack: false
    .vgpr_count:     24
    .vgpr_spill_count: 0
    .wavefront_size: 64
  - .args:
      - .offset:         0
        .size:           416
        .value_kind:     by_value
      - .offset:         416
        .size:           416
        .value_kind:     by_value
      - .offset:         832
        .size:           416
        .value_kind:     by_value
      - .offset:         1248
        .size:           8
        .value_kind:     by_value
      - .offset:         1256
        .size:           4
        .value_kind:     by_value
      - .offset:         1260
        .size:           4
        .value_kind:     by_value
      - .offset:         1264
        .size:           8
        .value_kind:     by_value
      - .offset:         1272
        .size:           1
        .value_kind:     by_value
      - .offset:         1280
        .size:           4
        .value_kind:     hidden_block_count_x
      - .offset:         1284
        .size:           4
        .value_kind:     hidden_block_count_y
      - .offset:         1288
        .size:           4
        .value_kind:     hidden_block_count_z
      - .offset:         1292
        .size:           2
        .value_kind:     hidden_group_size_x
      - .offset:         1294
        .size:           2
        .value_kind:     hidden_group_size_y
      - .offset:         1296
        .size:           2
        .value_kind:     hidden_group_size_z
      - .offset:         1298
        .size:           2
        .value_kind:     hidden_remainder_x
      - .offset:         1300
        .size:           2
        .value_kind:     hidden_remainder_y
      - .offset:         1302
        .size:           2
        .value_kind:     hidden_remainder_z
      - .offset:         1320
        .size:           8
        .value_kind:     hidden_global_offset_x
      - .offset:         1328
        .size:           8
        .value_kind:     hidden_global_offset_y
      - .offset:         1336
        .size:           8
        .value_kind:     hidden_global_offset_z
      - .offset:         1344
        .size:           2
        .value_kind:     hidden_grid_dims
    .group_segment_fixed_size: 0
    .kernarg_segment_align: 8
    .kernarg_segment_size: 1536
    .language:       OpenCL C
    .language_version:
      - 2
      - 0
    .max_flat_workgroup_size: 512
    .name:           _ZN2at4cuda17kernelHistogram1DIfflLi1ELi2ELin1ELNS0_23CUDAHistogramMemoryTypeE1EZNS0_21CUDA_tensor_histogramIffLb0EEEbNS_6TensorES4_S4_lNS_14AccumulateTypeIT0_Lb1EE4typeES8_NS0_13TensorArgTypeES9_S9_EUllE0_EEvNS0_6detail10TensorInfoIT_T1_EESF_NSC_IKS6_SE_EElS8_S8_SE_T6_
    .private_segment_fixed_size: 0
    .sgpr_count:     47
    .sgpr_spill_count: 0
    .symbol:         _ZN2at4cuda17kernelHistogram1DIfflLi1ELi2ELin1ELNS0_23CUDAHistogramMemoryTypeE1EZNS0_21CUDA_tensor_histogramIffLb0EEEbNS_6TensorES4_S4_lNS_14AccumulateTypeIT0_Lb1EE4typeES8_NS0_13TensorArgTypeES9_S9_EUllE0_EEvNS0_6detail10TensorInfoIT_T1_EESF_NSC_IKS6_SE_EElS8_S8_SE_T6_.kd
    .uniform_work_group_size: 1
    .uses_dynamic_stack: false
    .vgpr_count:     20
    .vgpr_spill_count: 0
    .wavefront_size: 64
amdhsa.target:   amdgcn-amd-amdhsa--gfx906
amdhsa.version:
  - 1
  - 2
...

	.end_amdgpu_metadata
